;; amdgpu-corpus repo=ROCm/rocSPARSE kind=compiled arch=gfx1030 opt=O3
	.amdgcn_target "amdgcn-amd-amdhsa--gfx1030"
	.amdhsa_code_object_version 6
	.section	.text._ZN9rocsparseL19gebsrmvn_1xn_kernelILj128ELj2ELj4EfEEvi20rocsparse_direction_NS_24const_host_device_scalarIT2_EEPKiS6_PKS3_S8_S4_PS3_21rocsparse_index_base_b,"axG",@progbits,_ZN9rocsparseL19gebsrmvn_1xn_kernelILj128ELj2ELj4EfEEvi20rocsparse_direction_NS_24const_host_device_scalarIT2_EEPKiS6_PKS3_S8_S4_PS3_21rocsparse_index_base_b,comdat
	.globl	_ZN9rocsparseL19gebsrmvn_1xn_kernelILj128ELj2ELj4EfEEvi20rocsparse_direction_NS_24const_host_device_scalarIT2_EEPKiS6_PKS3_S8_S4_PS3_21rocsparse_index_base_b ; -- Begin function _ZN9rocsparseL19gebsrmvn_1xn_kernelILj128ELj2ELj4EfEEvi20rocsparse_direction_NS_24const_host_device_scalarIT2_EEPKiS6_PKS3_S8_S4_PS3_21rocsparse_index_base_b
	.p2align	8
	.type	_ZN9rocsparseL19gebsrmvn_1xn_kernelILj128ELj2ELj4EfEEvi20rocsparse_direction_NS_24const_host_device_scalarIT2_EEPKiS6_PKS3_S8_S4_PS3_21rocsparse_index_base_b,@function
_ZN9rocsparseL19gebsrmvn_1xn_kernelILj128ELj2ELj4EfEEvi20rocsparse_direction_NS_24const_host_device_scalarIT2_EEPKiS6_PKS3_S8_S4_PS3_21rocsparse_index_base_b: ; @_ZN9rocsparseL19gebsrmvn_1xn_kernelILj128ELj2ELj4EfEEvi20rocsparse_direction_NS_24const_host_device_scalarIT2_EEPKiS6_PKS3_S8_S4_PS3_21rocsparse_index_base_b
; %bb.0:
	s_clause 0x2
	s_load_dwordx2 s[12:13], s[4:5], 0x40
	s_load_dwordx2 s[10:11], s[4:5], 0x8
	;; [unrolled: 1-line block ×3, first 2 shown]
	s_waitcnt lgkmcnt(0)
	s_bitcmp1_b32 s13, 0
	s_cselect_b32 s0, -1, 0
	s_and_b32 vcc_lo, exec_lo, s0
	s_xor_b32 s0, s0, -1
	s_cbranch_vccnz .LBB0_2
; %bb.1:
	s_load_dword s10, s[10:11], 0x0
.LBB0_2:
	s_andn2_b32 vcc_lo, exec_lo, s0
	s_cbranch_vccnz .LBB0_4
; %bb.3:
	s_load_dword s8, s[8:9], 0x0
.LBB0_4:
	s_waitcnt lgkmcnt(0)
	v_cmp_eq_f32_e64 s0, s10, 0
	v_cmp_eq_f32_e64 s1, s8, 1.0
	s_and_b32 s0, s0, s1
	s_and_b32 vcc_lo, exec_lo, s0
	s_cbranch_vccnz .LBB0_15
; %bb.5:
	s_load_dword s0, s[4:5], 0x0
	v_lshrrev_b32_e32 v1, 2, v0
	v_lshl_or_b32 v1, s6, 5, v1
	s_waitcnt lgkmcnt(0)
	v_cmp_gt_i32_e32 vcc_lo, s0, v1
	s_and_saveexec_b32 s0, vcc_lo
	s_cbranch_execz .LBB0_15
; %bb.6:
	s_clause 0x1
	s_load_dwordx2 s[0:1], s[4:5], 0x10
	s_load_dwordx2 s[6:7], s[4:5], 0x38
	v_ashrrev_i32_e32 v2, 31, v1
	v_and_b32_e32 v0, 3, v0
	v_mov_b32_e32 v7, 0
	s_mov_b32 s9, exec_lo
	v_lshlrev_b64 v[1:2], 2, v[1:2]
	v_subrev_nc_u32_e32 v5, s12, v0
	s_waitcnt lgkmcnt(0)
	v_add_co_u32 v3, vcc_lo, s0, v1
	v_add_co_ci_u32_e64 v4, null, s1, v2, vcc_lo
	global_load_dwordx2 v[3:4], v[3:4], off
	s_waitcnt vmcnt(0)
	v_subrev_nc_u32_e32 v8, s12, v4
	v_add_nc_u32_e32 v3, v3, v5
	v_cmpx_lt_i32_e64 v3, v8
	s_cbranch_execz .LBB0_10
; %bb.7:
	s_clause 0x1
	s_load_dwordx4 s[0:3], s[4:5], 0x18
	s_load_dwordx2 s[4:5], s[4:5], 0x28
	v_mov_b32_e32 v6, 0
	v_lshlrev_b32_e32 v5, 1, v3
	s_mov_b32 s11, 0
	v_mov_b32_e32 v7, v6
	s_inst_prefetch 0x1
	.p2align	6
.LBB0_8:                                ; =>This Inner Loop Header: Depth=1
	v_ashrrev_i32_e32 v4, 31, v3
	v_mov_b32_e32 v12, v6
	v_lshlrev_b64 v[9:10], 2, v[3:4]
	v_add_nc_u32_e32 v3, 4, v3
	s_waitcnt lgkmcnt(0)
	v_add_co_u32 v9, vcc_lo, s0, v9
	v_add_co_ci_u32_e64 v10, null, s1, v10, vcc_lo
	global_load_dword v4, v[9:10], off
	v_lshlrev_b64 v[9:10], 2, v[5:6]
	v_add_nc_u32_e32 v5, 8, v5
	v_add_co_u32 v9, vcc_lo, s2, v9
	v_add_co_ci_u32_e64 v10, null, s3, v10, vcc_lo
	s_waitcnt vmcnt(0)
	v_subrev_nc_u32_e32 v4, s12, v4
	v_lshlrev_b32_e32 v11, 1, v4
	v_lshlrev_b64 v[11:12], 2, v[11:12]
	v_add_co_u32 v11, vcc_lo, s4, v11
	v_add_co_ci_u32_e64 v12, null, s5, v12, vcc_lo
	v_cmp_ge_i32_e32 vcc_lo, v3, v8
	global_load_dwordx2 v[9:10], v[9:10], off
	global_load_dwordx2 v[11:12], v[11:12], off
	s_or_b32 s11, vcc_lo, s11
	s_waitcnt vmcnt(0)
	v_fmac_f32_e32 v7, v9, v11
	v_fmac_f32_e32 v7, v10, v12
	s_andn2_b32 exec_lo, exec_lo, s11
	s_cbranch_execnz .LBB0_8
; %bb.9:
	s_inst_prefetch 0x2
	s_or_b32 exec_lo, exec_lo, s11
.LBB0_10:
	s_or_b32 exec_lo, exec_lo, s9
	v_mbcnt_lo_u32_b32 v3, -1, 0
	s_mov_b32 s0, -1
	v_xor_b32_e32 v4, 2, v3
	v_xor_b32_e32 v5, 1, v3
	v_cmp_gt_i32_e32 vcc_lo, 32, v4
	v_cndmask_b32_e32 v4, v3, v4, vcc_lo
	v_cmp_gt_i32_e32 vcc_lo, 32, v5
	v_lshlrev_b32_e32 v4, 2, v4
	v_cndmask_b32_e32 v5, v3, v5, vcc_lo
	v_cmp_eq_u32_e32 vcc_lo, 3, v0
	ds_bpermute_b32 v4, v4, v7
	s_waitcnt lgkmcnt(0)
	v_add_f32_e32 v3, v7, v4
	v_lshlrev_b32_e32 v4, 2, v5
	ds_bpermute_b32 v4, v4, v3
	s_and_b32 exec_lo, exec_lo, vcc_lo
	s_cbranch_execz .LBB0_15
; %bb.11:
	s_waitcnt lgkmcnt(0)
	v_add_f32_e32 v0, v3, v4
	v_cmp_eq_f32_e64 s1, s8, 0
	v_mul_f32_e32 v0, s10, v0
	s_and_b32 vcc_lo, exec_lo, s1
	s_cbranch_vccz .LBB0_13
; %bb.12:
	v_add_co_u32 v3, vcc_lo, s6, v1
	v_add_co_ci_u32_e64 v4, null, s7, v2, vcc_lo
	s_mov_b32 s0, 0
	global_store_dword v[3:4], v0, off
.LBB0_13:
	s_andn2_b32 vcc_lo, exec_lo, s0
	s_cbranch_vccnz .LBB0_15
; %bb.14:
	v_add_co_u32 v1, vcc_lo, s6, v1
	v_add_co_ci_u32_e64 v2, null, s7, v2, vcc_lo
	global_load_dword v3, v[1:2], off
	s_waitcnt vmcnt(0)
	v_fmac_f32_e32 v0, s8, v3
	global_store_dword v[1:2], v0, off
.LBB0_15:
	s_endpgm
	.section	.rodata,"a",@progbits
	.p2align	6, 0x0
	.amdhsa_kernel _ZN9rocsparseL19gebsrmvn_1xn_kernelILj128ELj2ELj4EfEEvi20rocsparse_direction_NS_24const_host_device_scalarIT2_EEPKiS6_PKS3_S8_S4_PS3_21rocsparse_index_base_b
		.amdhsa_group_segment_fixed_size 0
		.amdhsa_private_segment_fixed_size 0
		.amdhsa_kernarg_size 72
		.amdhsa_user_sgpr_count 6
		.amdhsa_user_sgpr_private_segment_buffer 1
		.amdhsa_user_sgpr_dispatch_ptr 0
		.amdhsa_user_sgpr_queue_ptr 0
		.amdhsa_user_sgpr_kernarg_segment_ptr 1
		.amdhsa_user_sgpr_dispatch_id 0
		.amdhsa_user_sgpr_flat_scratch_init 0
		.amdhsa_user_sgpr_private_segment_size 0
		.amdhsa_wavefront_size32 1
		.amdhsa_uses_dynamic_stack 0
		.amdhsa_system_sgpr_private_segment_wavefront_offset 0
		.amdhsa_system_sgpr_workgroup_id_x 1
		.amdhsa_system_sgpr_workgroup_id_y 0
		.amdhsa_system_sgpr_workgroup_id_z 0
		.amdhsa_system_sgpr_workgroup_info 0
		.amdhsa_system_vgpr_workitem_id 0
		.amdhsa_next_free_vgpr 13
		.amdhsa_next_free_sgpr 14
		.amdhsa_reserve_vcc 1
		.amdhsa_reserve_flat_scratch 0
		.amdhsa_float_round_mode_32 0
		.amdhsa_float_round_mode_16_64 0
		.amdhsa_float_denorm_mode_32 3
		.amdhsa_float_denorm_mode_16_64 3
		.amdhsa_dx10_clamp 1
		.amdhsa_ieee_mode 1
		.amdhsa_fp16_overflow 0
		.amdhsa_workgroup_processor_mode 1
		.amdhsa_memory_ordered 1
		.amdhsa_forward_progress 1
		.amdhsa_shared_vgpr_count 0
		.amdhsa_exception_fp_ieee_invalid_op 0
		.amdhsa_exception_fp_denorm_src 0
		.amdhsa_exception_fp_ieee_div_zero 0
		.amdhsa_exception_fp_ieee_overflow 0
		.amdhsa_exception_fp_ieee_underflow 0
		.amdhsa_exception_fp_ieee_inexact 0
		.amdhsa_exception_int_div_zero 0
	.end_amdhsa_kernel
	.section	.text._ZN9rocsparseL19gebsrmvn_1xn_kernelILj128ELj2ELj4EfEEvi20rocsparse_direction_NS_24const_host_device_scalarIT2_EEPKiS6_PKS3_S8_S4_PS3_21rocsparse_index_base_b,"axG",@progbits,_ZN9rocsparseL19gebsrmvn_1xn_kernelILj128ELj2ELj4EfEEvi20rocsparse_direction_NS_24const_host_device_scalarIT2_EEPKiS6_PKS3_S8_S4_PS3_21rocsparse_index_base_b,comdat
.Lfunc_end0:
	.size	_ZN9rocsparseL19gebsrmvn_1xn_kernelILj128ELj2ELj4EfEEvi20rocsparse_direction_NS_24const_host_device_scalarIT2_EEPKiS6_PKS3_S8_S4_PS3_21rocsparse_index_base_b, .Lfunc_end0-_ZN9rocsparseL19gebsrmvn_1xn_kernelILj128ELj2ELj4EfEEvi20rocsparse_direction_NS_24const_host_device_scalarIT2_EEPKiS6_PKS3_S8_S4_PS3_21rocsparse_index_base_b
                                        ; -- End function
	.set _ZN9rocsparseL19gebsrmvn_1xn_kernelILj128ELj2ELj4EfEEvi20rocsparse_direction_NS_24const_host_device_scalarIT2_EEPKiS6_PKS3_S8_S4_PS3_21rocsparse_index_base_b.num_vgpr, 13
	.set _ZN9rocsparseL19gebsrmvn_1xn_kernelILj128ELj2ELj4EfEEvi20rocsparse_direction_NS_24const_host_device_scalarIT2_EEPKiS6_PKS3_S8_S4_PS3_21rocsparse_index_base_b.num_agpr, 0
	.set _ZN9rocsparseL19gebsrmvn_1xn_kernelILj128ELj2ELj4EfEEvi20rocsparse_direction_NS_24const_host_device_scalarIT2_EEPKiS6_PKS3_S8_S4_PS3_21rocsparse_index_base_b.numbered_sgpr, 14
	.set _ZN9rocsparseL19gebsrmvn_1xn_kernelILj128ELj2ELj4EfEEvi20rocsparse_direction_NS_24const_host_device_scalarIT2_EEPKiS6_PKS3_S8_S4_PS3_21rocsparse_index_base_b.num_named_barrier, 0
	.set _ZN9rocsparseL19gebsrmvn_1xn_kernelILj128ELj2ELj4EfEEvi20rocsparse_direction_NS_24const_host_device_scalarIT2_EEPKiS6_PKS3_S8_S4_PS3_21rocsparse_index_base_b.private_seg_size, 0
	.set _ZN9rocsparseL19gebsrmvn_1xn_kernelILj128ELj2ELj4EfEEvi20rocsparse_direction_NS_24const_host_device_scalarIT2_EEPKiS6_PKS3_S8_S4_PS3_21rocsparse_index_base_b.uses_vcc, 1
	.set _ZN9rocsparseL19gebsrmvn_1xn_kernelILj128ELj2ELj4EfEEvi20rocsparse_direction_NS_24const_host_device_scalarIT2_EEPKiS6_PKS3_S8_S4_PS3_21rocsparse_index_base_b.uses_flat_scratch, 0
	.set _ZN9rocsparseL19gebsrmvn_1xn_kernelILj128ELj2ELj4EfEEvi20rocsparse_direction_NS_24const_host_device_scalarIT2_EEPKiS6_PKS3_S8_S4_PS3_21rocsparse_index_base_b.has_dyn_sized_stack, 0
	.set _ZN9rocsparseL19gebsrmvn_1xn_kernelILj128ELj2ELj4EfEEvi20rocsparse_direction_NS_24const_host_device_scalarIT2_EEPKiS6_PKS3_S8_S4_PS3_21rocsparse_index_base_b.has_recursion, 0
	.set _ZN9rocsparseL19gebsrmvn_1xn_kernelILj128ELj2ELj4EfEEvi20rocsparse_direction_NS_24const_host_device_scalarIT2_EEPKiS6_PKS3_S8_S4_PS3_21rocsparse_index_base_b.has_indirect_call, 0
	.section	.AMDGPU.csdata,"",@progbits
; Kernel info:
; codeLenInByte = 676
; TotalNumSgprs: 16
; NumVgprs: 13
; ScratchSize: 0
; MemoryBound: 0
; FloatMode: 240
; IeeeMode: 1
; LDSByteSize: 0 bytes/workgroup (compile time only)
; SGPRBlocks: 0
; VGPRBlocks: 1
; NumSGPRsForWavesPerEU: 16
; NumVGPRsForWavesPerEU: 13
; Occupancy: 16
; WaveLimiterHint : 1
; COMPUTE_PGM_RSRC2:SCRATCH_EN: 0
; COMPUTE_PGM_RSRC2:USER_SGPR: 6
; COMPUTE_PGM_RSRC2:TRAP_HANDLER: 0
; COMPUTE_PGM_RSRC2:TGID_X_EN: 1
; COMPUTE_PGM_RSRC2:TGID_Y_EN: 0
; COMPUTE_PGM_RSRC2:TGID_Z_EN: 0
; COMPUTE_PGM_RSRC2:TIDIG_COMP_CNT: 0
	.section	.text._ZN9rocsparseL19gebsrmvn_1xn_kernelILj128ELj2ELj8EfEEvi20rocsparse_direction_NS_24const_host_device_scalarIT2_EEPKiS6_PKS3_S8_S4_PS3_21rocsparse_index_base_b,"axG",@progbits,_ZN9rocsparseL19gebsrmvn_1xn_kernelILj128ELj2ELj8EfEEvi20rocsparse_direction_NS_24const_host_device_scalarIT2_EEPKiS6_PKS3_S8_S4_PS3_21rocsparse_index_base_b,comdat
	.globl	_ZN9rocsparseL19gebsrmvn_1xn_kernelILj128ELj2ELj8EfEEvi20rocsparse_direction_NS_24const_host_device_scalarIT2_EEPKiS6_PKS3_S8_S4_PS3_21rocsparse_index_base_b ; -- Begin function _ZN9rocsparseL19gebsrmvn_1xn_kernelILj128ELj2ELj8EfEEvi20rocsparse_direction_NS_24const_host_device_scalarIT2_EEPKiS6_PKS3_S8_S4_PS3_21rocsparse_index_base_b
	.p2align	8
	.type	_ZN9rocsparseL19gebsrmvn_1xn_kernelILj128ELj2ELj8EfEEvi20rocsparse_direction_NS_24const_host_device_scalarIT2_EEPKiS6_PKS3_S8_S4_PS3_21rocsparse_index_base_b,@function
_ZN9rocsparseL19gebsrmvn_1xn_kernelILj128ELj2ELj8EfEEvi20rocsparse_direction_NS_24const_host_device_scalarIT2_EEPKiS6_PKS3_S8_S4_PS3_21rocsparse_index_base_b: ; @_ZN9rocsparseL19gebsrmvn_1xn_kernelILj128ELj2ELj8EfEEvi20rocsparse_direction_NS_24const_host_device_scalarIT2_EEPKiS6_PKS3_S8_S4_PS3_21rocsparse_index_base_b
; %bb.0:
	s_clause 0x2
	s_load_dwordx2 s[12:13], s[4:5], 0x40
	s_load_dwordx2 s[10:11], s[4:5], 0x8
	s_load_dwordx2 s[8:9], s[4:5], 0x30
	s_waitcnt lgkmcnt(0)
	s_bitcmp1_b32 s13, 0
	s_cselect_b32 s0, -1, 0
	s_and_b32 vcc_lo, exec_lo, s0
	s_xor_b32 s0, s0, -1
	s_cbranch_vccnz .LBB1_2
; %bb.1:
	s_load_dword s10, s[10:11], 0x0
.LBB1_2:
	s_andn2_b32 vcc_lo, exec_lo, s0
	s_cbranch_vccnz .LBB1_4
; %bb.3:
	s_load_dword s8, s[8:9], 0x0
.LBB1_4:
	s_waitcnt lgkmcnt(0)
	v_cmp_eq_f32_e64 s0, s10, 0
	v_cmp_eq_f32_e64 s1, s8, 1.0
	s_and_b32 s0, s0, s1
	s_and_b32 vcc_lo, exec_lo, s0
	s_cbranch_vccnz .LBB1_15
; %bb.5:
	s_load_dword s0, s[4:5], 0x0
	v_lshrrev_b32_e32 v1, 3, v0
	v_lshl_or_b32 v1, s6, 4, v1
	s_waitcnt lgkmcnt(0)
	v_cmp_gt_i32_e32 vcc_lo, s0, v1
	s_and_saveexec_b32 s0, vcc_lo
	s_cbranch_execz .LBB1_15
; %bb.6:
	s_clause 0x1
	s_load_dwordx2 s[0:1], s[4:5], 0x10
	s_load_dwordx2 s[6:7], s[4:5], 0x38
	v_ashrrev_i32_e32 v2, 31, v1
	v_and_b32_e32 v0, 7, v0
	v_mov_b32_e32 v7, 0
	s_mov_b32 s9, exec_lo
	v_lshlrev_b64 v[1:2], 2, v[1:2]
	v_subrev_nc_u32_e32 v5, s12, v0
	s_waitcnt lgkmcnt(0)
	v_add_co_u32 v3, vcc_lo, s0, v1
	v_add_co_ci_u32_e64 v4, null, s1, v2, vcc_lo
	global_load_dwordx2 v[3:4], v[3:4], off
	s_waitcnt vmcnt(0)
	v_subrev_nc_u32_e32 v8, s12, v4
	v_add_nc_u32_e32 v3, v3, v5
	v_cmpx_lt_i32_e64 v3, v8
	s_cbranch_execz .LBB1_10
; %bb.7:
	s_clause 0x1
	s_load_dwordx4 s[0:3], s[4:5], 0x18
	s_load_dwordx2 s[4:5], s[4:5], 0x28
	v_mov_b32_e32 v6, 0
	v_lshlrev_b32_e32 v5, 1, v3
	s_mov_b32 s11, 0
	v_mov_b32_e32 v7, v6
	s_inst_prefetch 0x1
	.p2align	6
.LBB1_8:                                ; =>This Inner Loop Header: Depth=1
	v_ashrrev_i32_e32 v4, 31, v3
	v_mov_b32_e32 v12, v6
	v_lshlrev_b64 v[9:10], 2, v[3:4]
	v_add_nc_u32_e32 v3, 8, v3
	s_waitcnt lgkmcnt(0)
	v_add_co_u32 v9, vcc_lo, s0, v9
	v_add_co_ci_u32_e64 v10, null, s1, v10, vcc_lo
	global_load_dword v4, v[9:10], off
	v_lshlrev_b64 v[9:10], 2, v[5:6]
	v_add_nc_u32_e32 v5, 16, v5
	v_add_co_u32 v9, vcc_lo, s2, v9
	v_add_co_ci_u32_e64 v10, null, s3, v10, vcc_lo
	s_waitcnt vmcnt(0)
	v_subrev_nc_u32_e32 v4, s12, v4
	v_lshlrev_b32_e32 v11, 1, v4
	v_lshlrev_b64 v[11:12], 2, v[11:12]
	v_add_co_u32 v11, vcc_lo, s4, v11
	v_add_co_ci_u32_e64 v12, null, s5, v12, vcc_lo
	v_cmp_ge_i32_e32 vcc_lo, v3, v8
	global_load_dwordx2 v[9:10], v[9:10], off
	global_load_dwordx2 v[11:12], v[11:12], off
	s_or_b32 s11, vcc_lo, s11
	s_waitcnt vmcnt(0)
	v_fmac_f32_e32 v7, v9, v11
	v_fmac_f32_e32 v7, v10, v12
	s_andn2_b32 exec_lo, exec_lo, s11
	s_cbranch_execnz .LBB1_8
; %bb.9:
	s_inst_prefetch 0x2
	s_or_b32 exec_lo, exec_lo, s11
.LBB1_10:
	s_or_b32 exec_lo, exec_lo, s9
	v_mbcnt_lo_u32_b32 v3, -1, 0
	s_mov_b32 s0, -1
	v_xor_b32_e32 v4, 4, v3
	v_xor_b32_e32 v5, 2, v3
	;; [unrolled: 1-line block ×3, first 2 shown]
	v_cmp_gt_i32_e32 vcc_lo, 32, v4
	v_cndmask_b32_e32 v4, v3, v4, vcc_lo
	v_cmp_gt_i32_e32 vcc_lo, 32, v5
	v_lshlrev_b32_e32 v4, 2, v4
	v_cndmask_b32_e32 v5, v3, v5, vcc_lo
	v_cmp_gt_i32_e32 vcc_lo, 32, v6
	ds_bpermute_b32 v4, v4, v7
	v_lshlrev_b32_e32 v5, 2, v5
	v_cndmask_b32_e32 v6, v3, v6, vcc_lo
	v_cmp_eq_u32_e32 vcc_lo, 7, v0
	s_waitcnt lgkmcnt(0)
	v_add_f32_e32 v4, v7, v4
	ds_bpermute_b32 v5, v5, v4
	s_waitcnt lgkmcnt(0)
	v_add_f32_e32 v3, v4, v5
	v_lshlrev_b32_e32 v4, 2, v6
	ds_bpermute_b32 v4, v4, v3
	s_and_b32 exec_lo, exec_lo, vcc_lo
	s_cbranch_execz .LBB1_15
; %bb.11:
	s_waitcnt lgkmcnt(0)
	v_add_f32_e32 v0, v3, v4
	v_cmp_eq_f32_e64 s1, s8, 0
	v_mul_f32_e32 v0, s10, v0
	s_and_b32 vcc_lo, exec_lo, s1
	s_cbranch_vccz .LBB1_13
; %bb.12:
	v_add_co_u32 v3, vcc_lo, s6, v1
	v_add_co_ci_u32_e64 v4, null, s7, v2, vcc_lo
	s_mov_b32 s0, 0
	global_store_dword v[3:4], v0, off
.LBB1_13:
	s_andn2_b32 vcc_lo, exec_lo, s0
	s_cbranch_vccnz .LBB1_15
; %bb.14:
	v_add_co_u32 v1, vcc_lo, s6, v1
	v_add_co_ci_u32_e64 v2, null, s7, v2, vcc_lo
	global_load_dword v3, v[1:2], off
	s_waitcnt vmcnt(0)
	v_fmac_f32_e32 v0, s8, v3
	global_store_dword v[1:2], v0, off
.LBB1_15:
	s_endpgm
	.section	.rodata,"a",@progbits
	.p2align	6, 0x0
	.amdhsa_kernel _ZN9rocsparseL19gebsrmvn_1xn_kernelILj128ELj2ELj8EfEEvi20rocsparse_direction_NS_24const_host_device_scalarIT2_EEPKiS6_PKS3_S8_S4_PS3_21rocsparse_index_base_b
		.amdhsa_group_segment_fixed_size 0
		.amdhsa_private_segment_fixed_size 0
		.amdhsa_kernarg_size 72
		.amdhsa_user_sgpr_count 6
		.amdhsa_user_sgpr_private_segment_buffer 1
		.amdhsa_user_sgpr_dispatch_ptr 0
		.amdhsa_user_sgpr_queue_ptr 0
		.amdhsa_user_sgpr_kernarg_segment_ptr 1
		.amdhsa_user_sgpr_dispatch_id 0
		.amdhsa_user_sgpr_flat_scratch_init 0
		.amdhsa_user_sgpr_private_segment_size 0
		.amdhsa_wavefront_size32 1
		.amdhsa_uses_dynamic_stack 0
		.amdhsa_system_sgpr_private_segment_wavefront_offset 0
		.amdhsa_system_sgpr_workgroup_id_x 1
		.amdhsa_system_sgpr_workgroup_id_y 0
		.amdhsa_system_sgpr_workgroup_id_z 0
		.amdhsa_system_sgpr_workgroup_info 0
		.amdhsa_system_vgpr_workitem_id 0
		.amdhsa_next_free_vgpr 13
		.amdhsa_next_free_sgpr 14
		.amdhsa_reserve_vcc 1
		.amdhsa_reserve_flat_scratch 0
		.amdhsa_float_round_mode_32 0
		.amdhsa_float_round_mode_16_64 0
		.amdhsa_float_denorm_mode_32 3
		.amdhsa_float_denorm_mode_16_64 3
		.amdhsa_dx10_clamp 1
		.amdhsa_ieee_mode 1
		.amdhsa_fp16_overflow 0
		.amdhsa_workgroup_processor_mode 1
		.amdhsa_memory_ordered 1
		.amdhsa_forward_progress 1
		.amdhsa_shared_vgpr_count 0
		.amdhsa_exception_fp_ieee_invalid_op 0
		.amdhsa_exception_fp_denorm_src 0
		.amdhsa_exception_fp_ieee_div_zero 0
		.amdhsa_exception_fp_ieee_overflow 0
		.amdhsa_exception_fp_ieee_underflow 0
		.amdhsa_exception_fp_ieee_inexact 0
		.amdhsa_exception_int_div_zero 0
	.end_amdhsa_kernel
	.section	.text._ZN9rocsparseL19gebsrmvn_1xn_kernelILj128ELj2ELj8EfEEvi20rocsparse_direction_NS_24const_host_device_scalarIT2_EEPKiS6_PKS3_S8_S4_PS3_21rocsparse_index_base_b,"axG",@progbits,_ZN9rocsparseL19gebsrmvn_1xn_kernelILj128ELj2ELj8EfEEvi20rocsparse_direction_NS_24const_host_device_scalarIT2_EEPKiS6_PKS3_S8_S4_PS3_21rocsparse_index_base_b,comdat
.Lfunc_end1:
	.size	_ZN9rocsparseL19gebsrmvn_1xn_kernelILj128ELj2ELj8EfEEvi20rocsparse_direction_NS_24const_host_device_scalarIT2_EEPKiS6_PKS3_S8_S4_PS3_21rocsparse_index_base_b, .Lfunc_end1-_ZN9rocsparseL19gebsrmvn_1xn_kernelILj128ELj2ELj8EfEEvi20rocsparse_direction_NS_24const_host_device_scalarIT2_EEPKiS6_PKS3_S8_S4_PS3_21rocsparse_index_base_b
                                        ; -- End function
	.set _ZN9rocsparseL19gebsrmvn_1xn_kernelILj128ELj2ELj8EfEEvi20rocsparse_direction_NS_24const_host_device_scalarIT2_EEPKiS6_PKS3_S8_S4_PS3_21rocsparse_index_base_b.num_vgpr, 13
	.set _ZN9rocsparseL19gebsrmvn_1xn_kernelILj128ELj2ELj8EfEEvi20rocsparse_direction_NS_24const_host_device_scalarIT2_EEPKiS6_PKS3_S8_S4_PS3_21rocsparse_index_base_b.num_agpr, 0
	.set _ZN9rocsparseL19gebsrmvn_1xn_kernelILj128ELj2ELj8EfEEvi20rocsparse_direction_NS_24const_host_device_scalarIT2_EEPKiS6_PKS3_S8_S4_PS3_21rocsparse_index_base_b.numbered_sgpr, 14
	.set _ZN9rocsparseL19gebsrmvn_1xn_kernelILj128ELj2ELj8EfEEvi20rocsparse_direction_NS_24const_host_device_scalarIT2_EEPKiS6_PKS3_S8_S4_PS3_21rocsparse_index_base_b.num_named_barrier, 0
	.set _ZN9rocsparseL19gebsrmvn_1xn_kernelILj128ELj2ELj8EfEEvi20rocsparse_direction_NS_24const_host_device_scalarIT2_EEPKiS6_PKS3_S8_S4_PS3_21rocsparse_index_base_b.private_seg_size, 0
	.set _ZN9rocsparseL19gebsrmvn_1xn_kernelILj128ELj2ELj8EfEEvi20rocsparse_direction_NS_24const_host_device_scalarIT2_EEPKiS6_PKS3_S8_S4_PS3_21rocsparse_index_base_b.uses_vcc, 1
	.set _ZN9rocsparseL19gebsrmvn_1xn_kernelILj128ELj2ELj8EfEEvi20rocsparse_direction_NS_24const_host_device_scalarIT2_EEPKiS6_PKS3_S8_S4_PS3_21rocsparse_index_base_b.uses_flat_scratch, 0
	.set _ZN9rocsparseL19gebsrmvn_1xn_kernelILj128ELj2ELj8EfEEvi20rocsparse_direction_NS_24const_host_device_scalarIT2_EEPKiS6_PKS3_S8_S4_PS3_21rocsparse_index_base_b.has_dyn_sized_stack, 0
	.set _ZN9rocsparseL19gebsrmvn_1xn_kernelILj128ELj2ELj8EfEEvi20rocsparse_direction_NS_24const_host_device_scalarIT2_EEPKiS6_PKS3_S8_S4_PS3_21rocsparse_index_base_b.has_recursion, 0
	.set _ZN9rocsparseL19gebsrmvn_1xn_kernelILj128ELj2ELj8EfEEvi20rocsparse_direction_NS_24const_host_device_scalarIT2_EEPKiS6_PKS3_S8_S4_PS3_21rocsparse_index_base_b.has_indirect_call, 0
	.section	.AMDGPU.csdata,"",@progbits
; Kernel info:
; codeLenInByte = 708
; TotalNumSgprs: 16
; NumVgprs: 13
; ScratchSize: 0
; MemoryBound: 0
; FloatMode: 240
; IeeeMode: 1
; LDSByteSize: 0 bytes/workgroup (compile time only)
; SGPRBlocks: 0
; VGPRBlocks: 1
; NumSGPRsForWavesPerEU: 16
; NumVGPRsForWavesPerEU: 13
; Occupancy: 16
; WaveLimiterHint : 1
; COMPUTE_PGM_RSRC2:SCRATCH_EN: 0
; COMPUTE_PGM_RSRC2:USER_SGPR: 6
; COMPUTE_PGM_RSRC2:TRAP_HANDLER: 0
; COMPUTE_PGM_RSRC2:TGID_X_EN: 1
; COMPUTE_PGM_RSRC2:TGID_Y_EN: 0
; COMPUTE_PGM_RSRC2:TGID_Z_EN: 0
; COMPUTE_PGM_RSRC2:TIDIG_COMP_CNT: 0
	.section	.text._ZN9rocsparseL19gebsrmvn_1xn_kernelILj128ELj2ELj16EfEEvi20rocsparse_direction_NS_24const_host_device_scalarIT2_EEPKiS6_PKS3_S8_S4_PS3_21rocsparse_index_base_b,"axG",@progbits,_ZN9rocsparseL19gebsrmvn_1xn_kernelILj128ELj2ELj16EfEEvi20rocsparse_direction_NS_24const_host_device_scalarIT2_EEPKiS6_PKS3_S8_S4_PS3_21rocsparse_index_base_b,comdat
	.globl	_ZN9rocsparseL19gebsrmvn_1xn_kernelILj128ELj2ELj16EfEEvi20rocsparse_direction_NS_24const_host_device_scalarIT2_EEPKiS6_PKS3_S8_S4_PS3_21rocsparse_index_base_b ; -- Begin function _ZN9rocsparseL19gebsrmvn_1xn_kernelILj128ELj2ELj16EfEEvi20rocsparse_direction_NS_24const_host_device_scalarIT2_EEPKiS6_PKS3_S8_S4_PS3_21rocsparse_index_base_b
	.p2align	8
	.type	_ZN9rocsparseL19gebsrmvn_1xn_kernelILj128ELj2ELj16EfEEvi20rocsparse_direction_NS_24const_host_device_scalarIT2_EEPKiS6_PKS3_S8_S4_PS3_21rocsparse_index_base_b,@function
_ZN9rocsparseL19gebsrmvn_1xn_kernelILj128ELj2ELj16EfEEvi20rocsparse_direction_NS_24const_host_device_scalarIT2_EEPKiS6_PKS3_S8_S4_PS3_21rocsparse_index_base_b: ; @_ZN9rocsparseL19gebsrmvn_1xn_kernelILj128ELj2ELj16EfEEvi20rocsparse_direction_NS_24const_host_device_scalarIT2_EEPKiS6_PKS3_S8_S4_PS3_21rocsparse_index_base_b
; %bb.0:
	s_clause 0x2
	s_load_dwordx2 s[12:13], s[4:5], 0x40
	s_load_dwordx2 s[10:11], s[4:5], 0x8
	;; [unrolled: 1-line block ×3, first 2 shown]
	s_waitcnt lgkmcnt(0)
	s_bitcmp1_b32 s13, 0
	s_cselect_b32 s0, -1, 0
	s_and_b32 vcc_lo, exec_lo, s0
	s_xor_b32 s0, s0, -1
	s_cbranch_vccnz .LBB2_2
; %bb.1:
	s_load_dword s10, s[10:11], 0x0
.LBB2_2:
	s_andn2_b32 vcc_lo, exec_lo, s0
	s_cbranch_vccnz .LBB2_4
; %bb.3:
	s_load_dword s8, s[8:9], 0x0
.LBB2_4:
	s_waitcnt lgkmcnt(0)
	v_cmp_eq_f32_e64 s0, s10, 0
	v_cmp_eq_f32_e64 s1, s8, 1.0
	s_and_b32 s0, s0, s1
	s_and_b32 vcc_lo, exec_lo, s0
	s_cbranch_vccnz .LBB2_15
; %bb.5:
	s_load_dword s0, s[4:5], 0x0
	v_lshrrev_b32_e32 v1, 4, v0
	v_lshl_or_b32 v1, s6, 3, v1
	s_waitcnt lgkmcnt(0)
	v_cmp_gt_i32_e32 vcc_lo, s0, v1
	s_and_saveexec_b32 s0, vcc_lo
	s_cbranch_execz .LBB2_15
; %bb.6:
	s_clause 0x1
	s_load_dwordx2 s[0:1], s[4:5], 0x10
	s_load_dwordx2 s[6:7], s[4:5], 0x38
	v_ashrrev_i32_e32 v2, 31, v1
	v_and_b32_e32 v0, 15, v0
	v_mov_b32_e32 v7, 0
	s_mov_b32 s9, exec_lo
	v_lshlrev_b64 v[1:2], 2, v[1:2]
	v_subrev_nc_u32_e32 v5, s12, v0
	s_waitcnt lgkmcnt(0)
	v_add_co_u32 v3, vcc_lo, s0, v1
	v_add_co_ci_u32_e64 v4, null, s1, v2, vcc_lo
	global_load_dwordx2 v[3:4], v[3:4], off
	s_waitcnt vmcnt(0)
	v_subrev_nc_u32_e32 v8, s12, v4
	v_add_nc_u32_e32 v3, v3, v5
	v_cmpx_lt_i32_e64 v3, v8
	s_cbranch_execz .LBB2_10
; %bb.7:
	s_clause 0x1
	s_load_dwordx4 s[0:3], s[4:5], 0x18
	s_load_dwordx2 s[4:5], s[4:5], 0x28
	v_mov_b32_e32 v6, 0
	v_lshlrev_b32_e32 v5, 1, v3
	s_mov_b32 s11, 0
	v_mov_b32_e32 v7, v6
	s_inst_prefetch 0x1
	.p2align	6
.LBB2_8:                                ; =>This Inner Loop Header: Depth=1
	v_ashrrev_i32_e32 v4, 31, v3
	v_mov_b32_e32 v12, v6
	v_lshlrev_b64 v[9:10], 2, v[3:4]
	v_add_nc_u32_e32 v3, 16, v3
	s_waitcnt lgkmcnt(0)
	v_add_co_u32 v9, vcc_lo, s0, v9
	v_add_co_ci_u32_e64 v10, null, s1, v10, vcc_lo
	global_load_dword v4, v[9:10], off
	v_lshlrev_b64 v[9:10], 2, v[5:6]
	v_add_nc_u32_e32 v5, 32, v5
	v_add_co_u32 v9, vcc_lo, s2, v9
	v_add_co_ci_u32_e64 v10, null, s3, v10, vcc_lo
	s_waitcnt vmcnt(0)
	v_subrev_nc_u32_e32 v4, s12, v4
	v_lshlrev_b32_e32 v11, 1, v4
	v_lshlrev_b64 v[11:12], 2, v[11:12]
	v_add_co_u32 v11, vcc_lo, s4, v11
	v_add_co_ci_u32_e64 v12, null, s5, v12, vcc_lo
	v_cmp_ge_i32_e32 vcc_lo, v3, v8
	global_load_dwordx2 v[9:10], v[9:10], off
	global_load_dwordx2 v[11:12], v[11:12], off
	s_or_b32 s11, vcc_lo, s11
	s_waitcnt vmcnt(0)
	v_fmac_f32_e32 v7, v9, v11
	v_fmac_f32_e32 v7, v10, v12
	s_andn2_b32 exec_lo, exec_lo, s11
	s_cbranch_execnz .LBB2_8
; %bb.9:
	s_inst_prefetch 0x2
	s_or_b32 exec_lo, exec_lo, s11
.LBB2_10:
	s_or_b32 exec_lo, exec_lo, s9
	v_mbcnt_lo_u32_b32 v3, -1, 0
	s_mov_b32 s0, -1
	v_xor_b32_e32 v4, 8, v3
	v_xor_b32_e32 v5, 4, v3
	;; [unrolled: 1-line block ×3, first 2 shown]
	v_cmp_gt_i32_e32 vcc_lo, 32, v4
	v_cndmask_b32_e32 v4, v3, v4, vcc_lo
	v_cmp_gt_i32_e32 vcc_lo, 32, v5
	v_lshlrev_b32_e32 v4, 2, v4
	v_cndmask_b32_e32 v5, v3, v5, vcc_lo
	v_cmp_gt_i32_e32 vcc_lo, 32, v6
	ds_bpermute_b32 v4, v4, v7
	v_lshlrev_b32_e32 v5, 2, v5
	v_cndmask_b32_e32 v6, v3, v6, vcc_lo
	v_lshlrev_b32_e32 v6, 2, v6
	s_waitcnt lgkmcnt(0)
	v_add_f32_e32 v4, v7, v4
	ds_bpermute_b32 v5, v5, v4
	s_waitcnt lgkmcnt(0)
	v_add_f32_e32 v4, v4, v5
	ds_bpermute_b32 v5, v6, v4
	v_xor_b32_e32 v6, 1, v3
	v_cmp_gt_i32_e32 vcc_lo, 32, v6
	v_cndmask_b32_e32 v6, v3, v6, vcc_lo
	v_cmp_eq_u32_e32 vcc_lo, 15, v0
	s_waitcnt lgkmcnt(0)
	v_add_f32_e32 v3, v4, v5
	v_lshlrev_b32_e32 v4, 2, v6
	ds_bpermute_b32 v4, v4, v3
	s_and_b32 exec_lo, exec_lo, vcc_lo
	s_cbranch_execz .LBB2_15
; %bb.11:
	s_waitcnt lgkmcnt(0)
	v_add_f32_e32 v0, v3, v4
	v_cmp_eq_f32_e64 s1, s8, 0
	v_mul_f32_e32 v0, s10, v0
	s_and_b32 vcc_lo, exec_lo, s1
	s_cbranch_vccz .LBB2_13
; %bb.12:
	v_add_co_u32 v3, vcc_lo, s6, v1
	v_add_co_ci_u32_e64 v4, null, s7, v2, vcc_lo
	s_mov_b32 s0, 0
	global_store_dword v[3:4], v0, off
.LBB2_13:
	s_andn2_b32 vcc_lo, exec_lo, s0
	s_cbranch_vccnz .LBB2_15
; %bb.14:
	v_add_co_u32 v1, vcc_lo, s6, v1
	v_add_co_ci_u32_e64 v2, null, s7, v2, vcc_lo
	global_load_dword v3, v[1:2], off
	s_waitcnt vmcnt(0)
	v_fmac_f32_e32 v0, s8, v3
	global_store_dword v[1:2], v0, off
.LBB2_15:
	s_endpgm
	.section	.rodata,"a",@progbits
	.p2align	6, 0x0
	.amdhsa_kernel _ZN9rocsparseL19gebsrmvn_1xn_kernelILj128ELj2ELj16EfEEvi20rocsparse_direction_NS_24const_host_device_scalarIT2_EEPKiS6_PKS3_S8_S4_PS3_21rocsparse_index_base_b
		.amdhsa_group_segment_fixed_size 0
		.amdhsa_private_segment_fixed_size 0
		.amdhsa_kernarg_size 72
		.amdhsa_user_sgpr_count 6
		.amdhsa_user_sgpr_private_segment_buffer 1
		.amdhsa_user_sgpr_dispatch_ptr 0
		.amdhsa_user_sgpr_queue_ptr 0
		.amdhsa_user_sgpr_kernarg_segment_ptr 1
		.amdhsa_user_sgpr_dispatch_id 0
		.amdhsa_user_sgpr_flat_scratch_init 0
		.amdhsa_user_sgpr_private_segment_size 0
		.amdhsa_wavefront_size32 1
		.amdhsa_uses_dynamic_stack 0
		.amdhsa_system_sgpr_private_segment_wavefront_offset 0
		.amdhsa_system_sgpr_workgroup_id_x 1
		.amdhsa_system_sgpr_workgroup_id_y 0
		.amdhsa_system_sgpr_workgroup_id_z 0
		.amdhsa_system_sgpr_workgroup_info 0
		.amdhsa_system_vgpr_workitem_id 0
		.amdhsa_next_free_vgpr 13
		.amdhsa_next_free_sgpr 14
		.amdhsa_reserve_vcc 1
		.amdhsa_reserve_flat_scratch 0
		.amdhsa_float_round_mode_32 0
		.amdhsa_float_round_mode_16_64 0
		.amdhsa_float_denorm_mode_32 3
		.amdhsa_float_denorm_mode_16_64 3
		.amdhsa_dx10_clamp 1
		.amdhsa_ieee_mode 1
		.amdhsa_fp16_overflow 0
		.amdhsa_workgroup_processor_mode 1
		.amdhsa_memory_ordered 1
		.amdhsa_forward_progress 1
		.amdhsa_shared_vgpr_count 0
		.amdhsa_exception_fp_ieee_invalid_op 0
		.amdhsa_exception_fp_denorm_src 0
		.amdhsa_exception_fp_ieee_div_zero 0
		.amdhsa_exception_fp_ieee_overflow 0
		.amdhsa_exception_fp_ieee_underflow 0
		.amdhsa_exception_fp_ieee_inexact 0
		.amdhsa_exception_int_div_zero 0
	.end_amdhsa_kernel
	.section	.text._ZN9rocsparseL19gebsrmvn_1xn_kernelILj128ELj2ELj16EfEEvi20rocsparse_direction_NS_24const_host_device_scalarIT2_EEPKiS6_PKS3_S8_S4_PS3_21rocsparse_index_base_b,"axG",@progbits,_ZN9rocsparseL19gebsrmvn_1xn_kernelILj128ELj2ELj16EfEEvi20rocsparse_direction_NS_24const_host_device_scalarIT2_EEPKiS6_PKS3_S8_S4_PS3_21rocsparse_index_base_b,comdat
.Lfunc_end2:
	.size	_ZN9rocsparseL19gebsrmvn_1xn_kernelILj128ELj2ELj16EfEEvi20rocsparse_direction_NS_24const_host_device_scalarIT2_EEPKiS6_PKS3_S8_S4_PS3_21rocsparse_index_base_b, .Lfunc_end2-_ZN9rocsparseL19gebsrmvn_1xn_kernelILj128ELj2ELj16EfEEvi20rocsparse_direction_NS_24const_host_device_scalarIT2_EEPKiS6_PKS3_S8_S4_PS3_21rocsparse_index_base_b
                                        ; -- End function
	.set _ZN9rocsparseL19gebsrmvn_1xn_kernelILj128ELj2ELj16EfEEvi20rocsparse_direction_NS_24const_host_device_scalarIT2_EEPKiS6_PKS3_S8_S4_PS3_21rocsparse_index_base_b.num_vgpr, 13
	.set _ZN9rocsparseL19gebsrmvn_1xn_kernelILj128ELj2ELj16EfEEvi20rocsparse_direction_NS_24const_host_device_scalarIT2_EEPKiS6_PKS3_S8_S4_PS3_21rocsparse_index_base_b.num_agpr, 0
	.set _ZN9rocsparseL19gebsrmvn_1xn_kernelILj128ELj2ELj16EfEEvi20rocsparse_direction_NS_24const_host_device_scalarIT2_EEPKiS6_PKS3_S8_S4_PS3_21rocsparse_index_base_b.numbered_sgpr, 14
	.set _ZN9rocsparseL19gebsrmvn_1xn_kernelILj128ELj2ELj16EfEEvi20rocsparse_direction_NS_24const_host_device_scalarIT2_EEPKiS6_PKS3_S8_S4_PS3_21rocsparse_index_base_b.num_named_barrier, 0
	.set _ZN9rocsparseL19gebsrmvn_1xn_kernelILj128ELj2ELj16EfEEvi20rocsparse_direction_NS_24const_host_device_scalarIT2_EEPKiS6_PKS3_S8_S4_PS3_21rocsparse_index_base_b.private_seg_size, 0
	.set _ZN9rocsparseL19gebsrmvn_1xn_kernelILj128ELj2ELj16EfEEvi20rocsparse_direction_NS_24const_host_device_scalarIT2_EEPKiS6_PKS3_S8_S4_PS3_21rocsparse_index_base_b.uses_vcc, 1
	.set _ZN9rocsparseL19gebsrmvn_1xn_kernelILj128ELj2ELj16EfEEvi20rocsparse_direction_NS_24const_host_device_scalarIT2_EEPKiS6_PKS3_S8_S4_PS3_21rocsparse_index_base_b.uses_flat_scratch, 0
	.set _ZN9rocsparseL19gebsrmvn_1xn_kernelILj128ELj2ELj16EfEEvi20rocsparse_direction_NS_24const_host_device_scalarIT2_EEPKiS6_PKS3_S8_S4_PS3_21rocsparse_index_base_b.has_dyn_sized_stack, 0
	.set _ZN9rocsparseL19gebsrmvn_1xn_kernelILj128ELj2ELj16EfEEvi20rocsparse_direction_NS_24const_host_device_scalarIT2_EEPKiS6_PKS3_S8_S4_PS3_21rocsparse_index_base_b.has_recursion, 0
	.set _ZN9rocsparseL19gebsrmvn_1xn_kernelILj128ELj2ELj16EfEEvi20rocsparse_direction_NS_24const_host_device_scalarIT2_EEPKiS6_PKS3_S8_S4_PS3_21rocsparse_index_base_b.has_indirect_call, 0
	.section	.AMDGPU.csdata,"",@progbits
; Kernel info:
; codeLenInByte = 740
; TotalNumSgprs: 16
; NumVgprs: 13
; ScratchSize: 0
; MemoryBound: 0
; FloatMode: 240
; IeeeMode: 1
; LDSByteSize: 0 bytes/workgroup (compile time only)
; SGPRBlocks: 0
; VGPRBlocks: 1
; NumSGPRsForWavesPerEU: 16
; NumVGPRsForWavesPerEU: 13
; Occupancy: 16
; WaveLimiterHint : 1
; COMPUTE_PGM_RSRC2:SCRATCH_EN: 0
; COMPUTE_PGM_RSRC2:USER_SGPR: 6
; COMPUTE_PGM_RSRC2:TRAP_HANDLER: 0
; COMPUTE_PGM_RSRC2:TGID_X_EN: 1
; COMPUTE_PGM_RSRC2:TGID_Y_EN: 0
; COMPUTE_PGM_RSRC2:TGID_Z_EN: 0
; COMPUTE_PGM_RSRC2:TIDIG_COMP_CNT: 0
	.section	.text._ZN9rocsparseL19gebsrmvn_1xn_kernelILj128ELj2ELj32EfEEvi20rocsparse_direction_NS_24const_host_device_scalarIT2_EEPKiS6_PKS3_S8_S4_PS3_21rocsparse_index_base_b,"axG",@progbits,_ZN9rocsparseL19gebsrmvn_1xn_kernelILj128ELj2ELj32EfEEvi20rocsparse_direction_NS_24const_host_device_scalarIT2_EEPKiS6_PKS3_S8_S4_PS3_21rocsparse_index_base_b,comdat
	.globl	_ZN9rocsparseL19gebsrmvn_1xn_kernelILj128ELj2ELj32EfEEvi20rocsparse_direction_NS_24const_host_device_scalarIT2_EEPKiS6_PKS3_S8_S4_PS3_21rocsparse_index_base_b ; -- Begin function _ZN9rocsparseL19gebsrmvn_1xn_kernelILj128ELj2ELj32EfEEvi20rocsparse_direction_NS_24const_host_device_scalarIT2_EEPKiS6_PKS3_S8_S4_PS3_21rocsparse_index_base_b
	.p2align	8
	.type	_ZN9rocsparseL19gebsrmvn_1xn_kernelILj128ELj2ELj32EfEEvi20rocsparse_direction_NS_24const_host_device_scalarIT2_EEPKiS6_PKS3_S8_S4_PS3_21rocsparse_index_base_b,@function
_ZN9rocsparseL19gebsrmvn_1xn_kernelILj128ELj2ELj32EfEEvi20rocsparse_direction_NS_24const_host_device_scalarIT2_EEPKiS6_PKS3_S8_S4_PS3_21rocsparse_index_base_b: ; @_ZN9rocsparseL19gebsrmvn_1xn_kernelILj128ELj2ELj32EfEEvi20rocsparse_direction_NS_24const_host_device_scalarIT2_EEPKiS6_PKS3_S8_S4_PS3_21rocsparse_index_base_b
; %bb.0:
	s_clause 0x2
	s_load_dwordx2 s[12:13], s[4:5], 0x40
	s_load_dwordx2 s[10:11], s[4:5], 0x8
	;; [unrolled: 1-line block ×3, first 2 shown]
	s_waitcnt lgkmcnt(0)
	s_bitcmp1_b32 s13, 0
	s_cselect_b32 s0, -1, 0
	s_and_b32 vcc_lo, exec_lo, s0
	s_xor_b32 s0, s0, -1
	s_cbranch_vccnz .LBB3_2
; %bb.1:
	s_load_dword s10, s[10:11], 0x0
.LBB3_2:
	s_andn2_b32 vcc_lo, exec_lo, s0
	s_cbranch_vccnz .LBB3_4
; %bb.3:
	s_load_dword s8, s[8:9], 0x0
.LBB3_4:
	s_waitcnt lgkmcnt(0)
	v_cmp_eq_f32_e64 s0, s10, 0
	v_cmp_eq_f32_e64 s1, s8, 1.0
	s_and_b32 s0, s0, s1
	s_and_b32 vcc_lo, exec_lo, s0
	s_cbranch_vccnz .LBB3_15
; %bb.5:
	s_load_dword s0, s[4:5], 0x0
	v_lshrrev_b32_e32 v1, 5, v0
	v_lshl_or_b32 v1, s6, 2, v1
	s_waitcnt lgkmcnt(0)
	v_cmp_gt_i32_e32 vcc_lo, s0, v1
	s_and_saveexec_b32 s0, vcc_lo
	s_cbranch_execz .LBB3_15
; %bb.6:
	s_clause 0x1
	s_load_dwordx2 s[0:1], s[4:5], 0x10
	s_load_dwordx2 s[6:7], s[4:5], 0x38
	v_ashrrev_i32_e32 v2, 31, v1
	v_and_b32_e32 v0, 31, v0
	v_mov_b32_e32 v7, 0
	s_mov_b32 s9, exec_lo
	v_lshlrev_b64 v[1:2], 2, v[1:2]
	v_subrev_nc_u32_e32 v5, s12, v0
	s_waitcnt lgkmcnt(0)
	v_add_co_u32 v3, vcc_lo, s0, v1
	v_add_co_ci_u32_e64 v4, null, s1, v2, vcc_lo
	global_load_dwordx2 v[3:4], v[3:4], off
	s_waitcnt vmcnt(0)
	v_subrev_nc_u32_e32 v8, s12, v4
	v_add_nc_u32_e32 v3, v3, v5
	v_cmpx_lt_i32_e64 v3, v8
	s_cbranch_execz .LBB3_10
; %bb.7:
	s_clause 0x1
	s_load_dwordx4 s[0:3], s[4:5], 0x18
	s_load_dwordx2 s[4:5], s[4:5], 0x28
	v_mov_b32_e32 v6, 0
	v_lshlrev_b32_e32 v5, 1, v3
	s_mov_b32 s11, 0
	v_mov_b32_e32 v7, v6
	s_inst_prefetch 0x1
	.p2align	6
.LBB3_8:                                ; =>This Inner Loop Header: Depth=1
	v_ashrrev_i32_e32 v4, 31, v3
	v_mov_b32_e32 v12, v6
	v_lshlrev_b64 v[9:10], 2, v[3:4]
	v_add_nc_u32_e32 v3, 32, v3
	s_waitcnt lgkmcnt(0)
	v_add_co_u32 v9, vcc_lo, s0, v9
	v_add_co_ci_u32_e64 v10, null, s1, v10, vcc_lo
	global_load_dword v4, v[9:10], off
	v_lshlrev_b64 v[9:10], 2, v[5:6]
	v_add_nc_u32_e32 v5, 64, v5
	v_add_co_u32 v9, vcc_lo, s2, v9
	v_add_co_ci_u32_e64 v10, null, s3, v10, vcc_lo
	s_waitcnt vmcnt(0)
	v_subrev_nc_u32_e32 v4, s12, v4
	v_lshlrev_b32_e32 v11, 1, v4
	v_lshlrev_b64 v[11:12], 2, v[11:12]
	v_add_co_u32 v11, vcc_lo, s4, v11
	v_add_co_ci_u32_e64 v12, null, s5, v12, vcc_lo
	v_cmp_ge_i32_e32 vcc_lo, v3, v8
	global_load_dwordx2 v[9:10], v[9:10], off
	global_load_dwordx2 v[11:12], v[11:12], off
	s_or_b32 s11, vcc_lo, s11
	s_waitcnt vmcnt(0)
	v_fmac_f32_e32 v7, v9, v11
	v_fmac_f32_e32 v7, v10, v12
	s_andn2_b32 exec_lo, exec_lo, s11
	s_cbranch_execnz .LBB3_8
; %bb.9:
	s_inst_prefetch 0x2
	s_or_b32 exec_lo, exec_lo, s11
.LBB3_10:
	s_or_b32 exec_lo, exec_lo, s9
	v_mbcnt_lo_u32_b32 v3, -1, 0
	s_mov_b32 s0, -1
	v_xor_b32_e32 v4, 16, v3
	v_xor_b32_e32 v5, 8, v3
	;; [unrolled: 1-line block ×3, first 2 shown]
	v_cmp_gt_i32_e32 vcc_lo, 32, v4
	v_cndmask_b32_e32 v4, v3, v4, vcc_lo
	v_cmp_gt_i32_e32 vcc_lo, 32, v5
	v_lshlrev_b32_e32 v4, 2, v4
	v_cndmask_b32_e32 v5, v3, v5, vcc_lo
	v_cmp_gt_i32_e32 vcc_lo, 32, v6
	ds_bpermute_b32 v4, v4, v7
	v_lshlrev_b32_e32 v5, 2, v5
	v_cndmask_b32_e32 v6, v3, v6, vcc_lo
	v_lshlrev_b32_e32 v6, 2, v6
	s_waitcnt lgkmcnt(0)
	v_add_f32_e32 v4, v7, v4
	ds_bpermute_b32 v5, v5, v4
	s_waitcnt lgkmcnt(0)
	v_add_f32_e32 v4, v4, v5
	ds_bpermute_b32 v5, v6, v4
	v_xor_b32_e32 v6, 2, v3
	v_cmp_gt_i32_e32 vcc_lo, 32, v6
	v_cndmask_b32_e32 v6, v3, v6, vcc_lo
	v_lshlrev_b32_e32 v6, 2, v6
	s_waitcnt lgkmcnt(0)
	v_add_f32_e32 v4, v4, v5
	ds_bpermute_b32 v5, v6, v4
	v_xor_b32_e32 v6, 1, v3
	v_cmp_gt_i32_e32 vcc_lo, 32, v6
	v_cndmask_b32_e32 v6, v3, v6, vcc_lo
	v_cmp_eq_u32_e32 vcc_lo, 31, v0
	s_waitcnt lgkmcnt(0)
	v_add_f32_e32 v3, v4, v5
	v_lshlrev_b32_e32 v4, 2, v6
	ds_bpermute_b32 v4, v4, v3
	s_and_b32 exec_lo, exec_lo, vcc_lo
	s_cbranch_execz .LBB3_15
; %bb.11:
	s_waitcnt lgkmcnt(0)
	v_add_f32_e32 v0, v3, v4
	v_cmp_eq_f32_e64 s1, s8, 0
	v_mul_f32_e32 v0, s10, v0
	s_and_b32 vcc_lo, exec_lo, s1
	s_cbranch_vccz .LBB3_13
; %bb.12:
	v_add_co_u32 v3, vcc_lo, s6, v1
	v_add_co_ci_u32_e64 v4, null, s7, v2, vcc_lo
	s_mov_b32 s0, 0
	global_store_dword v[3:4], v0, off
.LBB3_13:
	s_andn2_b32 vcc_lo, exec_lo, s0
	s_cbranch_vccnz .LBB3_15
; %bb.14:
	v_add_co_u32 v1, vcc_lo, s6, v1
	v_add_co_ci_u32_e64 v2, null, s7, v2, vcc_lo
	global_load_dword v3, v[1:2], off
	s_waitcnt vmcnt(0)
	v_fmac_f32_e32 v0, s8, v3
	global_store_dword v[1:2], v0, off
.LBB3_15:
	s_endpgm
	.section	.rodata,"a",@progbits
	.p2align	6, 0x0
	.amdhsa_kernel _ZN9rocsparseL19gebsrmvn_1xn_kernelILj128ELj2ELj32EfEEvi20rocsparse_direction_NS_24const_host_device_scalarIT2_EEPKiS6_PKS3_S8_S4_PS3_21rocsparse_index_base_b
		.amdhsa_group_segment_fixed_size 0
		.amdhsa_private_segment_fixed_size 0
		.amdhsa_kernarg_size 72
		.amdhsa_user_sgpr_count 6
		.amdhsa_user_sgpr_private_segment_buffer 1
		.amdhsa_user_sgpr_dispatch_ptr 0
		.amdhsa_user_sgpr_queue_ptr 0
		.amdhsa_user_sgpr_kernarg_segment_ptr 1
		.amdhsa_user_sgpr_dispatch_id 0
		.amdhsa_user_sgpr_flat_scratch_init 0
		.amdhsa_user_sgpr_private_segment_size 0
		.amdhsa_wavefront_size32 1
		.amdhsa_uses_dynamic_stack 0
		.amdhsa_system_sgpr_private_segment_wavefront_offset 0
		.amdhsa_system_sgpr_workgroup_id_x 1
		.amdhsa_system_sgpr_workgroup_id_y 0
		.amdhsa_system_sgpr_workgroup_id_z 0
		.amdhsa_system_sgpr_workgroup_info 0
		.amdhsa_system_vgpr_workitem_id 0
		.amdhsa_next_free_vgpr 13
		.amdhsa_next_free_sgpr 14
		.amdhsa_reserve_vcc 1
		.amdhsa_reserve_flat_scratch 0
		.amdhsa_float_round_mode_32 0
		.amdhsa_float_round_mode_16_64 0
		.amdhsa_float_denorm_mode_32 3
		.amdhsa_float_denorm_mode_16_64 3
		.amdhsa_dx10_clamp 1
		.amdhsa_ieee_mode 1
		.amdhsa_fp16_overflow 0
		.amdhsa_workgroup_processor_mode 1
		.amdhsa_memory_ordered 1
		.amdhsa_forward_progress 1
		.amdhsa_shared_vgpr_count 0
		.amdhsa_exception_fp_ieee_invalid_op 0
		.amdhsa_exception_fp_denorm_src 0
		.amdhsa_exception_fp_ieee_div_zero 0
		.amdhsa_exception_fp_ieee_overflow 0
		.amdhsa_exception_fp_ieee_underflow 0
		.amdhsa_exception_fp_ieee_inexact 0
		.amdhsa_exception_int_div_zero 0
	.end_amdhsa_kernel
	.section	.text._ZN9rocsparseL19gebsrmvn_1xn_kernelILj128ELj2ELj32EfEEvi20rocsparse_direction_NS_24const_host_device_scalarIT2_EEPKiS6_PKS3_S8_S4_PS3_21rocsparse_index_base_b,"axG",@progbits,_ZN9rocsparseL19gebsrmvn_1xn_kernelILj128ELj2ELj32EfEEvi20rocsparse_direction_NS_24const_host_device_scalarIT2_EEPKiS6_PKS3_S8_S4_PS3_21rocsparse_index_base_b,comdat
.Lfunc_end3:
	.size	_ZN9rocsparseL19gebsrmvn_1xn_kernelILj128ELj2ELj32EfEEvi20rocsparse_direction_NS_24const_host_device_scalarIT2_EEPKiS6_PKS3_S8_S4_PS3_21rocsparse_index_base_b, .Lfunc_end3-_ZN9rocsparseL19gebsrmvn_1xn_kernelILj128ELj2ELj32EfEEvi20rocsparse_direction_NS_24const_host_device_scalarIT2_EEPKiS6_PKS3_S8_S4_PS3_21rocsparse_index_base_b
                                        ; -- End function
	.set _ZN9rocsparseL19gebsrmvn_1xn_kernelILj128ELj2ELj32EfEEvi20rocsparse_direction_NS_24const_host_device_scalarIT2_EEPKiS6_PKS3_S8_S4_PS3_21rocsparse_index_base_b.num_vgpr, 13
	.set _ZN9rocsparseL19gebsrmvn_1xn_kernelILj128ELj2ELj32EfEEvi20rocsparse_direction_NS_24const_host_device_scalarIT2_EEPKiS6_PKS3_S8_S4_PS3_21rocsparse_index_base_b.num_agpr, 0
	.set _ZN9rocsparseL19gebsrmvn_1xn_kernelILj128ELj2ELj32EfEEvi20rocsparse_direction_NS_24const_host_device_scalarIT2_EEPKiS6_PKS3_S8_S4_PS3_21rocsparse_index_base_b.numbered_sgpr, 14
	.set _ZN9rocsparseL19gebsrmvn_1xn_kernelILj128ELj2ELj32EfEEvi20rocsparse_direction_NS_24const_host_device_scalarIT2_EEPKiS6_PKS3_S8_S4_PS3_21rocsparse_index_base_b.num_named_barrier, 0
	.set _ZN9rocsparseL19gebsrmvn_1xn_kernelILj128ELj2ELj32EfEEvi20rocsparse_direction_NS_24const_host_device_scalarIT2_EEPKiS6_PKS3_S8_S4_PS3_21rocsparse_index_base_b.private_seg_size, 0
	.set _ZN9rocsparseL19gebsrmvn_1xn_kernelILj128ELj2ELj32EfEEvi20rocsparse_direction_NS_24const_host_device_scalarIT2_EEPKiS6_PKS3_S8_S4_PS3_21rocsparse_index_base_b.uses_vcc, 1
	.set _ZN9rocsparseL19gebsrmvn_1xn_kernelILj128ELj2ELj32EfEEvi20rocsparse_direction_NS_24const_host_device_scalarIT2_EEPKiS6_PKS3_S8_S4_PS3_21rocsparse_index_base_b.uses_flat_scratch, 0
	.set _ZN9rocsparseL19gebsrmvn_1xn_kernelILj128ELj2ELj32EfEEvi20rocsparse_direction_NS_24const_host_device_scalarIT2_EEPKiS6_PKS3_S8_S4_PS3_21rocsparse_index_base_b.has_dyn_sized_stack, 0
	.set _ZN9rocsparseL19gebsrmvn_1xn_kernelILj128ELj2ELj32EfEEvi20rocsparse_direction_NS_24const_host_device_scalarIT2_EEPKiS6_PKS3_S8_S4_PS3_21rocsparse_index_base_b.has_recursion, 0
	.set _ZN9rocsparseL19gebsrmvn_1xn_kernelILj128ELj2ELj32EfEEvi20rocsparse_direction_NS_24const_host_device_scalarIT2_EEPKiS6_PKS3_S8_S4_PS3_21rocsparse_index_base_b.has_indirect_call, 0
	.section	.AMDGPU.csdata,"",@progbits
; Kernel info:
; codeLenInByte = 772
; TotalNumSgprs: 16
; NumVgprs: 13
; ScratchSize: 0
; MemoryBound: 0
; FloatMode: 240
; IeeeMode: 1
; LDSByteSize: 0 bytes/workgroup (compile time only)
; SGPRBlocks: 0
; VGPRBlocks: 1
; NumSGPRsForWavesPerEU: 16
; NumVGPRsForWavesPerEU: 13
; Occupancy: 16
; WaveLimiterHint : 1
; COMPUTE_PGM_RSRC2:SCRATCH_EN: 0
; COMPUTE_PGM_RSRC2:USER_SGPR: 6
; COMPUTE_PGM_RSRC2:TRAP_HANDLER: 0
; COMPUTE_PGM_RSRC2:TGID_X_EN: 1
; COMPUTE_PGM_RSRC2:TGID_Y_EN: 0
; COMPUTE_PGM_RSRC2:TGID_Z_EN: 0
; COMPUTE_PGM_RSRC2:TIDIG_COMP_CNT: 0
	.section	.text._ZN9rocsparseL19gebsrmvn_1xn_kernelILj128ELj2ELj64EfEEvi20rocsparse_direction_NS_24const_host_device_scalarIT2_EEPKiS6_PKS3_S8_S4_PS3_21rocsparse_index_base_b,"axG",@progbits,_ZN9rocsparseL19gebsrmvn_1xn_kernelILj128ELj2ELj64EfEEvi20rocsparse_direction_NS_24const_host_device_scalarIT2_EEPKiS6_PKS3_S8_S4_PS3_21rocsparse_index_base_b,comdat
	.globl	_ZN9rocsparseL19gebsrmvn_1xn_kernelILj128ELj2ELj64EfEEvi20rocsparse_direction_NS_24const_host_device_scalarIT2_EEPKiS6_PKS3_S8_S4_PS3_21rocsparse_index_base_b ; -- Begin function _ZN9rocsparseL19gebsrmvn_1xn_kernelILj128ELj2ELj64EfEEvi20rocsparse_direction_NS_24const_host_device_scalarIT2_EEPKiS6_PKS3_S8_S4_PS3_21rocsparse_index_base_b
	.p2align	8
	.type	_ZN9rocsparseL19gebsrmvn_1xn_kernelILj128ELj2ELj64EfEEvi20rocsparse_direction_NS_24const_host_device_scalarIT2_EEPKiS6_PKS3_S8_S4_PS3_21rocsparse_index_base_b,@function
_ZN9rocsparseL19gebsrmvn_1xn_kernelILj128ELj2ELj64EfEEvi20rocsparse_direction_NS_24const_host_device_scalarIT2_EEPKiS6_PKS3_S8_S4_PS3_21rocsparse_index_base_b: ; @_ZN9rocsparseL19gebsrmvn_1xn_kernelILj128ELj2ELj64EfEEvi20rocsparse_direction_NS_24const_host_device_scalarIT2_EEPKiS6_PKS3_S8_S4_PS3_21rocsparse_index_base_b
; %bb.0:
	s_clause 0x2
	s_load_dwordx2 s[12:13], s[4:5], 0x40
	s_load_dwordx2 s[10:11], s[4:5], 0x8
	;; [unrolled: 1-line block ×3, first 2 shown]
	s_waitcnt lgkmcnt(0)
	s_bitcmp1_b32 s13, 0
	s_cselect_b32 s0, -1, 0
	s_and_b32 vcc_lo, exec_lo, s0
	s_xor_b32 s0, s0, -1
	s_cbranch_vccnz .LBB4_2
; %bb.1:
	s_load_dword s10, s[10:11], 0x0
.LBB4_2:
	s_andn2_b32 vcc_lo, exec_lo, s0
	s_cbranch_vccnz .LBB4_4
; %bb.3:
	s_load_dword s8, s[8:9], 0x0
.LBB4_4:
	s_waitcnt lgkmcnt(0)
	v_cmp_eq_f32_e64 s0, s10, 0
	v_cmp_eq_f32_e64 s1, s8, 1.0
	s_and_b32 s0, s0, s1
	s_and_b32 vcc_lo, exec_lo, s0
	s_cbranch_vccnz .LBB4_15
; %bb.5:
	s_load_dword s0, s[4:5], 0x0
	v_lshrrev_b32_e32 v1, 6, v0
	v_lshl_or_b32 v1, s6, 1, v1
	s_waitcnt lgkmcnt(0)
	v_cmp_gt_i32_e32 vcc_lo, s0, v1
	s_and_saveexec_b32 s0, vcc_lo
	s_cbranch_execz .LBB4_15
; %bb.6:
	s_clause 0x1
	s_load_dwordx2 s[0:1], s[4:5], 0x10
	s_load_dwordx2 s[6:7], s[4:5], 0x38
	v_ashrrev_i32_e32 v2, 31, v1
	v_and_b32_e32 v0, 63, v0
	v_mov_b32_e32 v7, 0
	s_mov_b32 s9, exec_lo
	v_lshlrev_b64 v[1:2], 2, v[1:2]
	v_subrev_nc_u32_e32 v5, s12, v0
	s_waitcnt lgkmcnt(0)
	v_add_co_u32 v3, vcc_lo, s0, v1
	v_add_co_ci_u32_e64 v4, null, s1, v2, vcc_lo
	global_load_dwordx2 v[3:4], v[3:4], off
	s_waitcnt vmcnt(0)
	v_subrev_nc_u32_e32 v8, s12, v4
	v_add_nc_u32_e32 v3, v3, v5
	v_cmpx_lt_i32_e64 v3, v8
	s_cbranch_execz .LBB4_10
; %bb.7:
	s_clause 0x1
	s_load_dwordx4 s[0:3], s[4:5], 0x18
	s_load_dwordx2 s[4:5], s[4:5], 0x28
	v_mov_b32_e32 v6, 0
	v_lshlrev_b32_e32 v5, 1, v3
	s_mov_b32 s11, 0
	v_mov_b32_e32 v7, v6
	s_inst_prefetch 0x1
	.p2align	6
.LBB4_8:                                ; =>This Inner Loop Header: Depth=1
	v_ashrrev_i32_e32 v4, 31, v3
	v_mov_b32_e32 v12, v6
	v_lshlrev_b64 v[9:10], 2, v[3:4]
	v_add_nc_u32_e32 v3, 64, v3
	s_waitcnt lgkmcnt(0)
	v_add_co_u32 v9, vcc_lo, s0, v9
	v_add_co_ci_u32_e64 v10, null, s1, v10, vcc_lo
	global_load_dword v4, v[9:10], off
	v_lshlrev_b64 v[9:10], 2, v[5:6]
	v_add_nc_u32_e32 v5, 0x80, v5
	v_add_co_u32 v9, vcc_lo, s2, v9
	v_add_co_ci_u32_e64 v10, null, s3, v10, vcc_lo
	s_waitcnt vmcnt(0)
	v_subrev_nc_u32_e32 v4, s12, v4
	v_lshlrev_b32_e32 v11, 1, v4
	v_lshlrev_b64 v[11:12], 2, v[11:12]
	v_add_co_u32 v11, vcc_lo, s4, v11
	v_add_co_ci_u32_e64 v12, null, s5, v12, vcc_lo
	v_cmp_ge_i32_e32 vcc_lo, v3, v8
	global_load_dwordx2 v[9:10], v[9:10], off
	global_load_dwordx2 v[11:12], v[11:12], off
	s_or_b32 s11, vcc_lo, s11
	s_waitcnt vmcnt(0)
	v_fmac_f32_e32 v7, v9, v11
	v_fmac_f32_e32 v7, v10, v12
	s_andn2_b32 exec_lo, exec_lo, s11
	s_cbranch_execnz .LBB4_8
; %bb.9:
	s_inst_prefetch 0x2
	s_or_b32 exec_lo, exec_lo, s11
.LBB4_10:
	s_or_b32 exec_lo, exec_lo, s9
	v_mbcnt_lo_u32_b32 v3, -1, 0
	s_mov_b32 s0, -1
	v_or_b32_e32 v4, 32, v3
	v_xor_b32_e32 v5, 16, v3
	v_xor_b32_e32 v6, 8, v3
	v_cmp_gt_i32_e32 vcc_lo, 32, v4
	v_cndmask_b32_e32 v4, v3, v4, vcc_lo
	v_cmp_gt_i32_e32 vcc_lo, 32, v5
	v_lshlrev_b32_e32 v4, 2, v4
	v_cndmask_b32_e32 v5, v3, v5, vcc_lo
	v_cmp_gt_i32_e32 vcc_lo, 32, v6
	ds_bpermute_b32 v4, v4, v7
	v_lshlrev_b32_e32 v5, 2, v5
	v_cndmask_b32_e32 v6, v3, v6, vcc_lo
	v_lshlrev_b32_e32 v6, 2, v6
	s_waitcnt lgkmcnt(0)
	v_add_f32_e32 v4, v7, v4
	ds_bpermute_b32 v5, v5, v4
	s_waitcnt lgkmcnt(0)
	v_add_f32_e32 v4, v4, v5
	ds_bpermute_b32 v5, v6, v4
	v_xor_b32_e32 v6, 4, v3
	v_cmp_gt_i32_e32 vcc_lo, 32, v6
	v_cndmask_b32_e32 v6, v3, v6, vcc_lo
	v_lshlrev_b32_e32 v6, 2, v6
	s_waitcnt lgkmcnt(0)
	v_add_f32_e32 v4, v4, v5
	ds_bpermute_b32 v5, v6, v4
	v_xor_b32_e32 v6, 2, v3
	v_cmp_gt_i32_e32 vcc_lo, 32, v6
	v_cndmask_b32_e32 v6, v3, v6, vcc_lo
	v_lshlrev_b32_e32 v6, 2, v6
	s_waitcnt lgkmcnt(0)
	v_add_f32_e32 v4, v4, v5
	ds_bpermute_b32 v5, v6, v4
	v_xor_b32_e32 v6, 1, v3
	v_cmp_gt_i32_e32 vcc_lo, 32, v6
	v_cndmask_b32_e32 v6, v3, v6, vcc_lo
	v_cmp_eq_u32_e32 vcc_lo, 63, v0
	s_waitcnt lgkmcnt(0)
	v_add_f32_e32 v3, v4, v5
	v_lshlrev_b32_e32 v4, 2, v6
	ds_bpermute_b32 v4, v4, v3
	s_and_b32 exec_lo, exec_lo, vcc_lo
	s_cbranch_execz .LBB4_15
; %bb.11:
	s_waitcnt lgkmcnt(0)
	v_add_f32_e32 v0, v3, v4
	v_cmp_eq_f32_e64 s1, s8, 0
	v_mul_f32_e32 v0, s10, v0
	s_and_b32 vcc_lo, exec_lo, s1
	s_cbranch_vccz .LBB4_13
; %bb.12:
	v_add_co_u32 v3, vcc_lo, s6, v1
	v_add_co_ci_u32_e64 v4, null, s7, v2, vcc_lo
	s_mov_b32 s0, 0
	global_store_dword v[3:4], v0, off
.LBB4_13:
	s_andn2_b32 vcc_lo, exec_lo, s0
	s_cbranch_vccnz .LBB4_15
; %bb.14:
	v_add_co_u32 v1, vcc_lo, s6, v1
	v_add_co_ci_u32_e64 v2, null, s7, v2, vcc_lo
	global_load_dword v3, v[1:2], off
	s_waitcnt vmcnt(0)
	v_fmac_f32_e32 v0, s8, v3
	global_store_dword v[1:2], v0, off
.LBB4_15:
	s_endpgm
	.section	.rodata,"a",@progbits
	.p2align	6, 0x0
	.amdhsa_kernel _ZN9rocsparseL19gebsrmvn_1xn_kernelILj128ELj2ELj64EfEEvi20rocsparse_direction_NS_24const_host_device_scalarIT2_EEPKiS6_PKS3_S8_S4_PS3_21rocsparse_index_base_b
		.amdhsa_group_segment_fixed_size 0
		.amdhsa_private_segment_fixed_size 0
		.amdhsa_kernarg_size 72
		.amdhsa_user_sgpr_count 6
		.amdhsa_user_sgpr_private_segment_buffer 1
		.amdhsa_user_sgpr_dispatch_ptr 0
		.amdhsa_user_sgpr_queue_ptr 0
		.amdhsa_user_sgpr_kernarg_segment_ptr 1
		.amdhsa_user_sgpr_dispatch_id 0
		.amdhsa_user_sgpr_flat_scratch_init 0
		.amdhsa_user_sgpr_private_segment_size 0
		.amdhsa_wavefront_size32 1
		.amdhsa_uses_dynamic_stack 0
		.amdhsa_system_sgpr_private_segment_wavefront_offset 0
		.amdhsa_system_sgpr_workgroup_id_x 1
		.amdhsa_system_sgpr_workgroup_id_y 0
		.amdhsa_system_sgpr_workgroup_id_z 0
		.amdhsa_system_sgpr_workgroup_info 0
		.amdhsa_system_vgpr_workitem_id 0
		.amdhsa_next_free_vgpr 13
		.amdhsa_next_free_sgpr 14
		.amdhsa_reserve_vcc 1
		.amdhsa_reserve_flat_scratch 0
		.amdhsa_float_round_mode_32 0
		.amdhsa_float_round_mode_16_64 0
		.amdhsa_float_denorm_mode_32 3
		.amdhsa_float_denorm_mode_16_64 3
		.amdhsa_dx10_clamp 1
		.amdhsa_ieee_mode 1
		.amdhsa_fp16_overflow 0
		.amdhsa_workgroup_processor_mode 1
		.amdhsa_memory_ordered 1
		.amdhsa_forward_progress 1
		.amdhsa_shared_vgpr_count 0
		.amdhsa_exception_fp_ieee_invalid_op 0
		.amdhsa_exception_fp_denorm_src 0
		.amdhsa_exception_fp_ieee_div_zero 0
		.amdhsa_exception_fp_ieee_overflow 0
		.amdhsa_exception_fp_ieee_underflow 0
		.amdhsa_exception_fp_ieee_inexact 0
		.amdhsa_exception_int_div_zero 0
	.end_amdhsa_kernel
	.section	.text._ZN9rocsparseL19gebsrmvn_1xn_kernelILj128ELj2ELj64EfEEvi20rocsparse_direction_NS_24const_host_device_scalarIT2_EEPKiS6_PKS3_S8_S4_PS3_21rocsparse_index_base_b,"axG",@progbits,_ZN9rocsparseL19gebsrmvn_1xn_kernelILj128ELj2ELj64EfEEvi20rocsparse_direction_NS_24const_host_device_scalarIT2_EEPKiS6_PKS3_S8_S4_PS3_21rocsparse_index_base_b,comdat
.Lfunc_end4:
	.size	_ZN9rocsparseL19gebsrmvn_1xn_kernelILj128ELj2ELj64EfEEvi20rocsparse_direction_NS_24const_host_device_scalarIT2_EEPKiS6_PKS3_S8_S4_PS3_21rocsparse_index_base_b, .Lfunc_end4-_ZN9rocsparseL19gebsrmvn_1xn_kernelILj128ELj2ELj64EfEEvi20rocsparse_direction_NS_24const_host_device_scalarIT2_EEPKiS6_PKS3_S8_S4_PS3_21rocsparse_index_base_b
                                        ; -- End function
	.set _ZN9rocsparseL19gebsrmvn_1xn_kernelILj128ELj2ELj64EfEEvi20rocsparse_direction_NS_24const_host_device_scalarIT2_EEPKiS6_PKS3_S8_S4_PS3_21rocsparse_index_base_b.num_vgpr, 13
	.set _ZN9rocsparseL19gebsrmvn_1xn_kernelILj128ELj2ELj64EfEEvi20rocsparse_direction_NS_24const_host_device_scalarIT2_EEPKiS6_PKS3_S8_S4_PS3_21rocsparse_index_base_b.num_agpr, 0
	.set _ZN9rocsparseL19gebsrmvn_1xn_kernelILj128ELj2ELj64EfEEvi20rocsparse_direction_NS_24const_host_device_scalarIT2_EEPKiS6_PKS3_S8_S4_PS3_21rocsparse_index_base_b.numbered_sgpr, 14
	.set _ZN9rocsparseL19gebsrmvn_1xn_kernelILj128ELj2ELj64EfEEvi20rocsparse_direction_NS_24const_host_device_scalarIT2_EEPKiS6_PKS3_S8_S4_PS3_21rocsparse_index_base_b.num_named_barrier, 0
	.set _ZN9rocsparseL19gebsrmvn_1xn_kernelILj128ELj2ELj64EfEEvi20rocsparse_direction_NS_24const_host_device_scalarIT2_EEPKiS6_PKS3_S8_S4_PS3_21rocsparse_index_base_b.private_seg_size, 0
	.set _ZN9rocsparseL19gebsrmvn_1xn_kernelILj128ELj2ELj64EfEEvi20rocsparse_direction_NS_24const_host_device_scalarIT2_EEPKiS6_PKS3_S8_S4_PS3_21rocsparse_index_base_b.uses_vcc, 1
	.set _ZN9rocsparseL19gebsrmvn_1xn_kernelILj128ELj2ELj64EfEEvi20rocsparse_direction_NS_24const_host_device_scalarIT2_EEPKiS6_PKS3_S8_S4_PS3_21rocsparse_index_base_b.uses_flat_scratch, 0
	.set _ZN9rocsparseL19gebsrmvn_1xn_kernelILj128ELj2ELj64EfEEvi20rocsparse_direction_NS_24const_host_device_scalarIT2_EEPKiS6_PKS3_S8_S4_PS3_21rocsparse_index_base_b.has_dyn_sized_stack, 0
	.set _ZN9rocsparseL19gebsrmvn_1xn_kernelILj128ELj2ELj64EfEEvi20rocsparse_direction_NS_24const_host_device_scalarIT2_EEPKiS6_PKS3_S8_S4_PS3_21rocsparse_index_base_b.has_recursion, 0
	.set _ZN9rocsparseL19gebsrmvn_1xn_kernelILj128ELj2ELj64EfEEvi20rocsparse_direction_NS_24const_host_device_scalarIT2_EEPKiS6_PKS3_S8_S4_PS3_21rocsparse_index_base_b.has_indirect_call, 0
	.section	.AMDGPU.csdata,"",@progbits
; Kernel info:
; codeLenInByte = 808
; TotalNumSgprs: 16
; NumVgprs: 13
; ScratchSize: 0
; MemoryBound: 0
; FloatMode: 240
; IeeeMode: 1
; LDSByteSize: 0 bytes/workgroup (compile time only)
; SGPRBlocks: 0
; VGPRBlocks: 1
; NumSGPRsForWavesPerEU: 16
; NumVGPRsForWavesPerEU: 13
; Occupancy: 16
; WaveLimiterHint : 1
; COMPUTE_PGM_RSRC2:SCRATCH_EN: 0
; COMPUTE_PGM_RSRC2:USER_SGPR: 6
; COMPUTE_PGM_RSRC2:TRAP_HANDLER: 0
; COMPUTE_PGM_RSRC2:TGID_X_EN: 1
; COMPUTE_PGM_RSRC2:TGID_Y_EN: 0
; COMPUTE_PGM_RSRC2:TGID_Z_EN: 0
; COMPUTE_PGM_RSRC2:TIDIG_COMP_CNT: 0
	.section	.text._ZN9rocsparseL19gebsrmvn_1xn_kernelILj128ELj3ELj4EfEEvi20rocsparse_direction_NS_24const_host_device_scalarIT2_EEPKiS6_PKS3_S8_S4_PS3_21rocsparse_index_base_b,"axG",@progbits,_ZN9rocsparseL19gebsrmvn_1xn_kernelILj128ELj3ELj4EfEEvi20rocsparse_direction_NS_24const_host_device_scalarIT2_EEPKiS6_PKS3_S8_S4_PS3_21rocsparse_index_base_b,comdat
	.globl	_ZN9rocsparseL19gebsrmvn_1xn_kernelILj128ELj3ELj4EfEEvi20rocsparse_direction_NS_24const_host_device_scalarIT2_EEPKiS6_PKS3_S8_S4_PS3_21rocsparse_index_base_b ; -- Begin function _ZN9rocsparseL19gebsrmvn_1xn_kernelILj128ELj3ELj4EfEEvi20rocsparse_direction_NS_24const_host_device_scalarIT2_EEPKiS6_PKS3_S8_S4_PS3_21rocsparse_index_base_b
	.p2align	8
	.type	_ZN9rocsparseL19gebsrmvn_1xn_kernelILj128ELj3ELj4EfEEvi20rocsparse_direction_NS_24const_host_device_scalarIT2_EEPKiS6_PKS3_S8_S4_PS3_21rocsparse_index_base_b,@function
_ZN9rocsparseL19gebsrmvn_1xn_kernelILj128ELj3ELj4EfEEvi20rocsparse_direction_NS_24const_host_device_scalarIT2_EEPKiS6_PKS3_S8_S4_PS3_21rocsparse_index_base_b: ; @_ZN9rocsparseL19gebsrmvn_1xn_kernelILj128ELj3ELj4EfEEvi20rocsparse_direction_NS_24const_host_device_scalarIT2_EEPKiS6_PKS3_S8_S4_PS3_21rocsparse_index_base_b
; %bb.0:
	s_clause 0x2
	s_load_dwordx2 s[12:13], s[4:5], 0x40
	s_load_dwordx2 s[10:11], s[4:5], 0x8
	;; [unrolled: 1-line block ×3, first 2 shown]
	s_waitcnt lgkmcnt(0)
	s_bitcmp1_b32 s13, 0
	s_cselect_b32 s0, -1, 0
	s_and_b32 vcc_lo, exec_lo, s0
	s_xor_b32 s0, s0, -1
	s_cbranch_vccnz .LBB5_2
; %bb.1:
	s_load_dword s10, s[10:11], 0x0
.LBB5_2:
	s_andn2_b32 vcc_lo, exec_lo, s0
	s_cbranch_vccnz .LBB5_4
; %bb.3:
	s_load_dword s8, s[8:9], 0x0
.LBB5_4:
	s_waitcnt lgkmcnt(0)
	v_cmp_eq_f32_e64 s0, s10, 0
	v_cmp_eq_f32_e64 s1, s8, 1.0
	s_and_b32 s0, s0, s1
	s_and_b32 vcc_lo, exec_lo, s0
	s_cbranch_vccnz .LBB5_15
; %bb.5:
	s_load_dword s0, s[4:5], 0x0
	v_lshrrev_b32_e32 v1, 2, v0
	v_lshl_or_b32 v1, s6, 5, v1
	s_waitcnt lgkmcnt(0)
	v_cmp_gt_i32_e32 vcc_lo, s0, v1
	s_and_saveexec_b32 s0, vcc_lo
	s_cbranch_execz .LBB5_15
; %bb.6:
	s_clause 0x1
	s_load_dwordx2 s[0:1], s[4:5], 0x10
	s_load_dwordx2 s[6:7], s[4:5], 0x38
	v_ashrrev_i32_e32 v2, 31, v1
	v_and_b32_e32 v0, 3, v0
	v_mov_b32_e32 v7, 0
	s_mov_b32 s9, exec_lo
	v_lshlrev_b64 v[1:2], 2, v[1:2]
	v_subrev_nc_u32_e32 v5, s12, v0
	s_waitcnt lgkmcnt(0)
	v_add_co_u32 v3, vcc_lo, s0, v1
	v_add_co_ci_u32_e64 v4, null, s1, v2, vcc_lo
	global_load_dwordx2 v[3:4], v[3:4], off
	s_waitcnt vmcnt(0)
	v_subrev_nc_u32_e32 v8, s12, v4
	v_add_nc_u32_e32 v3, v3, v5
	v_cmpx_lt_i32_e64 v3, v8
	s_cbranch_execz .LBB5_10
; %bb.7:
	s_clause 0x1
	s_load_dwordx4 s[0:3], s[4:5], 0x18
	s_load_dwordx2 s[4:5], s[4:5], 0x28
	v_mov_b32_e32 v6, 0
	v_lshl_add_u32 v5, v3, 1, v3
	s_mov_b32 s11, 0
	v_mov_b32_e32 v7, v6
.LBB5_8:                                ; =>This Inner Loop Header: Depth=1
	v_ashrrev_i32_e32 v4, 31, v3
	v_add_nc_u32_e32 v11, 1, v5
	v_mov_b32_e32 v12, v6
	v_add_nc_u32_e32 v13, 2, v5
	v_mov_b32_e32 v14, v6
	v_lshlrev_b64 v[9:10], 2, v[3:4]
	v_mov_b32_e32 v15, v6
	v_lshlrev_b64 v[11:12], 2, v[11:12]
	;; [unrolled: 2-line block ×3, first 2 shown]
	v_mov_b32_e32 v19, v6
	s_waitcnt lgkmcnt(0)
	v_add_co_u32 v9, vcc_lo, s0, v9
	v_add_co_ci_u32_e64 v10, null, s1, v10, vcc_lo
	v_add_nc_u32_e32 v3, 4, v3
	global_load_dword v4, v[9:10], off
	v_lshlrev_b64 v[9:10], 2, v[5:6]
	v_add_nc_u32_e32 v5, 12, v5
	v_add_co_u32 v9, vcc_lo, s2, v9
	v_add_co_ci_u32_e64 v10, null, s3, v10, vcc_lo
	global_load_dword v20, v[9:10], off
	v_add_co_u32 v9, vcc_lo, s2, v11
	v_add_co_ci_u32_e64 v10, null, s3, v12, vcc_lo
	v_add_co_u32 v11, vcc_lo, s2, v13
	v_add_co_ci_u32_e64 v12, null, s3, v14, vcc_lo
	global_load_dword v21, v[9:10], off
	s_waitcnt vmcnt(2)
	v_subrev_nc_u32_e32 v4, s12, v4
	v_lshl_add_u32 v14, v4, 1, v4
	v_lshlrev_b64 v[9:10], 2, v[14:15]
	v_add_nc_u32_e32 v16, 1, v14
	v_add_nc_u32_e32 v18, 2, v14
	v_lshlrev_b64 v[13:14], 2, v[16:17]
	v_add_co_u32 v9, vcc_lo, s4, v9
	v_add_co_ci_u32_e64 v10, null, s5, v10, vcc_lo
	v_lshlrev_b64 v[15:16], 2, v[18:19]
	global_load_dword v4, v[9:10], off
	v_add_co_u32 v9, vcc_lo, s4, v13
	v_add_co_ci_u32_e64 v10, null, s5, v14, vcc_lo
	v_add_co_u32 v13, vcc_lo, s4, v15
	v_add_co_ci_u32_e64 v14, null, s5, v16, vcc_lo
	global_load_dword v9, v[9:10], off
	global_load_dword v10, v[11:12], off
	;; [unrolled: 1-line block ×3, first 2 shown]
	v_cmp_ge_i32_e32 vcc_lo, v3, v8
	s_or_b32 s11, vcc_lo, s11
	s_waitcnt vmcnt(3)
	v_fmac_f32_e32 v7, v20, v4
	s_waitcnt vmcnt(2)
	v_fmac_f32_e32 v7, v21, v9
	;; [unrolled: 2-line block ×3, first 2 shown]
	s_andn2_b32 exec_lo, exec_lo, s11
	s_cbranch_execnz .LBB5_8
; %bb.9:
	s_or_b32 exec_lo, exec_lo, s11
.LBB5_10:
	s_or_b32 exec_lo, exec_lo, s9
	v_mbcnt_lo_u32_b32 v3, -1, 0
	s_mov_b32 s0, -1
	v_xor_b32_e32 v4, 2, v3
	v_xor_b32_e32 v5, 1, v3
	v_cmp_gt_i32_e32 vcc_lo, 32, v4
	v_cndmask_b32_e32 v4, v3, v4, vcc_lo
	v_cmp_gt_i32_e32 vcc_lo, 32, v5
	v_lshlrev_b32_e32 v4, 2, v4
	v_cndmask_b32_e32 v5, v3, v5, vcc_lo
	v_cmp_eq_u32_e32 vcc_lo, 3, v0
	ds_bpermute_b32 v4, v4, v7
	s_waitcnt lgkmcnt(0)
	v_add_f32_e32 v3, v7, v4
	v_lshlrev_b32_e32 v4, 2, v5
	ds_bpermute_b32 v4, v4, v3
	s_and_b32 exec_lo, exec_lo, vcc_lo
	s_cbranch_execz .LBB5_15
; %bb.11:
	s_waitcnt lgkmcnt(0)
	v_add_f32_e32 v0, v3, v4
	v_cmp_eq_f32_e64 s1, s8, 0
	v_mul_f32_e32 v0, s10, v0
	s_and_b32 vcc_lo, exec_lo, s1
	s_cbranch_vccz .LBB5_13
; %bb.12:
	v_add_co_u32 v3, vcc_lo, s6, v1
	v_add_co_ci_u32_e64 v4, null, s7, v2, vcc_lo
	s_mov_b32 s0, 0
	global_store_dword v[3:4], v0, off
.LBB5_13:
	s_andn2_b32 vcc_lo, exec_lo, s0
	s_cbranch_vccnz .LBB5_15
; %bb.14:
	v_add_co_u32 v1, vcc_lo, s6, v1
	v_add_co_ci_u32_e64 v2, null, s7, v2, vcc_lo
	global_load_dword v3, v[1:2], off
	s_waitcnt vmcnt(0)
	v_fmac_f32_e32 v0, s8, v3
	global_store_dword v[1:2], v0, off
.LBB5_15:
	s_endpgm
	.section	.rodata,"a",@progbits
	.p2align	6, 0x0
	.amdhsa_kernel _ZN9rocsparseL19gebsrmvn_1xn_kernelILj128ELj3ELj4EfEEvi20rocsparse_direction_NS_24const_host_device_scalarIT2_EEPKiS6_PKS3_S8_S4_PS3_21rocsparse_index_base_b
		.amdhsa_group_segment_fixed_size 0
		.amdhsa_private_segment_fixed_size 0
		.amdhsa_kernarg_size 72
		.amdhsa_user_sgpr_count 6
		.amdhsa_user_sgpr_private_segment_buffer 1
		.amdhsa_user_sgpr_dispatch_ptr 0
		.amdhsa_user_sgpr_queue_ptr 0
		.amdhsa_user_sgpr_kernarg_segment_ptr 1
		.amdhsa_user_sgpr_dispatch_id 0
		.amdhsa_user_sgpr_flat_scratch_init 0
		.amdhsa_user_sgpr_private_segment_size 0
		.amdhsa_wavefront_size32 1
		.amdhsa_uses_dynamic_stack 0
		.amdhsa_system_sgpr_private_segment_wavefront_offset 0
		.amdhsa_system_sgpr_workgroup_id_x 1
		.amdhsa_system_sgpr_workgroup_id_y 0
		.amdhsa_system_sgpr_workgroup_id_z 0
		.amdhsa_system_sgpr_workgroup_info 0
		.amdhsa_system_vgpr_workitem_id 0
		.amdhsa_next_free_vgpr 22
		.amdhsa_next_free_sgpr 14
		.amdhsa_reserve_vcc 1
		.amdhsa_reserve_flat_scratch 0
		.amdhsa_float_round_mode_32 0
		.amdhsa_float_round_mode_16_64 0
		.amdhsa_float_denorm_mode_32 3
		.amdhsa_float_denorm_mode_16_64 3
		.amdhsa_dx10_clamp 1
		.amdhsa_ieee_mode 1
		.amdhsa_fp16_overflow 0
		.amdhsa_workgroup_processor_mode 1
		.amdhsa_memory_ordered 1
		.amdhsa_forward_progress 1
		.amdhsa_shared_vgpr_count 0
		.amdhsa_exception_fp_ieee_invalid_op 0
		.amdhsa_exception_fp_denorm_src 0
		.amdhsa_exception_fp_ieee_div_zero 0
		.amdhsa_exception_fp_ieee_overflow 0
		.amdhsa_exception_fp_ieee_underflow 0
		.amdhsa_exception_fp_ieee_inexact 0
		.amdhsa_exception_int_div_zero 0
	.end_amdhsa_kernel
	.section	.text._ZN9rocsparseL19gebsrmvn_1xn_kernelILj128ELj3ELj4EfEEvi20rocsparse_direction_NS_24const_host_device_scalarIT2_EEPKiS6_PKS3_S8_S4_PS3_21rocsparse_index_base_b,"axG",@progbits,_ZN9rocsparseL19gebsrmvn_1xn_kernelILj128ELj3ELj4EfEEvi20rocsparse_direction_NS_24const_host_device_scalarIT2_EEPKiS6_PKS3_S8_S4_PS3_21rocsparse_index_base_b,comdat
.Lfunc_end5:
	.size	_ZN9rocsparseL19gebsrmvn_1xn_kernelILj128ELj3ELj4EfEEvi20rocsparse_direction_NS_24const_host_device_scalarIT2_EEPKiS6_PKS3_S8_S4_PS3_21rocsparse_index_base_b, .Lfunc_end5-_ZN9rocsparseL19gebsrmvn_1xn_kernelILj128ELj3ELj4EfEEvi20rocsparse_direction_NS_24const_host_device_scalarIT2_EEPKiS6_PKS3_S8_S4_PS3_21rocsparse_index_base_b
                                        ; -- End function
	.set _ZN9rocsparseL19gebsrmvn_1xn_kernelILj128ELj3ELj4EfEEvi20rocsparse_direction_NS_24const_host_device_scalarIT2_EEPKiS6_PKS3_S8_S4_PS3_21rocsparse_index_base_b.num_vgpr, 22
	.set _ZN9rocsparseL19gebsrmvn_1xn_kernelILj128ELj3ELj4EfEEvi20rocsparse_direction_NS_24const_host_device_scalarIT2_EEPKiS6_PKS3_S8_S4_PS3_21rocsparse_index_base_b.num_agpr, 0
	.set _ZN9rocsparseL19gebsrmvn_1xn_kernelILj128ELj3ELj4EfEEvi20rocsparse_direction_NS_24const_host_device_scalarIT2_EEPKiS6_PKS3_S8_S4_PS3_21rocsparse_index_base_b.numbered_sgpr, 14
	.set _ZN9rocsparseL19gebsrmvn_1xn_kernelILj128ELj3ELj4EfEEvi20rocsparse_direction_NS_24const_host_device_scalarIT2_EEPKiS6_PKS3_S8_S4_PS3_21rocsparse_index_base_b.num_named_barrier, 0
	.set _ZN9rocsparseL19gebsrmvn_1xn_kernelILj128ELj3ELj4EfEEvi20rocsparse_direction_NS_24const_host_device_scalarIT2_EEPKiS6_PKS3_S8_S4_PS3_21rocsparse_index_base_b.private_seg_size, 0
	.set _ZN9rocsparseL19gebsrmvn_1xn_kernelILj128ELj3ELj4EfEEvi20rocsparse_direction_NS_24const_host_device_scalarIT2_EEPKiS6_PKS3_S8_S4_PS3_21rocsparse_index_base_b.uses_vcc, 1
	.set _ZN9rocsparseL19gebsrmvn_1xn_kernelILj128ELj3ELj4EfEEvi20rocsparse_direction_NS_24const_host_device_scalarIT2_EEPKiS6_PKS3_S8_S4_PS3_21rocsparse_index_base_b.uses_flat_scratch, 0
	.set _ZN9rocsparseL19gebsrmvn_1xn_kernelILj128ELj3ELj4EfEEvi20rocsparse_direction_NS_24const_host_device_scalarIT2_EEPKiS6_PKS3_S8_S4_PS3_21rocsparse_index_base_b.has_dyn_sized_stack, 0
	.set _ZN9rocsparseL19gebsrmvn_1xn_kernelILj128ELj3ELj4EfEEvi20rocsparse_direction_NS_24const_host_device_scalarIT2_EEPKiS6_PKS3_S8_S4_PS3_21rocsparse_index_base_b.has_recursion, 0
	.set _ZN9rocsparseL19gebsrmvn_1xn_kernelILj128ELj3ELj4EfEEvi20rocsparse_direction_NS_24const_host_device_scalarIT2_EEPKiS6_PKS3_S8_S4_PS3_21rocsparse_index_base_b.has_indirect_call, 0
	.section	.AMDGPU.csdata,"",@progbits
; Kernel info:
; codeLenInByte = 812
; TotalNumSgprs: 16
; NumVgprs: 22
; ScratchSize: 0
; MemoryBound: 0
; FloatMode: 240
; IeeeMode: 1
; LDSByteSize: 0 bytes/workgroup (compile time only)
; SGPRBlocks: 0
; VGPRBlocks: 2
; NumSGPRsForWavesPerEU: 16
; NumVGPRsForWavesPerEU: 22
; Occupancy: 16
; WaveLimiterHint : 1
; COMPUTE_PGM_RSRC2:SCRATCH_EN: 0
; COMPUTE_PGM_RSRC2:USER_SGPR: 6
; COMPUTE_PGM_RSRC2:TRAP_HANDLER: 0
; COMPUTE_PGM_RSRC2:TGID_X_EN: 1
; COMPUTE_PGM_RSRC2:TGID_Y_EN: 0
; COMPUTE_PGM_RSRC2:TGID_Z_EN: 0
; COMPUTE_PGM_RSRC2:TIDIG_COMP_CNT: 0
	.section	.text._ZN9rocsparseL19gebsrmvn_1xn_kernelILj128ELj3ELj8EfEEvi20rocsparse_direction_NS_24const_host_device_scalarIT2_EEPKiS6_PKS3_S8_S4_PS3_21rocsparse_index_base_b,"axG",@progbits,_ZN9rocsparseL19gebsrmvn_1xn_kernelILj128ELj3ELj8EfEEvi20rocsparse_direction_NS_24const_host_device_scalarIT2_EEPKiS6_PKS3_S8_S4_PS3_21rocsparse_index_base_b,comdat
	.globl	_ZN9rocsparseL19gebsrmvn_1xn_kernelILj128ELj3ELj8EfEEvi20rocsparse_direction_NS_24const_host_device_scalarIT2_EEPKiS6_PKS3_S8_S4_PS3_21rocsparse_index_base_b ; -- Begin function _ZN9rocsparseL19gebsrmvn_1xn_kernelILj128ELj3ELj8EfEEvi20rocsparse_direction_NS_24const_host_device_scalarIT2_EEPKiS6_PKS3_S8_S4_PS3_21rocsparse_index_base_b
	.p2align	8
	.type	_ZN9rocsparseL19gebsrmvn_1xn_kernelILj128ELj3ELj8EfEEvi20rocsparse_direction_NS_24const_host_device_scalarIT2_EEPKiS6_PKS3_S8_S4_PS3_21rocsparse_index_base_b,@function
_ZN9rocsparseL19gebsrmvn_1xn_kernelILj128ELj3ELj8EfEEvi20rocsparse_direction_NS_24const_host_device_scalarIT2_EEPKiS6_PKS3_S8_S4_PS3_21rocsparse_index_base_b: ; @_ZN9rocsparseL19gebsrmvn_1xn_kernelILj128ELj3ELj8EfEEvi20rocsparse_direction_NS_24const_host_device_scalarIT2_EEPKiS6_PKS3_S8_S4_PS3_21rocsparse_index_base_b
; %bb.0:
	s_clause 0x2
	s_load_dwordx2 s[12:13], s[4:5], 0x40
	s_load_dwordx2 s[10:11], s[4:5], 0x8
	;; [unrolled: 1-line block ×3, first 2 shown]
	s_waitcnt lgkmcnt(0)
	s_bitcmp1_b32 s13, 0
	s_cselect_b32 s0, -1, 0
	s_and_b32 vcc_lo, exec_lo, s0
	s_xor_b32 s0, s0, -1
	s_cbranch_vccnz .LBB6_2
; %bb.1:
	s_load_dword s10, s[10:11], 0x0
.LBB6_2:
	s_andn2_b32 vcc_lo, exec_lo, s0
	s_cbranch_vccnz .LBB6_4
; %bb.3:
	s_load_dword s8, s[8:9], 0x0
.LBB6_4:
	s_waitcnt lgkmcnt(0)
	v_cmp_eq_f32_e64 s0, s10, 0
	v_cmp_eq_f32_e64 s1, s8, 1.0
	s_and_b32 s0, s0, s1
	s_and_b32 vcc_lo, exec_lo, s0
	s_cbranch_vccnz .LBB6_15
; %bb.5:
	s_load_dword s0, s[4:5], 0x0
	v_lshrrev_b32_e32 v1, 3, v0
	v_lshl_or_b32 v1, s6, 4, v1
	s_waitcnt lgkmcnt(0)
	v_cmp_gt_i32_e32 vcc_lo, s0, v1
	s_and_saveexec_b32 s0, vcc_lo
	s_cbranch_execz .LBB6_15
; %bb.6:
	s_clause 0x1
	s_load_dwordx2 s[0:1], s[4:5], 0x10
	s_load_dwordx2 s[6:7], s[4:5], 0x38
	v_ashrrev_i32_e32 v2, 31, v1
	v_and_b32_e32 v0, 7, v0
	v_mov_b32_e32 v7, 0
	s_mov_b32 s9, exec_lo
	v_lshlrev_b64 v[1:2], 2, v[1:2]
	v_subrev_nc_u32_e32 v5, s12, v0
	s_waitcnt lgkmcnt(0)
	v_add_co_u32 v3, vcc_lo, s0, v1
	v_add_co_ci_u32_e64 v4, null, s1, v2, vcc_lo
	global_load_dwordx2 v[3:4], v[3:4], off
	s_waitcnt vmcnt(0)
	v_subrev_nc_u32_e32 v8, s12, v4
	v_add_nc_u32_e32 v3, v3, v5
	v_cmpx_lt_i32_e64 v3, v8
	s_cbranch_execz .LBB6_10
; %bb.7:
	s_clause 0x1
	s_load_dwordx4 s[0:3], s[4:5], 0x18
	s_load_dwordx2 s[4:5], s[4:5], 0x28
	v_mov_b32_e32 v6, 0
	v_lshl_add_u32 v5, v3, 1, v3
	s_mov_b32 s11, 0
	v_mov_b32_e32 v7, v6
.LBB6_8:                                ; =>This Inner Loop Header: Depth=1
	v_ashrrev_i32_e32 v4, 31, v3
	v_add_nc_u32_e32 v11, 1, v5
	v_mov_b32_e32 v12, v6
	v_add_nc_u32_e32 v13, 2, v5
	v_mov_b32_e32 v14, v6
	v_lshlrev_b64 v[9:10], 2, v[3:4]
	v_mov_b32_e32 v15, v6
	v_lshlrev_b64 v[11:12], 2, v[11:12]
	;; [unrolled: 2-line block ×3, first 2 shown]
	v_mov_b32_e32 v19, v6
	s_waitcnt lgkmcnt(0)
	v_add_co_u32 v9, vcc_lo, s0, v9
	v_add_co_ci_u32_e64 v10, null, s1, v10, vcc_lo
	v_add_nc_u32_e32 v3, 8, v3
	global_load_dword v4, v[9:10], off
	v_lshlrev_b64 v[9:10], 2, v[5:6]
	v_add_nc_u32_e32 v5, 24, v5
	v_add_co_u32 v9, vcc_lo, s2, v9
	v_add_co_ci_u32_e64 v10, null, s3, v10, vcc_lo
	global_load_dword v20, v[9:10], off
	v_add_co_u32 v9, vcc_lo, s2, v11
	v_add_co_ci_u32_e64 v10, null, s3, v12, vcc_lo
	v_add_co_u32 v11, vcc_lo, s2, v13
	v_add_co_ci_u32_e64 v12, null, s3, v14, vcc_lo
	global_load_dword v21, v[9:10], off
	s_waitcnt vmcnt(2)
	v_subrev_nc_u32_e32 v4, s12, v4
	v_lshl_add_u32 v14, v4, 1, v4
	v_lshlrev_b64 v[9:10], 2, v[14:15]
	v_add_nc_u32_e32 v16, 1, v14
	v_add_nc_u32_e32 v18, 2, v14
	v_lshlrev_b64 v[13:14], 2, v[16:17]
	v_add_co_u32 v9, vcc_lo, s4, v9
	v_add_co_ci_u32_e64 v10, null, s5, v10, vcc_lo
	v_lshlrev_b64 v[15:16], 2, v[18:19]
	global_load_dword v4, v[9:10], off
	v_add_co_u32 v9, vcc_lo, s4, v13
	v_add_co_ci_u32_e64 v10, null, s5, v14, vcc_lo
	v_add_co_u32 v13, vcc_lo, s4, v15
	v_add_co_ci_u32_e64 v14, null, s5, v16, vcc_lo
	global_load_dword v9, v[9:10], off
	global_load_dword v10, v[11:12], off
	;; [unrolled: 1-line block ×3, first 2 shown]
	v_cmp_ge_i32_e32 vcc_lo, v3, v8
	s_or_b32 s11, vcc_lo, s11
	s_waitcnt vmcnt(3)
	v_fmac_f32_e32 v7, v20, v4
	s_waitcnt vmcnt(2)
	v_fmac_f32_e32 v7, v21, v9
	s_waitcnt vmcnt(0)
	v_fmac_f32_e32 v7, v10, v11
	s_andn2_b32 exec_lo, exec_lo, s11
	s_cbranch_execnz .LBB6_8
; %bb.9:
	s_or_b32 exec_lo, exec_lo, s11
.LBB6_10:
	s_or_b32 exec_lo, exec_lo, s9
	v_mbcnt_lo_u32_b32 v3, -1, 0
	s_mov_b32 s0, -1
	v_xor_b32_e32 v4, 4, v3
	v_xor_b32_e32 v5, 2, v3
	;; [unrolled: 1-line block ×3, first 2 shown]
	v_cmp_gt_i32_e32 vcc_lo, 32, v4
	v_cndmask_b32_e32 v4, v3, v4, vcc_lo
	v_cmp_gt_i32_e32 vcc_lo, 32, v5
	v_lshlrev_b32_e32 v4, 2, v4
	v_cndmask_b32_e32 v5, v3, v5, vcc_lo
	v_cmp_gt_i32_e32 vcc_lo, 32, v6
	ds_bpermute_b32 v4, v4, v7
	v_lshlrev_b32_e32 v5, 2, v5
	v_cndmask_b32_e32 v6, v3, v6, vcc_lo
	v_cmp_eq_u32_e32 vcc_lo, 7, v0
	s_waitcnt lgkmcnt(0)
	v_add_f32_e32 v4, v7, v4
	ds_bpermute_b32 v5, v5, v4
	s_waitcnt lgkmcnt(0)
	v_add_f32_e32 v3, v4, v5
	v_lshlrev_b32_e32 v4, 2, v6
	ds_bpermute_b32 v4, v4, v3
	s_and_b32 exec_lo, exec_lo, vcc_lo
	s_cbranch_execz .LBB6_15
; %bb.11:
	s_waitcnt lgkmcnt(0)
	v_add_f32_e32 v0, v3, v4
	v_cmp_eq_f32_e64 s1, s8, 0
	v_mul_f32_e32 v0, s10, v0
	s_and_b32 vcc_lo, exec_lo, s1
	s_cbranch_vccz .LBB6_13
; %bb.12:
	v_add_co_u32 v3, vcc_lo, s6, v1
	v_add_co_ci_u32_e64 v4, null, s7, v2, vcc_lo
	s_mov_b32 s0, 0
	global_store_dword v[3:4], v0, off
.LBB6_13:
	s_andn2_b32 vcc_lo, exec_lo, s0
	s_cbranch_vccnz .LBB6_15
; %bb.14:
	v_add_co_u32 v1, vcc_lo, s6, v1
	v_add_co_ci_u32_e64 v2, null, s7, v2, vcc_lo
	global_load_dword v3, v[1:2], off
	s_waitcnt vmcnt(0)
	v_fmac_f32_e32 v0, s8, v3
	global_store_dword v[1:2], v0, off
.LBB6_15:
	s_endpgm
	.section	.rodata,"a",@progbits
	.p2align	6, 0x0
	.amdhsa_kernel _ZN9rocsparseL19gebsrmvn_1xn_kernelILj128ELj3ELj8EfEEvi20rocsparse_direction_NS_24const_host_device_scalarIT2_EEPKiS6_PKS3_S8_S4_PS3_21rocsparse_index_base_b
		.amdhsa_group_segment_fixed_size 0
		.amdhsa_private_segment_fixed_size 0
		.amdhsa_kernarg_size 72
		.amdhsa_user_sgpr_count 6
		.amdhsa_user_sgpr_private_segment_buffer 1
		.amdhsa_user_sgpr_dispatch_ptr 0
		.amdhsa_user_sgpr_queue_ptr 0
		.amdhsa_user_sgpr_kernarg_segment_ptr 1
		.amdhsa_user_sgpr_dispatch_id 0
		.amdhsa_user_sgpr_flat_scratch_init 0
		.amdhsa_user_sgpr_private_segment_size 0
		.amdhsa_wavefront_size32 1
		.amdhsa_uses_dynamic_stack 0
		.amdhsa_system_sgpr_private_segment_wavefront_offset 0
		.amdhsa_system_sgpr_workgroup_id_x 1
		.amdhsa_system_sgpr_workgroup_id_y 0
		.amdhsa_system_sgpr_workgroup_id_z 0
		.amdhsa_system_sgpr_workgroup_info 0
		.amdhsa_system_vgpr_workitem_id 0
		.amdhsa_next_free_vgpr 22
		.amdhsa_next_free_sgpr 14
		.amdhsa_reserve_vcc 1
		.amdhsa_reserve_flat_scratch 0
		.amdhsa_float_round_mode_32 0
		.amdhsa_float_round_mode_16_64 0
		.amdhsa_float_denorm_mode_32 3
		.amdhsa_float_denorm_mode_16_64 3
		.amdhsa_dx10_clamp 1
		.amdhsa_ieee_mode 1
		.amdhsa_fp16_overflow 0
		.amdhsa_workgroup_processor_mode 1
		.amdhsa_memory_ordered 1
		.amdhsa_forward_progress 1
		.amdhsa_shared_vgpr_count 0
		.amdhsa_exception_fp_ieee_invalid_op 0
		.amdhsa_exception_fp_denorm_src 0
		.amdhsa_exception_fp_ieee_div_zero 0
		.amdhsa_exception_fp_ieee_overflow 0
		.amdhsa_exception_fp_ieee_underflow 0
		.amdhsa_exception_fp_ieee_inexact 0
		.amdhsa_exception_int_div_zero 0
	.end_amdhsa_kernel
	.section	.text._ZN9rocsparseL19gebsrmvn_1xn_kernelILj128ELj3ELj8EfEEvi20rocsparse_direction_NS_24const_host_device_scalarIT2_EEPKiS6_PKS3_S8_S4_PS3_21rocsparse_index_base_b,"axG",@progbits,_ZN9rocsparseL19gebsrmvn_1xn_kernelILj128ELj3ELj8EfEEvi20rocsparse_direction_NS_24const_host_device_scalarIT2_EEPKiS6_PKS3_S8_S4_PS3_21rocsparse_index_base_b,comdat
.Lfunc_end6:
	.size	_ZN9rocsparseL19gebsrmvn_1xn_kernelILj128ELj3ELj8EfEEvi20rocsparse_direction_NS_24const_host_device_scalarIT2_EEPKiS6_PKS3_S8_S4_PS3_21rocsparse_index_base_b, .Lfunc_end6-_ZN9rocsparseL19gebsrmvn_1xn_kernelILj128ELj3ELj8EfEEvi20rocsparse_direction_NS_24const_host_device_scalarIT2_EEPKiS6_PKS3_S8_S4_PS3_21rocsparse_index_base_b
                                        ; -- End function
	.set _ZN9rocsparseL19gebsrmvn_1xn_kernelILj128ELj3ELj8EfEEvi20rocsparse_direction_NS_24const_host_device_scalarIT2_EEPKiS6_PKS3_S8_S4_PS3_21rocsparse_index_base_b.num_vgpr, 22
	.set _ZN9rocsparseL19gebsrmvn_1xn_kernelILj128ELj3ELj8EfEEvi20rocsparse_direction_NS_24const_host_device_scalarIT2_EEPKiS6_PKS3_S8_S4_PS3_21rocsparse_index_base_b.num_agpr, 0
	.set _ZN9rocsparseL19gebsrmvn_1xn_kernelILj128ELj3ELj8EfEEvi20rocsparse_direction_NS_24const_host_device_scalarIT2_EEPKiS6_PKS3_S8_S4_PS3_21rocsparse_index_base_b.numbered_sgpr, 14
	.set _ZN9rocsparseL19gebsrmvn_1xn_kernelILj128ELj3ELj8EfEEvi20rocsparse_direction_NS_24const_host_device_scalarIT2_EEPKiS6_PKS3_S8_S4_PS3_21rocsparse_index_base_b.num_named_barrier, 0
	.set _ZN9rocsparseL19gebsrmvn_1xn_kernelILj128ELj3ELj8EfEEvi20rocsparse_direction_NS_24const_host_device_scalarIT2_EEPKiS6_PKS3_S8_S4_PS3_21rocsparse_index_base_b.private_seg_size, 0
	.set _ZN9rocsparseL19gebsrmvn_1xn_kernelILj128ELj3ELj8EfEEvi20rocsparse_direction_NS_24const_host_device_scalarIT2_EEPKiS6_PKS3_S8_S4_PS3_21rocsparse_index_base_b.uses_vcc, 1
	.set _ZN9rocsparseL19gebsrmvn_1xn_kernelILj128ELj3ELj8EfEEvi20rocsparse_direction_NS_24const_host_device_scalarIT2_EEPKiS6_PKS3_S8_S4_PS3_21rocsparse_index_base_b.uses_flat_scratch, 0
	.set _ZN9rocsparseL19gebsrmvn_1xn_kernelILj128ELj3ELj8EfEEvi20rocsparse_direction_NS_24const_host_device_scalarIT2_EEPKiS6_PKS3_S8_S4_PS3_21rocsparse_index_base_b.has_dyn_sized_stack, 0
	.set _ZN9rocsparseL19gebsrmvn_1xn_kernelILj128ELj3ELj8EfEEvi20rocsparse_direction_NS_24const_host_device_scalarIT2_EEPKiS6_PKS3_S8_S4_PS3_21rocsparse_index_base_b.has_recursion, 0
	.set _ZN9rocsparseL19gebsrmvn_1xn_kernelILj128ELj3ELj8EfEEvi20rocsparse_direction_NS_24const_host_device_scalarIT2_EEPKiS6_PKS3_S8_S4_PS3_21rocsparse_index_base_b.has_indirect_call, 0
	.section	.AMDGPU.csdata,"",@progbits
; Kernel info:
; codeLenInByte = 844
; TotalNumSgprs: 16
; NumVgprs: 22
; ScratchSize: 0
; MemoryBound: 0
; FloatMode: 240
; IeeeMode: 1
; LDSByteSize: 0 bytes/workgroup (compile time only)
; SGPRBlocks: 0
; VGPRBlocks: 2
; NumSGPRsForWavesPerEU: 16
; NumVGPRsForWavesPerEU: 22
; Occupancy: 16
; WaveLimiterHint : 1
; COMPUTE_PGM_RSRC2:SCRATCH_EN: 0
; COMPUTE_PGM_RSRC2:USER_SGPR: 6
; COMPUTE_PGM_RSRC2:TRAP_HANDLER: 0
; COMPUTE_PGM_RSRC2:TGID_X_EN: 1
; COMPUTE_PGM_RSRC2:TGID_Y_EN: 0
; COMPUTE_PGM_RSRC2:TGID_Z_EN: 0
; COMPUTE_PGM_RSRC2:TIDIG_COMP_CNT: 0
	.section	.text._ZN9rocsparseL19gebsrmvn_1xn_kernelILj128ELj3ELj16EfEEvi20rocsparse_direction_NS_24const_host_device_scalarIT2_EEPKiS6_PKS3_S8_S4_PS3_21rocsparse_index_base_b,"axG",@progbits,_ZN9rocsparseL19gebsrmvn_1xn_kernelILj128ELj3ELj16EfEEvi20rocsparse_direction_NS_24const_host_device_scalarIT2_EEPKiS6_PKS3_S8_S4_PS3_21rocsparse_index_base_b,comdat
	.globl	_ZN9rocsparseL19gebsrmvn_1xn_kernelILj128ELj3ELj16EfEEvi20rocsparse_direction_NS_24const_host_device_scalarIT2_EEPKiS6_PKS3_S8_S4_PS3_21rocsparse_index_base_b ; -- Begin function _ZN9rocsparseL19gebsrmvn_1xn_kernelILj128ELj3ELj16EfEEvi20rocsparse_direction_NS_24const_host_device_scalarIT2_EEPKiS6_PKS3_S8_S4_PS3_21rocsparse_index_base_b
	.p2align	8
	.type	_ZN9rocsparseL19gebsrmvn_1xn_kernelILj128ELj3ELj16EfEEvi20rocsparse_direction_NS_24const_host_device_scalarIT2_EEPKiS6_PKS3_S8_S4_PS3_21rocsparse_index_base_b,@function
_ZN9rocsparseL19gebsrmvn_1xn_kernelILj128ELj3ELj16EfEEvi20rocsparse_direction_NS_24const_host_device_scalarIT2_EEPKiS6_PKS3_S8_S4_PS3_21rocsparse_index_base_b: ; @_ZN9rocsparseL19gebsrmvn_1xn_kernelILj128ELj3ELj16EfEEvi20rocsparse_direction_NS_24const_host_device_scalarIT2_EEPKiS6_PKS3_S8_S4_PS3_21rocsparse_index_base_b
; %bb.0:
	s_clause 0x2
	s_load_dwordx2 s[12:13], s[4:5], 0x40
	s_load_dwordx2 s[10:11], s[4:5], 0x8
	;; [unrolled: 1-line block ×3, first 2 shown]
	s_waitcnt lgkmcnt(0)
	s_bitcmp1_b32 s13, 0
	s_cselect_b32 s0, -1, 0
	s_and_b32 vcc_lo, exec_lo, s0
	s_xor_b32 s0, s0, -1
	s_cbranch_vccnz .LBB7_2
; %bb.1:
	s_load_dword s10, s[10:11], 0x0
.LBB7_2:
	s_andn2_b32 vcc_lo, exec_lo, s0
	s_cbranch_vccnz .LBB7_4
; %bb.3:
	s_load_dword s8, s[8:9], 0x0
.LBB7_4:
	s_waitcnt lgkmcnt(0)
	v_cmp_eq_f32_e64 s0, s10, 0
	v_cmp_eq_f32_e64 s1, s8, 1.0
	s_and_b32 s0, s0, s1
	s_and_b32 vcc_lo, exec_lo, s0
	s_cbranch_vccnz .LBB7_15
; %bb.5:
	s_load_dword s0, s[4:5], 0x0
	v_lshrrev_b32_e32 v1, 4, v0
	v_lshl_or_b32 v1, s6, 3, v1
	s_waitcnt lgkmcnt(0)
	v_cmp_gt_i32_e32 vcc_lo, s0, v1
	s_and_saveexec_b32 s0, vcc_lo
	s_cbranch_execz .LBB7_15
; %bb.6:
	s_clause 0x1
	s_load_dwordx2 s[0:1], s[4:5], 0x10
	s_load_dwordx2 s[6:7], s[4:5], 0x38
	v_ashrrev_i32_e32 v2, 31, v1
	v_and_b32_e32 v0, 15, v0
	v_mov_b32_e32 v7, 0
	s_mov_b32 s9, exec_lo
	v_lshlrev_b64 v[1:2], 2, v[1:2]
	v_subrev_nc_u32_e32 v5, s12, v0
	s_waitcnt lgkmcnt(0)
	v_add_co_u32 v3, vcc_lo, s0, v1
	v_add_co_ci_u32_e64 v4, null, s1, v2, vcc_lo
	global_load_dwordx2 v[3:4], v[3:4], off
	s_waitcnt vmcnt(0)
	v_subrev_nc_u32_e32 v8, s12, v4
	v_add_nc_u32_e32 v3, v3, v5
	v_cmpx_lt_i32_e64 v3, v8
	s_cbranch_execz .LBB7_10
; %bb.7:
	s_clause 0x1
	s_load_dwordx4 s[0:3], s[4:5], 0x18
	s_load_dwordx2 s[4:5], s[4:5], 0x28
	v_mov_b32_e32 v6, 0
	v_lshl_add_u32 v5, v3, 1, v3
	s_mov_b32 s11, 0
	v_mov_b32_e32 v7, v6
.LBB7_8:                                ; =>This Inner Loop Header: Depth=1
	v_ashrrev_i32_e32 v4, 31, v3
	v_add_nc_u32_e32 v11, 1, v5
	v_mov_b32_e32 v12, v6
	v_add_nc_u32_e32 v13, 2, v5
	v_mov_b32_e32 v14, v6
	v_lshlrev_b64 v[9:10], 2, v[3:4]
	v_mov_b32_e32 v15, v6
	v_lshlrev_b64 v[11:12], 2, v[11:12]
	;; [unrolled: 2-line block ×3, first 2 shown]
	v_mov_b32_e32 v19, v6
	s_waitcnt lgkmcnt(0)
	v_add_co_u32 v9, vcc_lo, s0, v9
	v_add_co_ci_u32_e64 v10, null, s1, v10, vcc_lo
	v_add_nc_u32_e32 v3, 16, v3
	global_load_dword v4, v[9:10], off
	v_lshlrev_b64 v[9:10], 2, v[5:6]
	v_add_nc_u32_e32 v5, 48, v5
	v_add_co_u32 v9, vcc_lo, s2, v9
	v_add_co_ci_u32_e64 v10, null, s3, v10, vcc_lo
	global_load_dword v20, v[9:10], off
	v_add_co_u32 v9, vcc_lo, s2, v11
	v_add_co_ci_u32_e64 v10, null, s3, v12, vcc_lo
	v_add_co_u32 v11, vcc_lo, s2, v13
	v_add_co_ci_u32_e64 v12, null, s3, v14, vcc_lo
	global_load_dword v21, v[9:10], off
	s_waitcnt vmcnt(2)
	v_subrev_nc_u32_e32 v4, s12, v4
	v_lshl_add_u32 v14, v4, 1, v4
	v_lshlrev_b64 v[9:10], 2, v[14:15]
	v_add_nc_u32_e32 v16, 1, v14
	v_add_nc_u32_e32 v18, 2, v14
	v_lshlrev_b64 v[13:14], 2, v[16:17]
	v_add_co_u32 v9, vcc_lo, s4, v9
	v_add_co_ci_u32_e64 v10, null, s5, v10, vcc_lo
	v_lshlrev_b64 v[15:16], 2, v[18:19]
	global_load_dword v4, v[9:10], off
	v_add_co_u32 v9, vcc_lo, s4, v13
	v_add_co_ci_u32_e64 v10, null, s5, v14, vcc_lo
	v_add_co_u32 v13, vcc_lo, s4, v15
	v_add_co_ci_u32_e64 v14, null, s5, v16, vcc_lo
	global_load_dword v9, v[9:10], off
	global_load_dword v10, v[11:12], off
	;; [unrolled: 1-line block ×3, first 2 shown]
	v_cmp_ge_i32_e32 vcc_lo, v3, v8
	s_or_b32 s11, vcc_lo, s11
	s_waitcnt vmcnt(3)
	v_fmac_f32_e32 v7, v20, v4
	s_waitcnt vmcnt(2)
	v_fmac_f32_e32 v7, v21, v9
	;; [unrolled: 2-line block ×3, first 2 shown]
	s_andn2_b32 exec_lo, exec_lo, s11
	s_cbranch_execnz .LBB7_8
; %bb.9:
	s_or_b32 exec_lo, exec_lo, s11
.LBB7_10:
	s_or_b32 exec_lo, exec_lo, s9
	v_mbcnt_lo_u32_b32 v3, -1, 0
	s_mov_b32 s0, -1
	v_xor_b32_e32 v4, 8, v3
	v_xor_b32_e32 v5, 4, v3
	;; [unrolled: 1-line block ×3, first 2 shown]
	v_cmp_gt_i32_e32 vcc_lo, 32, v4
	v_cndmask_b32_e32 v4, v3, v4, vcc_lo
	v_cmp_gt_i32_e32 vcc_lo, 32, v5
	v_lshlrev_b32_e32 v4, 2, v4
	v_cndmask_b32_e32 v5, v3, v5, vcc_lo
	v_cmp_gt_i32_e32 vcc_lo, 32, v6
	ds_bpermute_b32 v4, v4, v7
	v_lshlrev_b32_e32 v5, 2, v5
	v_cndmask_b32_e32 v6, v3, v6, vcc_lo
	v_lshlrev_b32_e32 v6, 2, v6
	s_waitcnt lgkmcnt(0)
	v_add_f32_e32 v4, v7, v4
	ds_bpermute_b32 v5, v5, v4
	s_waitcnt lgkmcnt(0)
	v_add_f32_e32 v4, v4, v5
	ds_bpermute_b32 v5, v6, v4
	v_xor_b32_e32 v6, 1, v3
	v_cmp_gt_i32_e32 vcc_lo, 32, v6
	v_cndmask_b32_e32 v6, v3, v6, vcc_lo
	v_cmp_eq_u32_e32 vcc_lo, 15, v0
	s_waitcnt lgkmcnt(0)
	v_add_f32_e32 v3, v4, v5
	v_lshlrev_b32_e32 v4, 2, v6
	ds_bpermute_b32 v4, v4, v3
	s_and_b32 exec_lo, exec_lo, vcc_lo
	s_cbranch_execz .LBB7_15
; %bb.11:
	s_waitcnt lgkmcnt(0)
	v_add_f32_e32 v0, v3, v4
	v_cmp_eq_f32_e64 s1, s8, 0
	v_mul_f32_e32 v0, s10, v0
	s_and_b32 vcc_lo, exec_lo, s1
	s_cbranch_vccz .LBB7_13
; %bb.12:
	v_add_co_u32 v3, vcc_lo, s6, v1
	v_add_co_ci_u32_e64 v4, null, s7, v2, vcc_lo
	s_mov_b32 s0, 0
	global_store_dword v[3:4], v0, off
.LBB7_13:
	s_andn2_b32 vcc_lo, exec_lo, s0
	s_cbranch_vccnz .LBB7_15
; %bb.14:
	v_add_co_u32 v1, vcc_lo, s6, v1
	v_add_co_ci_u32_e64 v2, null, s7, v2, vcc_lo
	global_load_dword v3, v[1:2], off
	s_waitcnt vmcnt(0)
	v_fmac_f32_e32 v0, s8, v3
	global_store_dword v[1:2], v0, off
.LBB7_15:
	s_endpgm
	.section	.rodata,"a",@progbits
	.p2align	6, 0x0
	.amdhsa_kernel _ZN9rocsparseL19gebsrmvn_1xn_kernelILj128ELj3ELj16EfEEvi20rocsparse_direction_NS_24const_host_device_scalarIT2_EEPKiS6_PKS3_S8_S4_PS3_21rocsparse_index_base_b
		.amdhsa_group_segment_fixed_size 0
		.amdhsa_private_segment_fixed_size 0
		.amdhsa_kernarg_size 72
		.amdhsa_user_sgpr_count 6
		.amdhsa_user_sgpr_private_segment_buffer 1
		.amdhsa_user_sgpr_dispatch_ptr 0
		.amdhsa_user_sgpr_queue_ptr 0
		.amdhsa_user_sgpr_kernarg_segment_ptr 1
		.amdhsa_user_sgpr_dispatch_id 0
		.amdhsa_user_sgpr_flat_scratch_init 0
		.amdhsa_user_sgpr_private_segment_size 0
		.amdhsa_wavefront_size32 1
		.amdhsa_uses_dynamic_stack 0
		.amdhsa_system_sgpr_private_segment_wavefront_offset 0
		.amdhsa_system_sgpr_workgroup_id_x 1
		.amdhsa_system_sgpr_workgroup_id_y 0
		.amdhsa_system_sgpr_workgroup_id_z 0
		.amdhsa_system_sgpr_workgroup_info 0
		.amdhsa_system_vgpr_workitem_id 0
		.amdhsa_next_free_vgpr 22
		.amdhsa_next_free_sgpr 14
		.amdhsa_reserve_vcc 1
		.amdhsa_reserve_flat_scratch 0
		.amdhsa_float_round_mode_32 0
		.amdhsa_float_round_mode_16_64 0
		.amdhsa_float_denorm_mode_32 3
		.amdhsa_float_denorm_mode_16_64 3
		.amdhsa_dx10_clamp 1
		.amdhsa_ieee_mode 1
		.amdhsa_fp16_overflow 0
		.amdhsa_workgroup_processor_mode 1
		.amdhsa_memory_ordered 1
		.amdhsa_forward_progress 1
		.amdhsa_shared_vgpr_count 0
		.amdhsa_exception_fp_ieee_invalid_op 0
		.amdhsa_exception_fp_denorm_src 0
		.amdhsa_exception_fp_ieee_div_zero 0
		.amdhsa_exception_fp_ieee_overflow 0
		.amdhsa_exception_fp_ieee_underflow 0
		.amdhsa_exception_fp_ieee_inexact 0
		.amdhsa_exception_int_div_zero 0
	.end_amdhsa_kernel
	.section	.text._ZN9rocsparseL19gebsrmvn_1xn_kernelILj128ELj3ELj16EfEEvi20rocsparse_direction_NS_24const_host_device_scalarIT2_EEPKiS6_PKS3_S8_S4_PS3_21rocsparse_index_base_b,"axG",@progbits,_ZN9rocsparseL19gebsrmvn_1xn_kernelILj128ELj3ELj16EfEEvi20rocsparse_direction_NS_24const_host_device_scalarIT2_EEPKiS6_PKS3_S8_S4_PS3_21rocsparse_index_base_b,comdat
.Lfunc_end7:
	.size	_ZN9rocsparseL19gebsrmvn_1xn_kernelILj128ELj3ELj16EfEEvi20rocsparse_direction_NS_24const_host_device_scalarIT2_EEPKiS6_PKS3_S8_S4_PS3_21rocsparse_index_base_b, .Lfunc_end7-_ZN9rocsparseL19gebsrmvn_1xn_kernelILj128ELj3ELj16EfEEvi20rocsparse_direction_NS_24const_host_device_scalarIT2_EEPKiS6_PKS3_S8_S4_PS3_21rocsparse_index_base_b
                                        ; -- End function
	.set _ZN9rocsparseL19gebsrmvn_1xn_kernelILj128ELj3ELj16EfEEvi20rocsparse_direction_NS_24const_host_device_scalarIT2_EEPKiS6_PKS3_S8_S4_PS3_21rocsparse_index_base_b.num_vgpr, 22
	.set _ZN9rocsparseL19gebsrmvn_1xn_kernelILj128ELj3ELj16EfEEvi20rocsparse_direction_NS_24const_host_device_scalarIT2_EEPKiS6_PKS3_S8_S4_PS3_21rocsparse_index_base_b.num_agpr, 0
	.set _ZN9rocsparseL19gebsrmvn_1xn_kernelILj128ELj3ELj16EfEEvi20rocsparse_direction_NS_24const_host_device_scalarIT2_EEPKiS6_PKS3_S8_S4_PS3_21rocsparse_index_base_b.numbered_sgpr, 14
	.set _ZN9rocsparseL19gebsrmvn_1xn_kernelILj128ELj3ELj16EfEEvi20rocsparse_direction_NS_24const_host_device_scalarIT2_EEPKiS6_PKS3_S8_S4_PS3_21rocsparse_index_base_b.num_named_barrier, 0
	.set _ZN9rocsparseL19gebsrmvn_1xn_kernelILj128ELj3ELj16EfEEvi20rocsparse_direction_NS_24const_host_device_scalarIT2_EEPKiS6_PKS3_S8_S4_PS3_21rocsparse_index_base_b.private_seg_size, 0
	.set _ZN9rocsparseL19gebsrmvn_1xn_kernelILj128ELj3ELj16EfEEvi20rocsparse_direction_NS_24const_host_device_scalarIT2_EEPKiS6_PKS3_S8_S4_PS3_21rocsparse_index_base_b.uses_vcc, 1
	.set _ZN9rocsparseL19gebsrmvn_1xn_kernelILj128ELj3ELj16EfEEvi20rocsparse_direction_NS_24const_host_device_scalarIT2_EEPKiS6_PKS3_S8_S4_PS3_21rocsparse_index_base_b.uses_flat_scratch, 0
	.set _ZN9rocsparseL19gebsrmvn_1xn_kernelILj128ELj3ELj16EfEEvi20rocsparse_direction_NS_24const_host_device_scalarIT2_EEPKiS6_PKS3_S8_S4_PS3_21rocsparse_index_base_b.has_dyn_sized_stack, 0
	.set _ZN9rocsparseL19gebsrmvn_1xn_kernelILj128ELj3ELj16EfEEvi20rocsparse_direction_NS_24const_host_device_scalarIT2_EEPKiS6_PKS3_S8_S4_PS3_21rocsparse_index_base_b.has_recursion, 0
	.set _ZN9rocsparseL19gebsrmvn_1xn_kernelILj128ELj3ELj16EfEEvi20rocsparse_direction_NS_24const_host_device_scalarIT2_EEPKiS6_PKS3_S8_S4_PS3_21rocsparse_index_base_b.has_indirect_call, 0
	.section	.AMDGPU.csdata,"",@progbits
; Kernel info:
; codeLenInByte = 876
; TotalNumSgprs: 16
; NumVgprs: 22
; ScratchSize: 0
; MemoryBound: 0
; FloatMode: 240
; IeeeMode: 1
; LDSByteSize: 0 bytes/workgroup (compile time only)
; SGPRBlocks: 0
; VGPRBlocks: 2
; NumSGPRsForWavesPerEU: 16
; NumVGPRsForWavesPerEU: 22
; Occupancy: 16
; WaveLimiterHint : 1
; COMPUTE_PGM_RSRC2:SCRATCH_EN: 0
; COMPUTE_PGM_RSRC2:USER_SGPR: 6
; COMPUTE_PGM_RSRC2:TRAP_HANDLER: 0
; COMPUTE_PGM_RSRC2:TGID_X_EN: 1
; COMPUTE_PGM_RSRC2:TGID_Y_EN: 0
; COMPUTE_PGM_RSRC2:TGID_Z_EN: 0
; COMPUTE_PGM_RSRC2:TIDIG_COMP_CNT: 0
	.section	.text._ZN9rocsparseL19gebsrmvn_1xn_kernelILj128ELj3ELj32EfEEvi20rocsparse_direction_NS_24const_host_device_scalarIT2_EEPKiS6_PKS3_S8_S4_PS3_21rocsparse_index_base_b,"axG",@progbits,_ZN9rocsparseL19gebsrmvn_1xn_kernelILj128ELj3ELj32EfEEvi20rocsparse_direction_NS_24const_host_device_scalarIT2_EEPKiS6_PKS3_S8_S4_PS3_21rocsparse_index_base_b,comdat
	.globl	_ZN9rocsparseL19gebsrmvn_1xn_kernelILj128ELj3ELj32EfEEvi20rocsparse_direction_NS_24const_host_device_scalarIT2_EEPKiS6_PKS3_S8_S4_PS3_21rocsparse_index_base_b ; -- Begin function _ZN9rocsparseL19gebsrmvn_1xn_kernelILj128ELj3ELj32EfEEvi20rocsparse_direction_NS_24const_host_device_scalarIT2_EEPKiS6_PKS3_S8_S4_PS3_21rocsparse_index_base_b
	.p2align	8
	.type	_ZN9rocsparseL19gebsrmvn_1xn_kernelILj128ELj3ELj32EfEEvi20rocsparse_direction_NS_24const_host_device_scalarIT2_EEPKiS6_PKS3_S8_S4_PS3_21rocsparse_index_base_b,@function
_ZN9rocsparseL19gebsrmvn_1xn_kernelILj128ELj3ELj32EfEEvi20rocsparse_direction_NS_24const_host_device_scalarIT2_EEPKiS6_PKS3_S8_S4_PS3_21rocsparse_index_base_b: ; @_ZN9rocsparseL19gebsrmvn_1xn_kernelILj128ELj3ELj32EfEEvi20rocsparse_direction_NS_24const_host_device_scalarIT2_EEPKiS6_PKS3_S8_S4_PS3_21rocsparse_index_base_b
; %bb.0:
	s_clause 0x2
	s_load_dwordx2 s[12:13], s[4:5], 0x40
	s_load_dwordx2 s[10:11], s[4:5], 0x8
	;; [unrolled: 1-line block ×3, first 2 shown]
	s_waitcnt lgkmcnt(0)
	s_bitcmp1_b32 s13, 0
	s_cselect_b32 s0, -1, 0
	s_and_b32 vcc_lo, exec_lo, s0
	s_xor_b32 s0, s0, -1
	s_cbranch_vccnz .LBB8_2
; %bb.1:
	s_load_dword s10, s[10:11], 0x0
.LBB8_2:
	s_andn2_b32 vcc_lo, exec_lo, s0
	s_cbranch_vccnz .LBB8_4
; %bb.3:
	s_load_dword s8, s[8:9], 0x0
.LBB8_4:
	s_waitcnt lgkmcnt(0)
	v_cmp_eq_f32_e64 s0, s10, 0
	v_cmp_eq_f32_e64 s1, s8, 1.0
	s_and_b32 s0, s0, s1
	s_and_b32 vcc_lo, exec_lo, s0
	s_cbranch_vccnz .LBB8_15
; %bb.5:
	s_load_dword s0, s[4:5], 0x0
	v_lshrrev_b32_e32 v1, 5, v0
	v_lshl_or_b32 v1, s6, 2, v1
	s_waitcnt lgkmcnt(0)
	v_cmp_gt_i32_e32 vcc_lo, s0, v1
	s_and_saveexec_b32 s0, vcc_lo
	s_cbranch_execz .LBB8_15
; %bb.6:
	s_clause 0x1
	s_load_dwordx2 s[0:1], s[4:5], 0x10
	s_load_dwordx2 s[6:7], s[4:5], 0x38
	v_ashrrev_i32_e32 v2, 31, v1
	v_and_b32_e32 v0, 31, v0
	v_mov_b32_e32 v7, 0
	s_mov_b32 s9, exec_lo
	v_lshlrev_b64 v[1:2], 2, v[1:2]
	v_subrev_nc_u32_e32 v5, s12, v0
	s_waitcnt lgkmcnt(0)
	v_add_co_u32 v3, vcc_lo, s0, v1
	v_add_co_ci_u32_e64 v4, null, s1, v2, vcc_lo
	global_load_dwordx2 v[3:4], v[3:4], off
	s_waitcnt vmcnt(0)
	v_subrev_nc_u32_e32 v8, s12, v4
	v_add_nc_u32_e32 v3, v3, v5
	v_cmpx_lt_i32_e64 v3, v8
	s_cbranch_execz .LBB8_10
; %bb.7:
	s_clause 0x1
	s_load_dwordx4 s[0:3], s[4:5], 0x18
	s_load_dwordx2 s[4:5], s[4:5], 0x28
	v_mov_b32_e32 v6, 0
	v_lshl_add_u32 v5, v3, 1, v3
	s_mov_b32 s11, 0
	v_mov_b32_e32 v7, v6
.LBB8_8:                                ; =>This Inner Loop Header: Depth=1
	v_ashrrev_i32_e32 v4, 31, v3
	v_add_nc_u32_e32 v11, 1, v5
	v_mov_b32_e32 v12, v6
	v_add_nc_u32_e32 v13, 2, v5
	v_mov_b32_e32 v14, v6
	v_lshlrev_b64 v[9:10], 2, v[3:4]
	v_mov_b32_e32 v15, v6
	v_lshlrev_b64 v[11:12], 2, v[11:12]
	;; [unrolled: 2-line block ×3, first 2 shown]
	v_mov_b32_e32 v19, v6
	s_waitcnt lgkmcnt(0)
	v_add_co_u32 v9, vcc_lo, s0, v9
	v_add_co_ci_u32_e64 v10, null, s1, v10, vcc_lo
	v_add_nc_u32_e32 v3, 32, v3
	global_load_dword v4, v[9:10], off
	v_lshlrev_b64 v[9:10], 2, v[5:6]
	v_add_nc_u32_e32 v5, 0x60, v5
	v_add_co_u32 v9, vcc_lo, s2, v9
	v_add_co_ci_u32_e64 v10, null, s3, v10, vcc_lo
	global_load_dword v20, v[9:10], off
	v_add_co_u32 v9, vcc_lo, s2, v11
	v_add_co_ci_u32_e64 v10, null, s3, v12, vcc_lo
	v_add_co_u32 v11, vcc_lo, s2, v13
	v_add_co_ci_u32_e64 v12, null, s3, v14, vcc_lo
	global_load_dword v21, v[9:10], off
	s_waitcnt vmcnt(2)
	v_subrev_nc_u32_e32 v4, s12, v4
	v_lshl_add_u32 v14, v4, 1, v4
	v_lshlrev_b64 v[9:10], 2, v[14:15]
	v_add_nc_u32_e32 v16, 1, v14
	v_add_nc_u32_e32 v18, 2, v14
	v_lshlrev_b64 v[13:14], 2, v[16:17]
	v_add_co_u32 v9, vcc_lo, s4, v9
	v_add_co_ci_u32_e64 v10, null, s5, v10, vcc_lo
	v_lshlrev_b64 v[15:16], 2, v[18:19]
	global_load_dword v4, v[9:10], off
	v_add_co_u32 v9, vcc_lo, s4, v13
	v_add_co_ci_u32_e64 v10, null, s5, v14, vcc_lo
	v_add_co_u32 v13, vcc_lo, s4, v15
	v_add_co_ci_u32_e64 v14, null, s5, v16, vcc_lo
	global_load_dword v9, v[9:10], off
	global_load_dword v10, v[11:12], off
	;; [unrolled: 1-line block ×3, first 2 shown]
	v_cmp_ge_i32_e32 vcc_lo, v3, v8
	s_or_b32 s11, vcc_lo, s11
	s_waitcnt vmcnt(3)
	v_fmac_f32_e32 v7, v20, v4
	s_waitcnt vmcnt(2)
	v_fmac_f32_e32 v7, v21, v9
	;; [unrolled: 2-line block ×3, first 2 shown]
	s_andn2_b32 exec_lo, exec_lo, s11
	s_cbranch_execnz .LBB8_8
; %bb.9:
	s_or_b32 exec_lo, exec_lo, s11
.LBB8_10:
	s_or_b32 exec_lo, exec_lo, s9
	v_mbcnt_lo_u32_b32 v3, -1, 0
	s_mov_b32 s0, -1
	v_xor_b32_e32 v4, 16, v3
	v_xor_b32_e32 v5, 8, v3
	v_xor_b32_e32 v6, 4, v3
	v_cmp_gt_i32_e32 vcc_lo, 32, v4
	v_cndmask_b32_e32 v4, v3, v4, vcc_lo
	v_cmp_gt_i32_e32 vcc_lo, 32, v5
	v_lshlrev_b32_e32 v4, 2, v4
	v_cndmask_b32_e32 v5, v3, v5, vcc_lo
	v_cmp_gt_i32_e32 vcc_lo, 32, v6
	ds_bpermute_b32 v4, v4, v7
	v_lshlrev_b32_e32 v5, 2, v5
	v_cndmask_b32_e32 v6, v3, v6, vcc_lo
	v_lshlrev_b32_e32 v6, 2, v6
	s_waitcnt lgkmcnt(0)
	v_add_f32_e32 v4, v7, v4
	ds_bpermute_b32 v5, v5, v4
	s_waitcnt lgkmcnt(0)
	v_add_f32_e32 v4, v4, v5
	ds_bpermute_b32 v5, v6, v4
	v_xor_b32_e32 v6, 2, v3
	v_cmp_gt_i32_e32 vcc_lo, 32, v6
	v_cndmask_b32_e32 v6, v3, v6, vcc_lo
	v_lshlrev_b32_e32 v6, 2, v6
	s_waitcnt lgkmcnt(0)
	v_add_f32_e32 v4, v4, v5
	ds_bpermute_b32 v5, v6, v4
	v_xor_b32_e32 v6, 1, v3
	v_cmp_gt_i32_e32 vcc_lo, 32, v6
	v_cndmask_b32_e32 v6, v3, v6, vcc_lo
	v_cmp_eq_u32_e32 vcc_lo, 31, v0
	s_waitcnt lgkmcnt(0)
	v_add_f32_e32 v3, v4, v5
	v_lshlrev_b32_e32 v4, 2, v6
	ds_bpermute_b32 v4, v4, v3
	s_and_b32 exec_lo, exec_lo, vcc_lo
	s_cbranch_execz .LBB8_15
; %bb.11:
	s_waitcnt lgkmcnt(0)
	v_add_f32_e32 v0, v3, v4
	v_cmp_eq_f32_e64 s1, s8, 0
	v_mul_f32_e32 v0, s10, v0
	s_and_b32 vcc_lo, exec_lo, s1
	s_cbranch_vccz .LBB8_13
; %bb.12:
	v_add_co_u32 v3, vcc_lo, s6, v1
	v_add_co_ci_u32_e64 v4, null, s7, v2, vcc_lo
	s_mov_b32 s0, 0
	global_store_dword v[3:4], v0, off
.LBB8_13:
	s_andn2_b32 vcc_lo, exec_lo, s0
	s_cbranch_vccnz .LBB8_15
; %bb.14:
	v_add_co_u32 v1, vcc_lo, s6, v1
	v_add_co_ci_u32_e64 v2, null, s7, v2, vcc_lo
	global_load_dword v3, v[1:2], off
	s_waitcnt vmcnt(0)
	v_fmac_f32_e32 v0, s8, v3
	global_store_dword v[1:2], v0, off
.LBB8_15:
	s_endpgm
	.section	.rodata,"a",@progbits
	.p2align	6, 0x0
	.amdhsa_kernel _ZN9rocsparseL19gebsrmvn_1xn_kernelILj128ELj3ELj32EfEEvi20rocsparse_direction_NS_24const_host_device_scalarIT2_EEPKiS6_PKS3_S8_S4_PS3_21rocsparse_index_base_b
		.amdhsa_group_segment_fixed_size 0
		.amdhsa_private_segment_fixed_size 0
		.amdhsa_kernarg_size 72
		.amdhsa_user_sgpr_count 6
		.amdhsa_user_sgpr_private_segment_buffer 1
		.amdhsa_user_sgpr_dispatch_ptr 0
		.amdhsa_user_sgpr_queue_ptr 0
		.amdhsa_user_sgpr_kernarg_segment_ptr 1
		.amdhsa_user_sgpr_dispatch_id 0
		.amdhsa_user_sgpr_flat_scratch_init 0
		.amdhsa_user_sgpr_private_segment_size 0
		.amdhsa_wavefront_size32 1
		.amdhsa_uses_dynamic_stack 0
		.amdhsa_system_sgpr_private_segment_wavefront_offset 0
		.amdhsa_system_sgpr_workgroup_id_x 1
		.amdhsa_system_sgpr_workgroup_id_y 0
		.amdhsa_system_sgpr_workgroup_id_z 0
		.amdhsa_system_sgpr_workgroup_info 0
		.amdhsa_system_vgpr_workitem_id 0
		.amdhsa_next_free_vgpr 22
		.amdhsa_next_free_sgpr 14
		.amdhsa_reserve_vcc 1
		.amdhsa_reserve_flat_scratch 0
		.amdhsa_float_round_mode_32 0
		.amdhsa_float_round_mode_16_64 0
		.amdhsa_float_denorm_mode_32 3
		.amdhsa_float_denorm_mode_16_64 3
		.amdhsa_dx10_clamp 1
		.amdhsa_ieee_mode 1
		.amdhsa_fp16_overflow 0
		.amdhsa_workgroup_processor_mode 1
		.amdhsa_memory_ordered 1
		.amdhsa_forward_progress 1
		.amdhsa_shared_vgpr_count 0
		.amdhsa_exception_fp_ieee_invalid_op 0
		.amdhsa_exception_fp_denorm_src 0
		.amdhsa_exception_fp_ieee_div_zero 0
		.amdhsa_exception_fp_ieee_overflow 0
		.amdhsa_exception_fp_ieee_underflow 0
		.amdhsa_exception_fp_ieee_inexact 0
		.amdhsa_exception_int_div_zero 0
	.end_amdhsa_kernel
	.section	.text._ZN9rocsparseL19gebsrmvn_1xn_kernelILj128ELj3ELj32EfEEvi20rocsparse_direction_NS_24const_host_device_scalarIT2_EEPKiS6_PKS3_S8_S4_PS3_21rocsparse_index_base_b,"axG",@progbits,_ZN9rocsparseL19gebsrmvn_1xn_kernelILj128ELj3ELj32EfEEvi20rocsparse_direction_NS_24const_host_device_scalarIT2_EEPKiS6_PKS3_S8_S4_PS3_21rocsparse_index_base_b,comdat
.Lfunc_end8:
	.size	_ZN9rocsparseL19gebsrmvn_1xn_kernelILj128ELj3ELj32EfEEvi20rocsparse_direction_NS_24const_host_device_scalarIT2_EEPKiS6_PKS3_S8_S4_PS3_21rocsparse_index_base_b, .Lfunc_end8-_ZN9rocsparseL19gebsrmvn_1xn_kernelILj128ELj3ELj32EfEEvi20rocsparse_direction_NS_24const_host_device_scalarIT2_EEPKiS6_PKS3_S8_S4_PS3_21rocsparse_index_base_b
                                        ; -- End function
	.set _ZN9rocsparseL19gebsrmvn_1xn_kernelILj128ELj3ELj32EfEEvi20rocsparse_direction_NS_24const_host_device_scalarIT2_EEPKiS6_PKS3_S8_S4_PS3_21rocsparse_index_base_b.num_vgpr, 22
	.set _ZN9rocsparseL19gebsrmvn_1xn_kernelILj128ELj3ELj32EfEEvi20rocsparse_direction_NS_24const_host_device_scalarIT2_EEPKiS6_PKS3_S8_S4_PS3_21rocsparse_index_base_b.num_agpr, 0
	.set _ZN9rocsparseL19gebsrmvn_1xn_kernelILj128ELj3ELj32EfEEvi20rocsparse_direction_NS_24const_host_device_scalarIT2_EEPKiS6_PKS3_S8_S4_PS3_21rocsparse_index_base_b.numbered_sgpr, 14
	.set _ZN9rocsparseL19gebsrmvn_1xn_kernelILj128ELj3ELj32EfEEvi20rocsparse_direction_NS_24const_host_device_scalarIT2_EEPKiS6_PKS3_S8_S4_PS3_21rocsparse_index_base_b.num_named_barrier, 0
	.set _ZN9rocsparseL19gebsrmvn_1xn_kernelILj128ELj3ELj32EfEEvi20rocsparse_direction_NS_24const_host_device_scalarIT2_EEPKiS6_PKS3_S8_S4_PS3_21rocsparse_index_base_b.private_seg_size, 0
	.set _ZN9rocsparseL19gebsrmvn_1xn_kernelILj128ELj3ELj32EfEEvi20rocsparse_direction_NS_24const_host_device_scalarIT2_EEPKiS6_PKS3_S8_S4_PS3_21rocsparse_index_base_b.uses_vcc, 1
	.set _ZN9rocsparseL19gebsrmvn_1xn_kernelILj128ELj3ELj32EfEEvi20rocsparse_direction_NS_24const_host_device_scalarIT2_EEPKiS6_PKS3_S8_S4_PS3_21rocsparse_index_base_b.uses_flat_scratch, 0
	.set _ZN9rocsparseL19gebsrmvn_1xn_kernelILj128ELj3ELj32EfEEvi20rocsparse_direction_NS_24const_host_device_scalarIT2_EEPKiS6_PKS3_S8_S4_PS3_21rocsparse_index_base_b.has_dyn_sized_stack, 0
	.set _ZN9rocsparseL19gebsrmvn_1xn_kernelILj128ELj3ELj32EfEEvi20rocsparse_direction_NS_24const_host_device_scalarIT2_EEPKiS6_PKS3_S8_S4_PS3_21rocsparse_index_base_b.has_recursion, 0
	.set _ZN9rocsparseL19gebsrmvn_1xn_kernelILj128ELj3ELj32EfEEvi20rocsparse_direction_NS_24const_host_device_scalarIT2_EEPKiS6_PKS3_S8_S4_PS3_21rocsparse_index_base_b.has_indirect_call, 0
	.section	.AMDGPU.csdata,"",@progbits
; Kernel info:
; codeLenInByte = 912
; TotalNumSgprs: 16
; NumVgprs: 22
; ScratchSize: 0
; MemoryBound: 0
; FloatMode: 240
; IeeeMode: 1
; LDSByteSize: 0 bytes/workgroup (compile time only)
; SGPRBlocks: 0
; VGPRBlocks: 2
; NumSGPRsForWavesPerEU: 16
; NumVGPRsForWavesPerEU: 22
; Occupancy: 16
; WaveLimiterHint : 1
; COMPUTE_PGM_RSRC2:SCRATCH_EN: 0
; COMPUTE_PGM_RSRC2:USER_SGPR: 6
; COMPUTE_PGM_RSRC2:TRAP_HANDLER: 0
; COMPUTE_PGM_RSRC2:TGID_X_EN: 1
; COMPUTE_PGM_RSRC2:TGID_Y_EN: 0
; COMPUTE_PGM_RSRC2:TGID_Z_EN: 0
; COMPUTE_PGM_RSRC2:TIDIG_COMP_CNT: 0
	.section	.text._ZN9rocsparseL19gebsrmvn_1xn_kernelILj128ELj3ELj64EfEEvi20rocsparse_direction_NS_24const_host_device_scalarIT2_EEPKiS6_PKS3_S8_S4_PS3_21rocsparse_index_base_b,"axG",@progbits,_ZN9rocsparseL19gebsrmvn_1xn_kernelILj128ELj3ELj64EfEEvi20rocsparse_direction_NS_24const_host_device_scalarIT2_EEPKiS6_PKS3_S8_S4_PS3_21rocsparse_index_base_b,comdat
	.globl	_ZN9rocsparseL19gebsrmvn_1xn_kernelILj128ELj3ELj64EfEEvi20rocsparse_direction_NS_24const_host_device_scalarIT2_EEPKiS6_PKS3_S8_S4_PS3_21rocsparse_index_base_b ; -- Begin function _ZN9rocsparseL19gebsrmvn_1xn_kernelILj128ELj3ELj64EfEEvi20rocsparse_direction_NS_24const_host_device_scalarIT2_EEPKiS6_PKS3_S8_S4_PS3_21rocsparse_index_base_b
	.p2align	8
	.type	_ZN9rocsparseL19gebsrmvn_1xn_kernelILj128ELj3ELj64EfEEvi20rocsparse_direction_NS_24const_host_device_scalarIT2_EEPKiS6_PKS3_S8_S4_PS3_21rocsparse_index_base_b,@function
_ZN9rocsparseL19gebsrmvn_1xn_kernelILj128ELj3ELj64EfEEvi20rocsparse_direction_NS_24const_host_device_scalarIT2_EEPKiS6_PKS3_S8_S4_PS3_21rocsparse_index_base_b: ; @_ZN9rocsparseL19gebsrmvn_1xn_kernelILj128ELj3ELj64EfEEvi20rocsparse_direction_NS_24const_host_device_scalarIT2_EEPKiS6_PKS3_S8_S4_PS3_21rocsparse_index_base_b
; %bb.0:
	s_clause 0x2
	s_load_dwordx2 s[12:13], s[4:5], 0x40
	s_load_dwordx2 s[10:11], s[4:5], 0x8
	s_load_dwordx2 s[8:9], s[4:5], 0x30
	s_waitcnt lgkmcnt(0)
	s_bitcmp1_b32 s13, 0
	s_cselect_b32 s0, -1, 0
	s_and_b32 vcc_lo, exec_lo, s0
	s_xor_b32 s0, s0, -1
	s_cbranch_vccnz .LBB9_2
; %bb.1:
	s_load_dword s10, s[10:11], 0x0
.LBB9_2:
	s_andn2_b32 vcc_lo, exec_lo, s0
	s_cbranch_vccnz .LBB9_4
; %bb.3:
	s_load_dword s8, s[8:9], 0x0
.LBB9_4:
	s_waitcnt lgkmcnt(0)
	v_cmp_eq_f32_e64 s0, s10, 0
	v_cmp_eq_f32_e64 s1, s8, 1.0
	s_and_b32 s0, s0, s1
	s_and_b32 vcc_lo, exec_lo, s0
	s_cbranch_vccnz .LBB9_15
; %bb.5:
	s_load_dword s0, s[4:5], 0x0
	v_lshrrev_b32_e32 v1, 6, v0
	v_lshl_or_b32 v1, s6, 1, v1
	s_waitcnt lgkmcnt(0)
	v_cmp_gt_i32_e32 vcc_lo, s0, v1
	s_and_saveexec_b32 s0, vcc_lo
	s_cbranch_execz .LBB9_15
; %bb.6:
	s_clause 0x1
	s_load_dwordx2 s[0:1], s[4:5], 0x10
	s_load_dwordx2 s[6:7], s[4:5], 0x38
	v_ashrrev_i32_e32 v2, 31, v1
	v_and_b32_e32 v0, 63, v0
	v_mov_b32_e32 v7, 0
	s_mov_b32 s9, exec_lo
	v_lshlrev_b64 v[1:2], 2, v[1:2]
	v_subrev_nc_u32_e32 v5, s12, v0
	s_waitcnt lgkmcnt(0)
	v_add_co_u32 v3, vcc_lo, s0, v1
	v_add_co_ci_u32_e64 v4, null, s1, v2, vcc_lo
	global_load_dwordx2 v[3:4], v[3:4], off
	s_waitcnt vmcnt(0)
	v_subrev_nc_u32_e32 v8, s12, v4
	v_add_nc_u32_e32 v3, v3, v5
	v_cmpx_lt_i32_e64 v3, v8
	s_cbranch_execz .LBB9_10
; %bb.7:
	s_clause 0x1
	s_load_dwordx4 s[0:3], s[4:5], 0x18
	s_load_dwordx2 s[4:5], s[4:5], 0x28
	v_mov_b32_e32 v6, 0
	v_lshl_add_u32 v5, v3, 1, v3
	s_mov_b32 s11, 0
	v_mov_b32_e32 v7, v6
.LBB9_8:                                ; =>This Inner Loop Header: Depth=1
	v_ashrrev_i32_e32 v4, 31, v3
	v_add_nc_u32_e32 v11, 1, v5
	v_mov_b32_e32 v12, v6
	v_add_nc_u32_e32 v13, 2, v5
	v_mov_b32_e32 v14, v6
	v_lshlrev_b64 v[9:10], 2, v[3:4]
	v_mov_b32_e32 v15, v6
	v_lshlrev_b64 v[11:12], 2, v[11:12]
	;; [unrolled: 2-line block ×3, first 2 shown]
	v_mov_b32_e32 v19, v6
	s_waitcnt lgkmcnt(0)
	v_add_co_u32 v9, vcc_lo, s0, v9
	v_add_co_ci_u32_e64 v10, null, s1, v10, vcc_lo
	v_add_nc_u32_e32 v3, 64, v3
	global_load_dword v4, v[9:10], off
	v_lshlrev_b64 v[9:10], 2, v[5:6]
	v_add_nc_u32_e32 v5, 0xc0, v5
	v_add_co_u32 v9, vcc_lo, s2, v9
	v_add_co_ci_u32_e64 v10, null, s3, v10, vcc_lo
	global_load_dword v20, v[9:10], off
	v_add_co_u32 v9, vcc_lo, s2, v11
	v_add_co_ci_u32_e64 v10, null, s3, v12, vcc_lo
	v_add_co_u32 v11, vcc_lo, s2, v13
	v_add_co_ci_u32_e64 v12, null, s3, v14, vcc_lo
	global_load_dword v21, v[9:10], off
	s_waitcnt vmcnt(2)
	v_subrev_nc_u32_e32 v4, s12, v4
	v_lshl_add_u32 v14, v4, 1, v4
	v_lshlrev_b64 v[9:10], 2, v[14:15]
	v_add_nc_u32_e32 v16, 1, v14
	v_add_nc_u32_e32 v18, 2, v14
	v_lshlrev_b64 v[13:14], 2, v[16:17]
	v_add_co_u32 v9, vcc_lo, s4, v9
	v_add_co_ci_u32_e64 v10, null, s5, v10, vcc_lo
	v_lshlrev_b64 v[15:16], 2, v[18:19]
	global_load_dword v4, v[9:10], off
	v_add_co_u32 v9, vcc_lo, s4, v13
	v_add_co_ci_u32_e64 v10, null, s5, v14, vcc_lo
	v_add_co_u32 v13, vcc_lo, s4, v15
	v_add_co_ci_u32_e64 v14, null, s5, v16, vcc_lo
	global_load_dword v9, v[9:10], off
	global_load_dword v10, v[11:12], off
	;; [unrolled: 1-line block ×3, first 2 shown]
	v_cmp_ge_i32_e32 vcc_lo, v3, v8
	s_or_b32 s11, vcc_lo, s11
	s_waitcnt vmcnt(3)
	v_fmac_f32_e32 v7, v20, v4
	s_waitcnt vmcnt(2)
	v_fmac_f32_e32 v7, v21, v9
	;; [unrolled: 2-line block ×3, first 2 shown]
	s_andn2_b32 exec_lo, exec_lo, s11
	s_cbranch_execnz .LBB9_8
; %bb.9:
	s_or_b32 exec_lo, exec_lo, s11
.LBB9_10:
	s_or_b32 exec_lo, exec_lo, s9
	v_mbcnt_lo_u32_b32 v3, -1, 0
	s_mov_b32 s0, -1
	v_or_b32_e32 v4, 32, v3
	v_xor_b32_e32 v5, 16, v3
	v_xor_b32_e32 v6, 8, v3
	v_cmp_gt_i32_e32 vcc_lo, 32, v4
	v_cndmask_b32_e32 v4, v3, v4, vcc_lo
	v_cmp_gt_i32_e32 vcc_lo, 32, v5
	v_lshlrev_b32_e32 v4, 2, v4
	v_cndmask_b32_e32 v5, v3, v5, vcc_lo
	v_cmp_gt_i32_e32 vcc_lo, 32, v6
	ds_bpermute_b32 v4, v4, v7
	v_lshlrev_b32_e32 v5, 2, v5
	v_cndmask_b32_e32 v6, v3, v6, vcc_lo
	v_lshlrev_b32_e32 v6, 2, v6
	s_waitcnt lgkmcnt(0)
	v_add_f32_e32 v4, v7, v4
	ds_bpermute_b32 v5, v5, v4
	s_waitcnt lgkmcnt(0)
	v_add_f32_e32 v4, v4, v5
	ds_bpermute_b32 v5, v6, v4
	v_xor_b32_e32 v6, 4, v3
	v_cmp_gt_i32_e32 vcc_lo, 32, v6
	v_cndmask_b32_e32 v6, v3, v6, vcc_lo
	v_lshlrev_b32_e32 v6, 2, v6
	s_waitcnt lgkmcnt(0)
	v_add_f32_e32 v4, v4, v5
	ds_bpermute_b32 v5, v6, v4
	v_xor_b32_e32 v6, 2, v3
	v_cmp_gt_i32_e32 vcc_lo, 32, v6
	v_cndmask_b32_e32 v6, v3, v6, vcc_lo
	v_lshlrev_b32_e32 v6, 2, v6
	s_waitcnt lgkmcnt(0)
	v_add_f32_e32 v4, v4, v5
	ds_bpermute_b32 v5, v6, v4
	v_xor_b32_e32 v6, 1, v3
	v_cmp_gt_i32_e32 vcc_lo, 32, v6
	v_cndmask_b32_e32 v6, v3, v6, vcc_lo
	v_cmp_eq_u32_e32 vcc_lo, 63, v0
	s_waitcnt lgkmcnt(0)
	v_add_f32_e32 v3, v4, v5
	v_lshlrev_b32_e32 v4, 2, v6
	ds_bpermute_b32 v4, v4, v3
	s_and_b32 exec_lo, exec_lo, vcc_lo
	s_cbranch_execz .LBB9_15
; %bb.11:
	s_waitcnt lgkmcnt(0)
	v_add_f32_e32 v0, v3, v4
	v_cmp_eq_f32_e64 s1, s8, 0
	v_mul_f32_e32 v0, s10, v0
	s_and_b32 vcc_lo, exec_lo, s1
	s_cbranch_vccz .LBB9_13
; %bb.12:
	v_add_co_u32 v3, vcc_lo, s6, v1
	v_add_co_ci_u32_e64 v4, null, s7, v2, vcc_lo
	s_mov_b32 s0, 0
	global_store_dword v[3:4], v0, off
.LBB9_13:
	s_andn2_b32 vcc_lo, exec_lo, s0
	s_cbranch_vccnz .LBB9_15
; %bb.14:
	v_add_co_u32 v1, vcc_lo, s6, v1
	v_add_co_ci_u32_e64 v2, null, s7, v2, vcc_lo
	global_load_dword v3, v[1:2], off
	s_waitcnt vmcnt(0)
	v_fmac_f32_e32 v0, s8, v3
	global_store_dword v[1:2], v0, off
.LBB9_15:
	s_endpgm
	.section	.rodata,"a",@progbits
	.p2align	6, 0x0
	.amdhsa_kernel _ZN9rocsparseL19gebsrmvn_1xn_kernelILj128ELj3ELj64EfEEvi20rocsparse_direction_NS_24const_host_device_scalarIT2_EEPKiS6_PKS3_S8_S4_PS3_21rocsparse_index_base_b
		.amdhsa_group_segment_fixed_size 0
		.amdhsa_private_segment_fixed_size 0
		.amdhsa_kernarg_size 72
		.amdhsa_user_sgpr_count 6
		.amdhsa_user_sgpr_private_segment_buffer 1
		.amdhsa_user_sgpr_dispatch_ptr 0
		.amdhsa_user_sgpr_queue_ptr 0
		.amdhsa_user_sgpr_kernarg_segment_ptr 1
		.amdhsa_user_sgpr_dispatch_id 0
		.amdhsa_user_sgpr_flat_scratch_init 0
		.amdhsa_user_sgpr_private_segment_size 0
		.amdhsa_wavefront_size32 1
		.amdhsa_uses_dynamic_stack 0
		.amdhsa_system_sgpr_private_segment_wavefront_offset 0
		.amdhsa_system_sgpr_workgroup_id_x 1
		.amdhsa_system_sgpr_workgroup_id_y 0
		.amdhsa_system_sgpr_workgroup_id_z 0
		.amdhsa_system_sgpr_workgroup_info 0
		.amdhsa_system_vgpr_workitem_id 0
		.amdhsa_next_free_vgpr 22
		.amdhsa_next_free_sgpr 14
		.amdhsa_reserve_vcc 1
		.amdhsa_reserve_flat_scratch 0
		.amdhsa_float_round_mode_32 0
		.amdhsa_float_round_mode_16_64 0
		.amdhsa_float_denorm_mode_32 3
		.amdhsa_float_denorm_mode_16_64 3
		.amdhsa_dx10_clamp 1
		.amdhsa_ieee_mode 1
		.amdhsa_fp16_overflow 0
		.amdhsa_workgroup_processor_mode 1
		.amdhsa_memory_ordered 1
		.amdhsa_forward_progress 1
		.amdhsa_shared_vgpr_count 0
		.amdhsa_exception_fp_ieee_invalid_op 0
		.amdhsa_exception_fp_denorm_src 0
		.amdhsa_exception_fp_ieee_div_zero 0
		.amdhsa_exception_fp_ieee_overflow 0
		.amdhsa_exception_fp_ieee_underflow 0
		.amdhsa_exception_fp_ieee_inexact 0
		.amdhsa_exception_int_div_zero 0
	.end_amdhsa_kernel
	.section	.text._ZN9rocsparseL19gebsrmvn_1xn_kernelILj128ELj3ELj64EfEEvi20rocsparse_direction_NS_24const_host_device_scalarIT2_EEPKiS6_PKS3_S8_S4_PS3_21rocsparse_index_base_b,"axG",@progbits,_ZN9rocsparseL19gebsrmvn_1xn_kernelILj128ELj3ELj64EfEEvi20rocsparse_direction_NS_24const_host_device_scalarIT2_EEPKiS6_PKS3_S8_S4_PS3_21rocsparse_index_base_b,comdat
.Lfunc_end9:
	.size	_ZN9rocsparseL19gebsrmvn_1xn_kernelILj128ELj3ELj64EfEEvi20rocsparse_direction_NS_24const_host_device_scalarIT2_EEPKiS6_PKS3_S8_S4_PS3_21rocsparse_index_base_b, .Lfunc_end9-_ZN9rocsparseL19gebsrmvn_1xn_kernelILj128ELj3ELj64EfEEvi20rocsparse_direction_NS_24const_host_device_scalarIT2_EEPKiS6_PKS3_S8_S4_PS3_21rocsparse_index_base_b
                                        ; -- End function
	.set _ZN9rocsparseL19gebsrmvn_1xn_kernelILj128ELj3ELj64EfEEvi20rocsparse_direction_NS_24const_host_device_scalarIT2_EEPKiS6_PKS3_S8_S4_PS3_21rocsparse_index_base_b.num_vgpr, 22
	.set _ZN9rocsparseL19gebsrmvn_1xn_kernelILj128ELj3ELj64EfEEvi20rocsparse_direction_NS_24const_host_device_scalarIT2_EEPKiS6_PKS3_S8_S4_PS3_21rocsparse_index_base_b.num_agpr, 0
	.set _ZN9rocsparseL19gebsrmvn_1xn_kernelILj128ELj3ELj64EfEEvi20rocsparse_direction_NS_24const_host_device_scalarIT2_EEPKiS6_PKS3_S8_S4_PS3_21rocsparse_index_base_b.numbered_sgpr, 14
	.set _ZN9rocsparseL19gebsrmvn_1xn_kernelILj128ELj3ELj64EfEEvi20rocsparse_direction_NS_24const_host_device_scalarIT2_EEPKiS6_PKS3_S8_S4_PS3_21rocsparse_index_base_b.num_named_barrier, 0
	.set _ZN9rocsparseL19gebsrmvn_1xn_kernelILj128ELj3ELj64EfEEvi20rocsparse_direction_NS_24const_host_device_scalarIT2_EEPKiS6_PKS3_S8_S4_PS3_21rocsparse_index_base_b.private_seg_size, 0
	.set _ZN9rocsparseL19gebsrmvn_1xn_kernelILj128ELj3ELj64EfEEvi20rocsparse_direction_NS_24const_host_device_scalarIT2_EEPKiS6_PKS3_S8_S4_PS3_21rocsparse_index_base_b.uses_vcc, 1
	.set _ZN9rocsparseL19gebsrmvn_1xn_kernelILj128ELj3ELj64EfEEvi20rocsparse_direction_NS_24const_host_device_scalarIT2_EEPKiS6_PKS3_S8_S4_PS3_21rocsparse_index_base_b.uses_flat_scratch, 0
	.set _ZN9rocsparseL19gebsrmvn_1xn_kernelILj128ELj3ELj64EfEEvi20rocsparse_direction_NS_24const_host_device_scalarIT2_EEPKiS6_PKS3_S8_S4_PS3_21rocsparse_index_base_b.has_dyn_sized_stack, 0
	.set _ZN9rocsparseL19gebsrmvn_1xn_kernelILj128ELj3ELj64EfEEvi20rocsparse_direction_NS_24const_host_device_scalarIT2_EEPKiS6_PKS3_S8_S4_PS3_21rocsparse_index_base_b.has_recursion, 0
	.set _ZN9rocsparseL19gebsrmvn_1xn_kernelILj128ELj3ELj64EfEEvi20rocsparse_direction_NS_24const_host_device_scalarIT2_EEPKiS6_PKS3_S8_S4_PS3_21rocsparse_index_base_b.has_indirect_call, 0
	.section	.AMDGPU.csdata,"",@progbits
; Kernel info:
; codeLenInByte = 944
; TotalNumSgprs: 16
; NumVgprs: 22
; ScratchSize: 0
; MemoryBound: 0
; FloatMode: 240
; IeeeMode: 1
; LDSByteSize: 0 bytes/workgroup (compile time only)
; SGPRBlocks: 0
; VGPRBlocks: 2
; NumSGPRsForWavesPerEU: 16
; NumVGPRsForWavesPerEU: 22
; Occupancy: 16
; WaveLimiterHint : 1
; COMPUTE_PGM_RSRC2:SCRATCH_EN: 0
; COMPUTE_PGM_RSRC2:USER_SGPR: 6
; COMPUTE_PGM_RSRC2:TRAP_HANDLER: 0
; COMPUTE_PGM_RSRC2:TGID_X_EN: 1
; COMPUTE_PGM_RSRC2:TGID_Y_EN: 0
; COMPUTE_PGM_RSRC2:TGID_Z_EN: 0
; COMPUTE_PGM_RSRC2:TIDIG_COMP_CNT: 0
	.section	.text._ZN9rocsparseL19gebsrmvn_1xn_kernelILj128ELj4ELj4EfEEvi20rocsparse_direction_NS_24const_host_device_scalarIT2_EEPKiS6_PKS3_S8_S4_PS3_21rocsparse_index_base_b,"axG",@progbits,_ZN9rocsparseL19gebsrmvn_1xn_kernelILj128ELj4ELj4EfEEvi20rocsparse_direction_NS_24const_host_device_scalarIT2_EEPKiS6_PKS3_S8_S4_PS3_21rocsparse_index_base_b,comdat
	.globl	_ZN9rocsparseL19gebsrmvn_1xn_kernelILj128ELj4ELj4EfEEvi20rocsparse_direction_NS_24const_host_device_scalarIT2_EEPKiS6_PKS3_S8_S4_PS3_21rocsparse_index_base_b ; -- Begin function _ZN9rocsparseL19gebsrmvn_1xn_kernelILj128ELj4ELj4EfEEvi20rocsparse_direction_NS_24const_host_device_scalarIT2_EEPKiS6_PKS3_S8_S4_PS3_21rocsparse_index_base_b
	.p2align	8
	.type	_ZN9rocsparseL19gebsrmvn_1xn_kernelILj128ELj4ELj4EfEEvi20rocsparse_direction_NS_24const_host_device_scalarIT2_EEPKiS6_PKS3_S8_S4_PS3_21rocsparse_index_base_b,@function
_ZN9rocsparseL19gebsrmvn_1xn_kernelILj128ELj4ELj4EfEEvi20rocsparse_direction_NS_24const_host_device_scalarIT2_EEPKiS6_PKS3_S8_S4_PS3_21rocsparse_index_base_b: ; @_ZN9rocsparseL19gebsrmvn_1xn_kernelILj128ELj4ELj4EfEEvi20rocsparse_direction_NS_24const_host_device_scalarIT2_EEPKiS6_PKS3_S8_S4_PS3_21rocsparse_index_base_b
; %bb.0:
	s_clause 0x2
	s_load_dwordx2 s[12:13], s[4:5], 0x40
	s_load_dwordx2 s[10:11], s[4:5], 0x8
	;; [unrolled: 1-line block ×3, first 2 shown]
	s_waitcnt lgkmcnt(0)
	s_bitcmp1_b32 s13, 0
	s_cselect_b32 s0, -1, 0
	s_and_b32 vcc_lo, exec_lo, s0
	s_xor_b32 s0, s0, -1
	s_cbranch_vccnz .LBB10_2
; %bb.1:
	s_load_dword s10, s[10:11], 0x0
.LBB10_2:
	s_andn2_b32 vcc_lo, exec_lo, s0
	s_cbranch_vccnz .LBB10_4
; %bb.3:
	s_load_dword s8, s[8:9], 0x0
.LBB10_4:
	s_waitcnt lgkmcnt(0)
	v_cmp_eq_f32_e64 s0, s10, 0
	v_cmp_eq_f32_e64 s1, s8, 1.0
	s_and_b32 s0, s0, s1
	s_and_b32 vcc_lo, exec_lo, s0
	s_cbranch_vccnz .LBB10_15
; %bb.5:
	s_load_dword s0, s[4:5], 0x0
	v_lshrrev_b32_e32 v1, 2, v0
	v_lshl_or_b32 v1, s6, 5, v1
	s_waitcnt lgkmcnt(0)
	v_cmp_gt_i32_e32 vcc_lo, s0, v1
	s_and_saveexec_b32 s0, vcc_lo
	s_cbranch_execz .LBB10_15
; %bb.6:
	s_clause 0x1
	s_load_dwordx2 s[0:1], s[4:5], 0x10
	s_load_dwordx2 s[6:7], s[4:5], 0x38
	v_ashrrev_i32_e32 v2, 31, v1
	v_and_b32_e32 v0, 3, v0
	v_mov_b32_e32 v7, 0
	s_mov_b32 s9, exec_lo
	v_lshlrev_b64 v[1:2], 2, v[1:2]
	v_subrev_nc_u32_e32 v5, s12, v0
	s_waitcnt lgkmcnt(0)
	v_add_co_u32 v3, vcc_lo, s0, v1
	v_add_co_ci_u32_e64 v4, null, s1, v2, vcc_lo
	global_load_dwordx2 v[3:4], v[3:4], off
	s_waitcnt vmcnt(0)
	v_subrev_nc_u32_e32 v8, s12, v4
	v_add_nc_u32_e32 v3, v3, v5
	v_cmpx_lt_i32_e64 v3, v8
	s_cbranch_execz .LBB10_10
; %bb.7:
	s_clause 0x1
	s_load_dwordx4 s[0:3], s[4:5], 0x18
	s_load_dwordx2 s[4:5], s[4:5], 0x28
	v_mov_b32_e32 v6, 0
	v_lshlrev_b32_e32 v5, 2, v3
	s_mov_b32 s11, 0
	v_mov_b32_e32 v7, v6
	s_inst_prefetch 0x1
	.p2align	6
.LBB10_8:                               ; =>This Inner Loop Header: Depth=1
	v_ashrrev_i32_e32 v4, 31, v3
	v_mov_b32_e32 v12, v6
	v_lshlrev_b64 v[9:10], 2, v[3:4]
	v_add_nc_u32_e32 v3, 4, v3
	s_waitcnt lgkmcnt(0)
	v_add_co_u32 v9, vcc_lo, s0, v9
	v_add_co_ci_u32_e64 v10, null, s1, v10, vcc_lo
	global_load_dword v4, v[9:10], off
	v_lshlrev_b64 v[9:10], 2, v[5:6]
	v_add_nc_u32_e32 v5, 16, v5
	v_add_co_u32 v9, vcc_lo, s2, v9
	v_add_co_ci_u32_e64 v10, null, s3, v10, vcc_lo
	s_waitcnt vmcnt(0)
	v_subrev_nc_u32_e32 v4, s12, v4
	v_lshlrev_b32_e32 v11, 2, v4
	v_lshlrev_b64 v[11:12], 2, v[11:12]
	v_add_co_u32 v13, vcc_lo, s4, v11
	v_add_co_ci_u32_e64 v14, null, s5, v12, vcc_lo
	v_cmp_ge_i32_e32 vcc_lo, v3, v8
	global_load_dwordx4 v[9:12], v[9:10], off
	global_load_dwordx4 v[13:16], v[13:14], off
	s_or_b32 s11, vcc_lo, s11
	s_waitcnt vmcnt(0)
	v_fmac_f32_e32 v7, v9, v13
	v_fmac_f32_e32 v7, v10, v14
	;; [unrolled: 1-line block ×4, first 2 shown]
	s_andn2_b32 exec_lo, exec_lo, s11
	s_cbranch_execnz .LBB10_8
; %bb.9:
	s_inst_prefetch 0x2
	s_or_b32 exec_lo, exec_lo, s11
.LBB10_10:
	s_or_b32 exec_lo, exec_lo, s9
	v_mbcnt_lo_u32_b32 v3, -1, 0
	s_mov_b32 s0, -1
	v_xor_b32_e32 v4, 2, v3
	v_xor_b32_e32 v5, 1, v3
	v_cmp_gt_i32_e32 vcc_lo, 32, v4
	v_cndmask_b32_e32 v4, v3, v4, vcc_lo
	v_cmp_gt_i32_e32 vcc_lo, 32, v5
	v_lshlrev_b32_e32 v4, 2, v4
	v_cndmask_b32_e32 v5, v3, v5, vcc_lo
	v_cmp_eq_u32_e32 vcc_lo, 3, v0
	ds_bpermute_b32 v4, v4, v7
	s_waitcnt lgkmcnt(0)
	v_add_f32_e32 v3, v7, v4
	v_lshlrev_b32_e32 v4, 2, v5
	ds_bpermute_b32 v4, v4, v3
	s_and_b32 exec_lo, exec_lo, vcc_lo
	s_cbranch_execz .LBB10_15
; %bb.11:
	s_waitcnt lgkmcnt(0)
	v_add_f32_e32 v0, v3, v4
	v_cmp_eq_f32_e64 s1, s8, 0
	v_mul_f32_e32 v0, s10, v0
	s_and_b32 vcc_lo, exec_lo, s1
	s_cbranch_vccz .LBB10_13
; %bb.12:
	v_add_co_u32 v3, vcc_lo, s6, v1
	v_add_co_ci_u32_e64 v4, null, s7, v2, vcc_lo
	s_mov_b32 s0, 0
	global_store_dword v[3:4], v0, off
.LBB10_13:
	s_andn2_b32 vcc_lo, exec_lo, s0
	s_cbranch_vccnz .LBB10_15
; %bb.14:
	v_add_co_u32 v1, vcc_lo, s6, v1
	v_add_co_ci_u32_e64 v2, null, s7, v2, vcc_lo
	global_load_dword v3, v[1:2], off
	s_waitcnt vmcnt(0)
	v_fmac_f32_e32 v0, s8, v3
	global_store_dword v[1:2], v0, off
.LBB10_15:
	s_endpgm
	.section	.rodata,"a",@progbits
	.p2align	6, 0x0
	.amdhsa_kernel _ZN9rocsparseL19gebsrmvn_1xn_kernelILj128ELj4ELj4EfEEvi20rocsparse_direction_NS_24const_host_device_scalarIT2_EEPKiS6_PKS3_S8_S4_PS3_21rocsparse_index_base_b
		.amdhsa_group_segment_fixed_size 0
		.amdhsa_private_segment_fixed_size 0
		.amdhsa_kernarg_size 72
		.amdhsa_user_sgpr_count 6
		.amdhsa_user_sgpr_private_segment_buffer 1
		.amdhsa_user_sgpr_dispatch_ptr 0
		.amdhsa_user_sgpr_queue_ptr 0
		.amdhsa_user_sgpr_kernarg_segment_ptr 1
		.amdhsa_user_sgpr_dispatch_id 0
		.amdhsa_user_sgpr_flat_scratch_init 0
		.amdhsa_user_sgpr_private_segment_size 0
		.amdhsa_wavefront_size32 1
		.amdhsa_uses_dynamic_stack 0
		.amdhsa_system_sgpr_private_segment_wavefront_offset 0
		.amdhsa_system_sgpr_workgroup_id_x 1
		.amdhsa_system_sgpr_workgroup_id_y 0
		.amdhsa_system_sgpr_workgroup_id_z 0
		.amdhsa_system_sgpr_workgroup_info 0
		.amdhsa_system_vgpr_workitem_id 0
		.amdhsa_next_free_vgpr 17
		.amdhsa_next_free_sgpr 14
		.amdhsa_reserve_vcc 1
		.amdhsa_reserve_flat_scratch 0
		.amdhsa_float_round_mode_32 0
		.amdhsa_float_round_mode_16_64 0
		.amdhsa_float_denorm_mode_32 3
		.amdhsa_float_denorm_mode_16_64 3
		.amdhsa_dx10_clamp 1
		.amdhsa_ieee_mode 1
		.amdhsa_fp16_overflow 0
		.amdhsa_workgroup_processor_mode 1
		.amdhsa_memory_ordered 1
		.amdhsa_forward_progress 1
		.amdhsa_shared_vgpr_count 0
		.amdhsa_exception_fp_ieee_invalid_op 0
		.amdhsa_exception_fp_denorm_src 0
		.amdhsa_exception_fp_ieee_div_zero 0
		.amdhsa_exception_fp_ieee_overflow 0
		.amdhsa_exception_fp_ieee_underflow 0
		.amdhsa_exception_fp_ieee_inexact 0
		.amdhsa_exception_int_div_zero 0
	.end_amdhsa_kernel
	.section	.text._ZN9rocsparseL19gebsrmvn_1xn_kernelILj128ELj4ELj4EfEEvi20rocsparse_direction_NS_24const_host_device_scalarIT2_EEPKiS6_PKS3_S8_S4_PS3_21rocsparse_index_base_b,"axG",@progbits,_ZN9rocsparseL19gebsrmvn_1xn_kernelILj128ELj4ELj4EfEEvi20rocsparse_direction_NS_24const_host_device_scalarIT2_EEPKiS6_PKS3_S8_S4_PS3_21rocsparse_index_base_b,comdat
.Lfunc_end10:
	.size	_ZN9rocsparseL19gebsrmvn_1xn_kernelILj128ELj4ELj4EfEEvi20rocsparse_direction_NS_24const_host_device_scalarIT2_EEPKiS6_PKS3_S8_S4_PS3_21rocsparse_index_base_b, .Lfunc_end10-_ZN9rocsparseL19gebsrmvn_1xn_kernelILj128ELj4ELj4EfEEvi20rocsparse_direction_NS_24const_host_device_scalarIT2_EEPKiS6_PKS3_S8_S4_PS3_21rocsparse_index_base_b
                                        ; -- End function
	.set _ZN9rocsparseL19gebsrmvn_1xn_kernelILj128ELj4ELj4EfEEvi20rocsparse_direction_NS_24const_host_device_scalarIT2_EEPKiS6_PKS3_S8_S4_PS3_21rocsparse_index_base_b.num_vgpr, 17
	.set _ZN9rocsparseL19gebsrmvn_1xn_kernelILj128ELj4ELj4EfEEvi20rocsparse_direction_NS_24const_host_device_scalarIT2_EEPKiS6_PKS3_S8_S4_PS3_21rocsparse_index_base_b.num_agpr, 0
	.set _ZN9rocsparseL19gebsrmvn_1xn_kernelILj128ELj4ELj4EfEEvi20rocsparse_direction_NS_24const_host_device_scalarIT2_EEPKiS6_PKS3_S8_S4_PS3_21rocsparse_index_base_b.numbered_sgpr, 14
	.set _ZN9rocsparseL19gebsrmvn_1xn_kernelILj128ELj4ELj4EfEEvi20rocsparse_direction_NS_24const_host_device_scalarIT2_EEPKiS6_PKS3_S8_S4_PS3_21rocsparse_index_base_b.num_named_barrier, 0
	.set _ZN9rocsparseL19gebsrmvn_1xn_kernelILj128ELj4ELj4EfEEvi20rocsparse_direction_NS_24const_host_device_scalarIT2_EEPKiS6_PKS3_S8_S4_PS3_21rocsparse_index_base_b.private_seg_size, 0
	.set _ZN9rocsparseL19gebsrmvn_1xn_kernelILj128ELj4ELj4EfEEvi20rocsparse_direction_NS_24const_host_device_scalarIT2_EEPKiS6_PKS3_S8_S4_PS3_21rocsparse_index_base_b.uses_vcc, 1
	.set _ZN9rocsparseL19gebsrmvn_1xn_kernelILj128ELj4ELj4EfEEvi20rocsparse_direction_NS_24const_host_device_scalarIT2_EEPKiS6_PKS3_S8_S4_PS3_21rocsparse_index_base_b.uses_flat_scratch, 0
	.set _ZN9rocsparseL19gebsrmvn_1xn_kernelILj128ELj4ELj4EfEEvi20rocsparse_direction_NS_24const_host_device_scalarIT2_EEPKiS6_PKS3_S8_S4_PS3_21rocsparse_index_base_b.has_dyn_sized_stack, 0
	.set _ZN9rocsparseL19gebsrmvn_1xn_kernelILj128ELj4ELj4EfEEvi20rocsparse_direction_NS_24const_host_device_scalarIT2_EEPKiS6_PKS3_S8_S4_PS3_21rocsparse_index_base_b.has_recursion, 0
	.set _ZN9rocsparseL19gebsrmvn_1xn_kernelILj128ELj4ELj4EfEEvi20rocsparse_direction_NS_24const_host_device_scalarIT2_EEPKiS6_PKS3_S8_S4_PS3_21rocsparse_index_base_b.has_indirect_call, 0
	.section	.AMDGPU.csdata,"",@progbits
; Kernel info:
; codeLenInByte = 684
; TotalNumSgprs: 16
; NumVgprs: 17
; ScratchSize: 0
; MemoryBound: 0
; FloatMode: 240
; IeeeMode: 1
; LDSByteSize: 0 bytes/workgroup (compile time only)
; SGPRBlocks: 0
; VGPRBlocks: 2
; NumSGPRsForWavesPerEU: 16
; NumVGPRsForWavesPerEU: 17
; Occupancy: 16
; WaveLimiterHint : 1
; COMPUTE_PGM_RSRC2:SCRATCH_EN: 0
; COMPUTE_PGM_RSRC2:USER_SGPR: 6
; COMPUTE_PGM_RSRC2:TRAP_HANDLER: 0
; COMPUTE_PGM_RSRC2:TGID_X_EN: 1
; COMPUTE_PGM_RSRC2:TGID_Y_EN: 0
; COMPUTE_PGM_RSRC2:TGID_Z_EN: 0
; COMPUTE_PGM_RSRC2:TIDIG_COMP_CNT: 0
	.section	.text._ZN9rocsparseL19gebsrmvn_1xn_kernelILj128ELj4ELj8EfEEvi20rocsparse_direction_NS_24const_host_device_scalarIT2_EEPKiS6_PKS3_S8_S4_PS3_21rocsparse_index_base_b,"axG",@progbits,_ZN9rocsparseL19gebsrmvn_1xn_kernelILj128ELj4ELj8EfEEvi20rocsparse_direction_NS_24const_host_device_scalarIT2_EEPKiS6_PKS3_S8_S4_PS3_21rocsparse_index_base_b,comdat
	.globl	_ZN9rocsparseL19gebsrmvn_1xn_kernelILj128ELj4ELj8EfEEvi20rocsparse_direction_NS_24const_host_device_scalarIT2_EEPKiS6_PKS3_S8_S4_PS3_21rocsparse_index_base_b ; -- Begin function _ZN9rocsparseL19gebsrmvn_1xn_kernelILj128ELj4ELj8EfEEvi20rocsparse_direction_NS_24const_host_device_scalarIT2_EEPKiS6_PKS3_S8_S4_PS3_21rocsparse_index_base_b
	.p2align	8
	.type	_ZN9rocsparseL19gebsrmvn_1xn_kernelILj128ELj4ELj8EfEEvi20rocsparse_direction_NS_24const_host_device_scalarIT2_EEPKiS6_PKS3_S8_S4_PS3_21rocsparse_index_base_b,@function
_ZN9rocsparseL19gebsrmvn_1xn_kernelILj128ELj4ELj8EfEEvi20rocsparse_direction_NS_24const_host_device_scalarIT2_EEPKiS6_PKS3_S8_S4_PS3_21rocsparse_index_base_b: ; @_ZN9rocsparseL19gebsrmvn_1xn_kernelILj128ELj4ELj8EfEEvi20rocsparse_direction_NS_24const_host_device_scalarIT2_EEPKiS6_PKS3_S8_S4_PS3_21rocsparse_index_base_b
; %bb.0:
	s_clause 0x2
	s_load_dwordx2 s[12:13], s[4:5], 0x40
	s_load_dwordx2 s[10:11], s[4:5], 0x8
	;; [unrolled: 1-line block ×3, first 2 shown]
	s_waitcnt lgkmcnt(0)
	s_bitcmp1_b32 s13, 0
	s_cselect_b32 s0, -1, 0
	s_and_b32 vcc_lo, exec_lo, s0
	s_xor_b32 s0, s0, -1
	s_cbranch_vccnz .LBB11_2
; %bb.1:
	s_load_dword s10, s[10:11], 0x0
.LBB11_2:
	s_andn2_b32 vcc_lo, exec_lo, s0
	s_cbranch_vccnz .LBB11_4
; %bb.3:
	s_load_dword s8, s[8:9], 0x0
.LBB11_4:
	s_waitcnt lgkmcnt(0)
	v_cmp_eq_f32_e64 s0, s10, 0
	v_cmp_eq_f32_e64 s1, s8, 1.0
	s_and_b32 s0, s0, s1
	s_and_b32 vcc_lo, exec_lo, s0
	s_cbranch_vccnz .LBB11_15
; %bb.5:
	s_load_dword s0, s[4:5], 0x0
	v_lshrrev_b32_e32 v1, 3, v0
	v_lshl_or_b32 v1, s6, 4, v1
	s_waitcnt lgkmcnt(0)
	v_cmp_gt_i32_e32 vcc_lo, s0, v1
	s_and_saveexec_b32 s0, vcc_lo
	s_cbranch_execz .LBB11_15
; %bb.6:
	s_clause 0x1
	s_load_dwordx2 s[0:1], s[4:5], 0x10
	s_load_dwordx2 s[6:7], s[4:5], 0x38
	v_ashrrev_i32_e32 v2, 31, v1
	v_and_b32_e32 v0, 7, v0
	v_mov_b32_e32 v7, 0
	s_mov_b32 s9, exec_lo
	v_lshlrev_b64 v[1:2], 2, v[1:2]
	v_subrev_nc_u32_e32 v5, s12, v0
	s_waitcnt lgkmcnt(0)
	v_add_co_u32 v3, vcc_lo, s0, v1
	v_add_co_ci_u32_e64 v4, null, s1, v2, vcc_lo
	global_load_dwordx2 v[3:4], v[3:4], off
	s_waitcnt vmcnt(0)
	v_subrev_nc_u32_e32 v8, s12, v4
	v_add_nc_u32_e32 v3, v3, v5
	v_cmpx_lt_i32_e64 v3, v8
	s_cbranch_execz .LBB11_10
; %bb.7:
	s_clause 0x1
	s_load_dwordx4 s[0:3], s[4:5], 0x18
	s_load_dwordx2 s[4:5], s[4:5], 0x28
	v_mov_b32_e32 v6, 0
	v_lshlrev_b32_e32 v5, 2, v3
	s_mov_b32 s11, 0
	v_mov_b32_e32 v7, v6
	s_inst_prefetch 0x1
	.p2align	6
.LBB11_8:                               ; =>This Inner Loop Header: Depth=1
	v_ashrrev_i32_e32 v4, 31, v3
	v_mov_b32_e32 v12, v6
	v_lshlrev_b64 v[9:10], 2, v[3:4]
	v_add_nc_u32_e32 v3, 8, v3
	s_waitcnt lgkmcnt(0)
	v_add_co_u32 v9, vcc_lo, s0, v9
	v_add_co_ci_u32_e64 v10, null, s1, v10, vcc_lo
	global_load_dword v4, v[9:10], off
	v_lshlrev_b64 v[9:10], 2, v[5:6]
	v_add_nc_u32_e32 v5, 32, v5
	v_add_co_u32 v9, vcc_lo, s2, v9
	v_add_co_ci_u32_e64 v10, null, s3, v10, vcc_lo
	s_waitcnt vmcnt(0)
	v_subrev_nc_u32_e32 v4, s12, v4
	v_lshlrev_b32_e32 v11, 2, v4
	v_lshlrev_b64 v[11:12], 2, v[11:12]
	v_add_co_u32 v13, vcc_lo, s4, v11
	v_add_co_ci_u32_e64 v14, null, s5, v12, vcc_lo
	v_cmp_ge_i32_e32 vcc_lo, v3, v8
	global_load_dwordx4 v[9:12], v[9:10], off
	global_load_dwordx4 v[13:16], v[13:14], off
	s_or_b32 s11, vcc_lo, s11
	s_waitcnt vmcnt(0)
	v_fmac_f32_e32 v7, v9, v13
	v_fmac_f32_e32 v7, v10, v14
	;; [unrolled: 1-line block ×4, first 2 shown]
	s_andn2_b32 exec_lo, exec_lo, s11
	s_cbranch_execnz .LBB11_8
; %bb.9:
	s_inst_prefetch 0x2
	s_or_b32 exec_lo, exec_lo, s11
.LBB11_10:
	s_or_b32 exec_lo, exec_lo, s9
	v_mbcnt_lo_u32_b32 v3, -1, 0
	s_mov_b32 s0, -1
	v_xor_b32_e32 v4, 4, v3
	v_xor_b32_e32 v5, 2, v3
	v_xor_b32_e32 v6, 1, v3
	v_cmp_gt_i32_e32 vcc_lo, 32, v4
	v_cndmask_b32_e32 v4, v3, v4, vcc_lo
	v_cmp_gt_i32_e32 vcc_lo, 32, v5
	v_lshlrev_b32_e32 v4, 2, v4
	v_cndmask_b32_e32 v5, v3, v5, vcc_lo
	v_cmp_gt_i32_e32 vcc_lo, 32, v6
	ds_bpermute_b32 v4, v4, v7
	v_lshlrev_b32_e32 v5, 2, v5
	v_cndmask_b32_e32 v6, v3, v6, vcc_lo
	v_cmp_eq_u32_e32 vcc_lo, 7, v0
	s_waitcnt lgkmcnt(0)
	v_add_f32_e32 v4, v7, v4
	ds_bpermute_b32 v5, v5, v4
	s_waitcnt lgkmcnt(0)
	v_add_f32_e32 v3, v4, v5
	v_lshlrev_b32_e32 v4, 2, v6
	ds_bpermute_b32 v4, v4, v3
	s_and_b32 exec_lo, exec_lo, vcc_lo
	s_cbranch_execz .LBB11_15
; %bb.11:
	s_waitcnt lgkmcnt(0)
	v_add_f32_e32 v0, v3, v4
	v_cmp_eq_f32_e64 s1, s8, 0
	v_mul_f32_e32 v0, s10, v0
	s_and_b32 vcc_lo, exec_lo, s1
	s_cbranch_vccz .LBB11_13
; %bb.12:
	v_add_co_u32 v3, vcc_lo, s6, v1
	v_add_co_ci_u32_e64 v4, null, s7, v2, vcc_lo
	s_mov_b32 s0, 0
	global_store_dword v[3:4], v0, off
.LBB11_13:
	s_andn2_b32 vcc_lo, exec_lo, s0
	s_cbranch_vccnz .LBB11_15
; %bb.14:
	v_add_co_u32 v1, vcc_lo, s6, v1
	v_add_co_ci_u32_e64 v2, null, s7, v2, vcc_lo
	global_load_dword v3, v[1:2], off
	s_waitcnt vmcnt(0)
	v_fmac_f32_e32 v0, s8, v3
	global_store_dword v[1:2], v0, off
.LBB11_15:
	s_endpgm
	.section	.rodata,"a",@progbits
	.p2align	6, 0x0
	.amdhsa_kernel _ZN9rocsparseL19gebsrmvn_1xn_kernelILj128ELj4ELj8EfEEvi20rocsparse_direction_NS_24const_host_device_scalarIT2_EEPKiS6_PKS3_S8_S4_PS3_21rocsparse_index_base_b
		.amdhsa_group_segment_fixed_size 0
		.amdhsa_private_segment_fixed_size 0
		.amdhsa_kernarg_size 72
		.amdhsa_user_sgpr_count 6
		.amdhsa_user_sgpr_private_segment_buffer 1
		.amdhsa_user_sgpr_dispatch_ptr 0
		.amdhsa_user_sgpr_queue_ptr 0
		.amdhsa_user_sgpr_kernarg_segment_ptr 1
		.amdhsa_user_sgpr_dispatch_id 0
		.amdhsa_user_sgpr_flat_scratch_init 0
		.amdhsa_user_sgpr_private_segment_size 0
		.amdhsa_wavefront_size32 1
		.amdhsa_uses_dynamic_stack 0
		.amdhsa_system_sgpr_private_segment_wavefront_offset 0
		.amdhsa_system_sgpr_workgroup_id_x 1
		.amdhsa_system_sgpr_workgroup_id_y 0
		.amdhsa_system_sgpr_workgroup_id_z 0
		.amdhsa_system_sgpr_workgroup_info 0
		.amdhsa_system_vgpr_workitem_id 0
		.amdhsa_next_free_vgpr 17
		.amdhsa_next_free_sgpr 14
		.amdhsa_reserve_vcc 1
		.amdhsa_reserve_flat_scratch 0
		.amdhsa_float_round_mode_32 0
		.amdhsa_float_round_mode_16_64 0
		.amdhsa_float_denorm_mode_32 3
		.amdhsa_float_denorm_mode_16_64 3
		.amdhsa_dx10_clamp 1
		.amdhsa_ieee_mode 1
		.amdhsa_fp16_overflow 0
		.amdhsa_workgroup_processor_mode 1
		.amdhsa_memory_ordered 1
		.amdhsa_forward_progress 1
		.amdhsa_shared_vgpr_count 0
		.amdhsa_exception_fp_ieee_invalid_op 0
		.amdhsa_exception_fp_denorm_src 0
		.amdhsa_exception_fp_ieee_div_zero 0
		.amdhsa_exception_fp_ieee_overflow 0
		.amdhsa_exception_fp_ieee_underflow 0
		.amdhsa_exception_fp_ieee_inexact 0
		.amdhsa_exception_int_div_zero 0
	.end_amdhsa_kernel
	.section	.text._ZN9rocsparseL19gebsrmvn_1xn_kernelILj128ELj4ELj8EfEEvi20rocsparse_direction_NS_24const_host_device_scalarIT2_EEPKiS6_PKS3_S8_S4_PS3_21rocsparse_index_base_b,"axG",@progbits,_ZN9rocsparseL19gebsrmvn_1xn_kernelILj128ELj4ELj8EfEEvi20rocsparse_direction_NS_24const_host_device_scalarIT2_EEPKiS6_PKS3_S8_S4_PS3_21rocsparse_index_base_b,comdat
.Lfunc_end11:
	.size	_ZN9rocsparseL19gebsrmvn_1xn_kernelILj128ELj4ELj8EfEEvi20rocsparse_direction_NS_24const_host_device_scalarIT2_EEPKiS6_PKS3_S8_S4_PS3_21rocsparse_index_base_b, .Lfunc_end11-_ZN9rocsparseL19gebsrmvn_1xn_kernelILj128ELj4ELj8EfEEvi20rocsparse_direction_NS_24const_host_device_scalarIT2_EEPKiS6_PKS3_S8_S4_PS3_21rocsparse_index_base_b
                                        ; -- End function
	.set _ZN9rocsparseL19gebsrmvn_1xn_kernelILj128ELj4ELj8EfEEvi20rocsparse_direction_NS_24const_host_device_scalarIT2_EEPKiS6_PKS3_S8_S4_PS3_21rocsparse_index_base_b.num_vgpr, 17
	.set _ZN9rocsparseL19gebsrmvn_1xn_kernelILj128ELj4ELj8EfEEvi20rocsparse_direction_NS_24const_host_device_scalarIT2_EEPKiS6_PKS3_S8_S4_PS3_21rocsparse_index_base_b.num_agpr, 0
	.set _ZN9rocsparseL19gebsrmvn_1xn_kernelILj128ELj4ELj8EfEEvi20rocsparse_direction_NS_24const_host_device_scalarIT2_EEPKiS6_PKS3_S8_S4_PS3_21rocsparse_index_base_b.numbered_sgpr, 14
	.set _ZN9rocsparseL19gebsrmvn_1xn_kernelILj128ELj4ELj8EfEEvi20rocsparse_direction_NS_24const_host_device_scalarIT2_EEPKiS6_PKS3_S8_S4_PS3_21rocsparse_index_base_b.num_named_barrier, 0
	.set _ZN9rocsparseL19gebsrmvn_1xn_kernelILj128ELj4ELj8EfEEvi20rocsparse_direction_NS_24const_host_device_scalarIT2_EEPKiS6_PKS3_S8_S4_PS3_21rocsparse_index_base_b.private_seg_size, 0
	.set _ZN9rocsparseL19gebsrmvn_1xn_kernelILj128ELj4ELj8EfEEvi20rocsparse_direction_NS_24const_host_device_scalarIT2_EEPKiS6_PKS3_S8_S4_PS3_21rocsparse_index_base_b.uses_vcc, 1
	.set _ZN9rocsparseL19gebsrmvn_1xn_kernelILj128ELj4ELj8EfEEvi20rocsparse_direction_NS_24const_host_device_scalarIT2_EEPKiS6_PKS3_S8_S4_PS3_21rocsparse_index_base_b.uses_flat_scratch, 0
	.set _ZN9rocsparseL19gebsrmvn_1xn_kernelILj128ELj4ELj8EfEEvi20rocsparse_direction_NS_24const_host_device_scalarIT2_EEPKiS6_PKS3_S8_S4_PS3_21rocsparse_index_base_b.has_dyn_sized_stack, 0
	.set _ZN9rocsparseL19gebsrmvn_1xn_kernelILj128ELj4ELj8EfEEvi20rocsparse_direction_NS_24const_host_device_scalarIT2_EEPKiS6_PKS3_S8_S4_PS3_21rocsparse_index_base_b.has_recursion, 0
	.set _ZN9rocsparseL19gebsrmvn_1xn_kernelILj128ELj4ELj8EfEEvi20rocsparse_direction_NS_24const_host_device_scalarIT2_EEPKiS6_PKS3_S8_S4_PS3_21rocsparse_index_base_b.has_indirect_call, 0
	.section	.AMDGPU.csdata,"",@progbits
; Kernel info:
; codeLenInByte = 716
; TotalNumSgprs: 16
; NumVgprs: 17
; ScratchSize: 0
; MemoryBound: 0
; FloatMode: 240
; IeeeMode: 1
; LDSByteSize: 0 bytes/workgroup (compile time only)
; SGPRBlocks: 0
; VGPRBlocks: 2
; NumSGPRsForWavesPerEU: 16
; NumVGPRsForWavesPerEU: 17
; Occupancy: 16
; WaveLimiterHint : 1
; COMPUTE_PGM_RSRC2:SCRATCH_EN: 0
; COMPUTE_PGM_RSRC2:USER_SGPR: 6
; COMPUTE_PGM_RSRC2:TRAP_HANDLER: 0
; COMPUTE_PGM_RSRC2:TGID_X_EN: 1
; COMPUTE_PGM_RSRC2:TGID_Y_EN: 0
; COMPUTE_PGM_RSRC2:TGID_Z_EN: 0
; COMPUTE_PGM_RSRC2:TIDIG_COMP_CNT: 0
	.section	.text._ZN9rocsparseL19gebsrmvn_1xn_kernelILj128ELj4ELj16EfEEvi20rocsparse_direction_NS_24const_host_device_scalarIT2_EEPKiS6_PKS3_S8_S4_PS3_21rocsparse_index_base_b,"axG",@progbits,_ZN9rocsparseL19gebsrmvn_1xn_kernelILj128ELj4ELj16EfEEvi20rocsparse_direction_NS_24const_host_device_scalarIT2_EEPKiS6_PKS3_S8_S4_PS3_21rocsparse_index_base_b,comdat
	.globl	_ZN9rocsparseL19gebsrmvn_1xn_kernelILj128ELj4ELj16EfEEvi20rocsparse_direction_NS_24const_host_device_scalarIT2_EEPKiS6_PKS3_S8_S4_PS3_21rocsparse_index_base_b ; -- Begin function _ZN9rocsparseL19gebsrmvn_1xn_kernelILj128ELj4ELj16EfEEvi20rocsparse_direction_NS_24const_host_device_scalarIT2_EEPKiS6_PKS3_S8_S4_PS3_21rocsparse_index_base_b
	.p2align	8
	.type	_ZN9rocsparseL19gebsrmvn_1xn_kernelILj128ELj4ELj16EfEEvi20rocsparse_direction_NS_24const_host_device_scalarIT2_EEPKiS6_PKS3_S8_S4_PS3_21rocsparse_index_base_b,@function
_ZN9rocsparseL19gebsrmvn_1xn_kernelILj128ELj4ELj16EfEEvi20rocsparse_direction_NS_24const_host_device_scalarIT2_EEPKiS6_PKS3_S8_S4_PS3_21rocsparse_index_base_b: ; @_ZN9rocsparseL19gebsrmvn_1xn_kernelILj128ELj4ELj16EfEEvi20rocsparse_direction_NS_24const_host_device_scalarIT2_EEPKiS6_PKS3_S8_S4_PS3_21rocsparse_index_base_b
; %bb.0:
	s_clause 0x2
	s_load_dwordx2 s[12:13], s[4:5], 0x40
	s_load_dwordx2 s[10:11], s[4:5], 0x8
	;; [unrolled: 1-line block ×3, first 2 shown]
	s_waitcnt lgkmcnt(0)
	s_bitcmp1_b32 s13, 0
	s_cselect_b32 s0, -1, 0
	s_and_b32 vcc_lo, exec_lo, s0
	s_xor_b32 s0, s0, -1
	s_cbranch_vccnz .LBB12_2
; %bb.1:
	s_load_dword s10, s[10:11], 0x0
.LBB12_2:
	s_andn2_b32 vcc_lo, exec_lo, s0
	s_cbranch_vccnz .LBB12_4
; %bb.3:
	s_load_dword s8, s[8:9], 0x0
.LBB12_4:
	s_waitcnt lgkmcnt(0)
	v_cmp_eq_f32_e64 s0, s10, 0
	v_cmp_eq_f32_e64 s1, s8, 1.0
	s_and_b32 s0, s0, s1
	s_and_b32 vcc_lo, exec_lo, s0
	s_cbranch_vccnz .LBB12_15
; %bb.5:
	s_load_dword s0, s[4:5], 0x0
	v_lshrrev_b32_e32 v1, 4, v0
	v_lshl_or_b32 v1, s6, 3, v1
	s_waitcnt lgkmcnt(0)
	v_cmp_gt_i32_e32 vcc_lo, s0, v1
	s_and_saveexec_b32 s0, vcc_lo
	s_cbranch_execz .LBB12_15
; %bb.6:
	s_clause 0x1
	s_load_dwordx2 s[0:1], s[4:5], 0x10
	s_load_dwordx2 s[6:7], s[4:5], 0x38
	v_ashrrev_i32_e32 v2, 31, v1
	v_and_b32_e32 v0, 15, v0
	v_mov_b32_e32 v7, 0
	s_mov_b32 s9, exec_lo
	v_lshlrev_b64 v[1:2], 2, v[1:2]
	v_subrev_nc_u32_e32 v5, s12, v0
	s_waitcnt lgkmcnt(0)
	v_add_co_u32 v3, vcc_lo, s0, v1
	v_add_co_ci_u32_e64 v4, null, s1, v2, vcc_lo
	global_load_dwordx2 v[3:4], v[3:4], off
	s_waitcnt vmcnt(0)
	v_subrev_nc_u32_e32 v8, s12, v4
	v_add_nc_u32_e32 v3, v3, v5
	v_cmpx_lt_i32_e64 v3, v8
	s_cbranch_execz .LBB12_10
; %bb.7:
	s_clause 0x1
	s_load_dwordx4 s[0:3], s[4:5], 0x18
	s_load_dwordx2 s[4:5], s[4:5], 0x28
	v_mov_b32_e32 v6, 0
	v_lshlrev_b32_e32 v5, 2, v3
	s_mov_b32 s11, 0
	v_mov_b32_e32 v7, v6
	s_inst_prefetch 0x1
	.p2align	6
.LBB12_8:                               ; =>This Inner Loop Header: Depth=1
	v_ashrrev_i32_e32 v4, 31, v3
	v_mov_b32_e32 v12, v6
	v_lshlrev_b64 v[9:10], 2, v[3:4]
	v_add_nc_u32_e32 v3, 16, v3
	s_waitcnt lgkmcnt(0)
	v_add_co_u32 v9, vcc_lo, s0, v9
	v_add_co_ci_u32_e64 v10, null, s1, v10, vcc_lo
	global_load_dword v4, v[9:10], off
	v_lshlrev_b64 v[9:10], 2, v[5:6]
	v_add_nc_u32_e32 v5, 64, v5
	v_add_co_u32 v9, vcc_lo, s2, v9
	v_add_co_ci_u32_e64 v10, null, s3, v10, vcc_lo
	s_waitcnt vmcnt(0)
	v_subrev_nc_u32_e32 v4, s12, v4
	v_lshlrev_b32_e32 v11, 2, v4
	v_lshlrev_b64 v[11:12], 2, v[11:12]
	v_add_co_u32 v13, vcc_lo, s4, v11
	v_add_co_ci_u32_e64 v14, null, s5, v12, vcc_lo
	v_cmp_ge_i32_e32 vcc_lo, v3, v8
	global_load_dwordx4 v[9:12], v[9:10], off
	global_load_dwordx4 v[13:16], v[13:14], off
	s_or_b32 s11, vcc_lo, s11
	s_waitcnt vmcnt(0)
	v_fmac_f32_e32 v7, v9, v13
	v_fmac_f32_e32 v7, v10, v14
	;; [unrolled: 1-line block ×4, first 2 shown]
	s_andn2_b32 exec_lo, exec_lo, s11
	s_cbranch_execnz .LBB12_8
; %bb.9:
	s_inst_prefetch 0x2
	s_or_b32 exec_lo, exec_lo, s11
.LBB12_10:
	s_or_b32 exec_lo, exec_lo, s9
	v_mbcnt_lo_u32_b32 v3, -1, 0
	s_mov_b32 s0, -1
	v_xor_b32_e32 v4, 8, v3
	v_xor_b32_e32 v5, 4, v3
	;; [unrolled: 1-line block ×3, first 2 shown]
	v_cmp_gt_i32_e32 vcc_lo, 32, v4
	v_cndmask_b32_e32 v4, v3, v4, vcc_lo
	v_cmp_gt_i32_e32 vcc_lo, 32, v5
	v_lshlrev_b32_e32 v4, 2, v4
	v_cndmask_b32_e32 v5, v3, v5, vcc_lo
	v_cmp_gt_i32_e32 vcc_lo, 32, v6
	ds_bpermute_b32 v4, v4, v7
	v_lshlrev_b32_e32 v5, 2, v5
	v_cndmask_b32_e32 v6, v3, v6, vcc_lo
	v_lshlrev_b32_e32 v6, 2, v6
	s_waitcnt lgkmcnt(0)
	v_add_f32_e32 v4, v7, v4
	ds_bpermute_b32 v5, v5, v4
	s_waitcnt lgkmcnt(0)
	v_add_f32_e32 v4, v4, v5
	ds_bpermute_b32 v5, v6, v4
	v_xor_b32_e32 v6, 1, v3
	v_cmp_gt_i32_e32 vcc_lo, 32, v6
	v_cndmask_b32_e32 v6, v3, v6, vcc_lo
	v_cmp_eq_u32_e32 vcc_lo, 15, v0
	s_waitcnt lgkmcnt(0)
	v_add_f32_e32 v3, v4, v5
	v_lshlrev_b32_e32 v4, 2, v6
	ds_bpermute_b32 v4, v4, v3
	s_and_b32 exec_lo, exec_lo, vcc_lo
	s_cbranch_execz .LBB12_15
; %bb.11:
	s_waitcnt lgkmcnt(0)
	v_add_f32_e32 v0, v3, v4
	v_cmp_eq_f32_e64 s1, s8, 0
	v_mul_f32_e32 v0, s10, v0
	s_and_b32 vcc_lo, exec_lo, s1
	s_cbranch_vccz .LBB12_13
; %bb.12:
	v_add_co_u32 v3, vcc_lo, s6, v1
	v_add_co_ci_u32_e64 v4, null, s7, v2, vcc_lo
	s_mov_b32 s0, 0
	global_store_dword v[3:4], v0, off
.LBB12_13:
	s_andn2_b32 vcc_lo, exec_lo, s0
	s_cbranch_vccnz .LBB12_15
; %bb.14:
	v_add_co_u32 v1, vcc_lo, s6, v1
	v_add_co_ci_u32_e64 v2, null, s7, v2, vcc_lo
	global_load_dword v3, v[1:2], off
	s_waitcnt vmcnt(0)
	v_fmac_f32_e32 v0, s8, v3
	global_store_dword v[1:2], v0, off
.LBB12_15:
	s_endpgm
	.section	.rodata,"a",@progbits
	.p2align	6, 0x0
	.amdhsa_kernel _ZN9rocsparseL19gebsrmvn_1xn_kernelILj128ELj4ELj16EfEEvi20rocsparse_direction_NS_24const_host_device_scalarIT2_EEPKiS6_PKS3_S8_S4_PS3_21rocsparse_index_base_b
		.amdhsa_group_segment_fixed_size 0
		.amdhsa_private_segment_fixed_size 0
		.amdhsa_kernarg_size 72
		.amdhsa_user_sgpr_count 6
		.amdhsa_user_sgpr_private_segment_buffer 1
		.amdhsa_user_sgpr_dispatch_ptr 0
		.amdhsa_user_sgpr_queue_ptr 0
		.amdhsa_user_sgpr_kernarg_segment_ptr 1
		.amdhsa_user_sgpr_dispatch_id 0
		.amdhsa_user_sgpr_flat_scratch_init 0
		.amdhsa_user_sgpr_private_segment_size 0
		.amdhsa_wavefront_size32 1
		.amdhsa_uses_dynamic_stack 0
		.amdhsa_system_sgpr_private_segment_wavefront_offset 0
		.amdhsa_system_sgpr_workgroup_id_x 1
		.amdhsa_system_sgpr_workgroup_id_y 0
		.amdhsa_system_sgpr_workgroup_id_z 0
		.amdhsa_system_sgpr_workgroup_info 0
		.amdhsa_system_vgpr_workitem_id 0
		.amdhsa_next_free_vgpr 17
		.amdhsa_next_free_sgpr 14
		.amdhsa_reserve_vcc 1
		.amdhsa_reserve_flat_scratch 0
		.amdhsa_float_round_mode_32 0
		.amdhsa_float_round_mode_16_64 0
		.amdhsa_float_denorm_mode_32 3
		.amdhsa_float_denorm_mode_16_64 3
		.amdhsa_dx10_clamp 1
		.amdhsa_ieee_mode 1
		.amdhsa_fp16_overflow 0
		.amdhsa_workgroup_processor_mode 1
		.amdhsa_memory_ordered 1
		.amdhsa_forward_progress 1
		.amdhsa_shared_vgpr_count 0
		.amdhsa_exception_fp_ieee_invalid_op 0
		.amdhsa_exception_fp_denorm_src 0
		.amdhsa_exception_fp_ieee_div_zero 0
		.amdhsa_exception_fp_ieee_overflow 0
		.amdhsa_exception_fp_ieee_underflow 0
		.amdhsa_exception_fp_ieee_inexact 0
		.amdhsa_exception_int_div_zero 0
	.end_amdhsa_kernel
	.section	.text._ZN9rocsparseL19gebsrmvn_1xn_kernelILj128ELj4ELj16EfEEvi20rocsparse_direction_NS_24const_host_device_scalarIT2_EEPKiS6_PKS3_S8_S4_PS3_21rocsparse_index_base_b,"axG",@progbits,_ZN9rocsparseL19gebsrmvn_1xn_kernelILj128ELj4ELj16EfEEvi20rocsparse_direction_NS_24const_host_device_scalarIT2_EEPKiS6_PKS3_S8_S4_PS3_21rocsparse_index_base_b,comdat
.Lfunc_end12:
	.size	_ZN9rocsparseL19gebsrmvn_1xn_kernelILj128ELj4ELj16EfEEvi20rocsparse_direction_NS_24const_host_device_scalarIT2_EEPKiS6_PKS3_S8_S4_PS3_21rocsparse_index_base_b, .Lfunc_end12-_ZN9rocsparseL19gebsrmvn_1xn_kernelILj128ELj4ELj16EfEEvi20rocsparse_direction_NS_24const_host_device_scalarIT2_EEPKiS6_PKS3_S8_S4_PS3_21rocsparse_index_base_b
                                        ; -- End function
	.set _ZN9rocsparseL19gebsrmvn_1xn_kernelILj128ELj4ELj16EfEEvi20rocsparse_direction_NS_24const_host_device_scalarIT2_EEPKiS6_PKS3_S8_S4_PS3_21rocsparse_index_base_b.num_vgpr, 17
	.set _ZN9rocsparseL19gebsrmvn_1xn_kernelILj128ELj4ELj16EfEEvi20rocsparse_direction_NS_24const_host_device_scalarIT2_EEPKiS6_PKS3_S8_S4_PS3_21rocsparse_index_base_b.num_agpr, 0
	.set _ZN9rocsparseL19gebsrmvn_1xn_kernelILj128ELj4ELj16EfEEvi20rocsparse_direction_NS_24const_host_device_scalarIT2_EEPKiS6_PKS3_S8_S4_PS3_21rocsparse_index_base_b.numbered_sgpr, 14
	.set _ZN9rocsparseL19gebsrmvn_1xn_kernelILj128ELj4ELj16EfEEvi20rocsparse_direction_NS_24const_host_device_scalarIT2_EEPKiS6_PKS3_S8_S4_PS3_21rocsparse_index_base_b.num_named_barrier, 0
	.set _ZN9rocsparseL19gebsrmvn_1xn_kernelILj128ELj4ELj16EfEEvi20rocsparse_direction_NS_24const_host_device_scalarIT2_EEPKiS6_PKS3_S8_S4_PS3_21rocsparse_index_base_b.private_seg_size, 0
	.set _ZN9rocsparseL19gebsrmvn_1xn_kernelILj128ELj4ELj16EfEEvi20rocsparse_direction_NS_24const_host_device_scalarIT2_EEPKiS6_PKS3_S8_S4_PS3_21rocsparse_index_base_b.uses_vcc, 1
	.set _ZN9rocsparseL19gebsrmvn_1xn_kernelILj128ELj4ELj16EfEEvi20rocsparse_direction_NS_24const_host_device_scalarIT2_EEPKiS6_PKS3_S8_S4_PS3_21rocsparse_index_base_b.uses_flat_scratch, 0
	.set _ZN9rocsparseL19gebsrmvn_1xn_kernelILj128ELj4ELj16EfEEvi20rocsparse_direction_NS_24const_host_device_scalarIT2_EEPKiS6_PKS3_S8_S4_PS3_21rocsparse_index_base_b.has_dyn_sized_stack, 0
	.set _ZN9rocsparseL19gebsrmvn_1xn_kernelILj128ELj4ELj16EfEEvi20rocsparse_direction_NS_24const_host_device_scalarIT2_EEPKiS6_PKS3_S8_S4_PS3_21rocsparse_index_base_b.has_recursion, 0
	.set _ZN9rocsparseL19gebsrmvn_1xn_kernelILj128ELj4ELj16EfEEvi20rocsparse_direction_NS_24const_host_device_scalarIT2_EEPKiS6_PKS3_S8_S4_PS3_21rocsparse_index_base_b.has_indirect_call, 0
	.section	.AMDGPU.csdata,"",@progbits
; Kernel info:
; codeLenInByte = 748
; TotalNumSgprs: 16
; NumVgprs: 17
; ScratchSize: 0
; MemoryBound: 0
; FloatMode: 240
; IeeeMode: 1
; LDSByteSize: 0 bytes/workgroup (compile time only)
; SGPRBlocks: 0
; VGPRBlocks: 2
; NumSGPRsForWavesPerEU: 16
; NumVGPRsForWavesPerEU: 17
; Occupancy: 16
; WaveLimiterHint : 1
; COMPUTE_PGM_RSRC2:SCRATCH_EN: 0
; COMPUTE_PGM_RSRC2:USER_SGPR: 6
; COMPUTE_PGM_RSRC2:TRAP_HANDLER: 0
; COMPUTE_PGM_RSRC2:TGID_X_EN: 1
; COMPUTE_PGM_RSRC2:TGID_Y_EN: 0
; COMPUTE_PGM_RSRC2:TGID_Z_EN: 0
; COMPUTE_PGM_RSRC2:TIDIG_COMP_CNT: 0
	.section	.text._ZN9rocsparseL19gebsrmvn_1xn_kernelILj128ELj4ELj32EfEEvi20rocsparse_direction_NS_24const_host_device_scalarIT2_EEPKiS6_PKS3_S8_S4_PS3_21rocsparse_index_base_b,"axG",@progbits,_ZN9rocsparseL19gebsrmvn_1xn_kernelILj128ELj4ELj32EfEEvi20rocsparse_direction_NS_24const_host_device_scalarIT2_EEPKiS6_PKS3_S8_S4_PS3_21rocsparse_index_base_b,comdat
	.globl	_ZN9rocsparseL19gebsrmvn_1xn_kernelILj128ELj4ELj32EfEEvi20rocsparse_direction_NS_24const_host_device_scalarIT2_EEPKiS6_PKS3_S8_S4_PS3_21rocsparse_index_base_b ; -- Begin function _ZN9rocsparseL19gebsrmvn_1xn_kernelILj128ELj4ELj32EfEEvi20rocsparse_direction_NS_24const_host_device_scalarIT2_EEPKiS6_PKS3_S8_S4_PS3_21rocsparse_index_base_b
	.p2align	8
	.type	_ZN9rocsparseL19gebsrmvn_1xn_kernelILj128ELj4ELj32EfEEvi20rocsparse_direction_NS_24const_host_device_scalarIT2_EEPKiS6_PKS3_S8_S4_PS3_21rocsparse_index_base_b,@function
_ZN9rocsparseL19gebsrmvn_1xn_kernelILj128ELj4ELj32EfEEvi20rocsparse_direction_NS_24const_host_device_scalarIT2_EEPKiS6_PKS3_S8_S4_PS3_21rocsparse_index_base_b: ; @_ZN9rocsparseL19gebsrmvn_1xn_kernelILj128ELj4ELj32EfEEvi20rocsparse_direction_NS_24const_host_device_scalarIT2_EEPKiS6_PKS3_S8_S4_PS3_21rocsparse_index_base_b
; %bb.0:
	s_clause 0x2
	s_load_dwordx2 s[12:13], s[4:5], 0x40
	s_load_dwordx2 s[10:11], s[4:5], 0x8
	;; [unrolled: 1-line block ×3, first 2 shown]
	s_waitcnt lgkmcnt(0)
	s_bitcmp1_b32 s13, 0
	s_cselect_b32 s0, -1, 0
	s_and_b32 vcc_lo, exec_lo, s0
	s_xor_b32 s0, s0, -1
	s_cbranch_vccnz .LBB13_2
; %bb.1:
	s_load_dword s10, s[10:11], 0x0
.LBB13_2:
	s_andn2_b32 vcc_lo, exec_lo, s0
	s_cbranch_vccnz .LBB13_4
; %bb.3:
	s_load_dword s8, s[8:9], 0x0
.LBB13_4:
	s_waitcnt lgkmcnt(0)
	v_cmp_eq_f32_e64 s0, s10, 0
	v_cmp_eq_f32_e64 s1, s8, 1.0
	s_and_b32 s0, s0, s1
	s_and_b32 vcc_lo, exec_lo, s0
	s_cbranch_vccnz .LBB13_15
; %bb.5:
	s_load_dword s0, s[4:5], 0x0
	v_lshrrev_b32_e32 v1, 5, v0
	v_lshl_or_b32 v1, s6, 2, v1
	s_waitcnt lgkmcnt(0)
	v_cmp_gt_i32_e32 vcc_lo, s0, v1
	s_and_saveexec_b32 s0, vcc_lo
	s_cbranch_execz .LBB13_15
; %bb.6:
	s_clause 0x1
	s_load_dwordx2 s[0:1], s[4:5], 0x10
	s_load_dwordx2 s[6:7], s[4:5], 0x38
	v_ashrrev_i32_e32 v2, 31, v1
	v_and_b32_e32 v0, 31, v0
	v_mov_b32_e32 v7, 0
	s_mov_b32 s9, exec_lo
	v_lshlrev_b64 v[1:2], 2, v[1:2]
	v_subrev_nc_u32_e32 v5, s12, v0
	s_waitcnt lgkmcnt(0)
	v_add_co_u32 v3, vcc_lo, s0, v1
	v_add_co_ci_u32_e64 v4, null, s1, v2, vcc_lo
	global_load_dwordx2 v[3:4], v[3:4], off
	s_waitcnt vmcnt(0)
	v_subrev_nc_u32_e32 v8, s12, v4
	v_add_nc_u32_e32 v3, v3, v5
	v_cmpx_lt_i32_e64 v3, v8
	s_cbranch_execz .LBB13_10
; %bb.7:
	s_clause 0x1
	s_load_dwordx4 s[0:3], s[4:5], 0x18
	s_load_dwordx2 s[4:5], s[4:5], 0x28
	v_mov_b32_e32 v6, 0
	v_lshlrev_b32_e32 v5, 2, v3
	s_mov_b32 s11, 0
	v_mov_b32_e32 v7, v6
	s_inst_prefetch 0x1
	.p2align	6
.LBB13_8:                               ; =>This Inner Loop Header: Depth=1
	v_ashrrev_i32_e32 v4, 31, v3
	v_mov_b32_e32 v12, v6
	v_lshlrev_b64 v[9:10], 2, v[3:4]
	v_add_nc_u32_e32 v3, 32, v3
	s_waitcnt lgkmcnt(0)
	v_add_co_u32 v9, vcc_lo, s0, v9
	v_add_co_ci_u32_e64 v10, null, s1, v10, vcc_lo
	global_load_dword v4, v[9:10], off
	v_lshlrev_b64 v[9:10], 2, v[5:6]
	v_add_nc_u32_e32 v5, 0x80, v5
	v_add_co_u32 v9, vcc_lo, s2, v9
	v_add_co_ci_u32_e64 v10, null, s3, v10, vcc_lo
	s_waitcnt vmcnt(0)
	v_subrev_nc_u32_e32 v4, s12, v4
	v_lshlrev_b32_e32 v11, 2, v4
	v_lshlrev_b64 v[11:12], 2, v[11:12]
	v_add_co_u32 v13, vcc_lo, s4, v11
	v_add_co_ci_u32_e64 v14, null, s5, v12, vcc_lo
	v_cmp_ge_i32_e32 vcc_lo, v3, v8
	global_load_dwordx4 v[9:12], v[9:10], off
	global_load_dwordx4 v[13:16], v[13:14], off
	s_or_b32 s11, vcc_lo, s11
	s_waitcnt vmcnt(0)
	v_fmac_f32_e32 v7, v9, v13
	v_fmac_f32_e32 v7, v10, v14
	;; [unrolled: 1-line block ×4, first 2 shown]
	s_andn2_b32 exec_lo, exec_lo, s11
	s_cbranch_execnz .LBB13_8
; %bb.9:
	s_inst_prefetch 0x2
	s_or_b32 exec_lo, exec_lo, s11
.LBB13_10:
	s_or_b32 exec_lo, exec_lo, s9
	v_mbcnt_lo_u32_b32 v3, -1, 0
	s_mov_b32 s0, -1
	v_xor_b32_e32 v4, 16, v3
	v_xor_b32_e32 v5, 8, v3
	;; [unrolled: 1-line block ×3, first 2 shown]
	v_cmp_gt_i32_e32 vcc_lo, 32, v4
	v_cndmask_b32_e32 v4, v3, v4, vcc_lo
	v_cmp_gt_i32_e32 vcc_lo, 32, v5
	v_lshlrev_b32_e32 v4, 2, v4
	v_cndmask_b32_e32 v5, v3, v5, vcc_lo
	v_cmp_gt_i32_e32 vcc_lo, 32, v6
	ds_bpermute_b32 v4, v4, v7
	v_lshlrev_b32_e32 v5, 2, v5
	v_cndmask_b32_e32 v6, v3, v6, vcc_lo
	v_lshlrev_b32_e32 v6, 2, v6
	s_waitcnt lgkmcnt(0)
	v_add_f32_e32 v4, v7, v4
	ds_bpermute_b32 v5, v5, v4
	s_waitcnt lgkmcnt(0)
	v_add_f32_e32 v4, v4, v5
	ds_bpermute_b32 v5, v6, v4
	v_xor_b32_e32 v6, 2, v3
	v_cmp_gt_i32_e32 vcc_lo, 32, v6
	v_cndmask_b32_e32 v6, v3, v6, vcc_lo
	v_lshlrev_b32_e32 v6, 2, v6
	s_waitcnt lgkmcnt(0)
	v_add_f32_e32 v4, v4, v5
	ds_bpermute_b32 v5, v6, v4
	v_xor_b32_e32 v6, 1, v3
	v_cmp_gt_i32_e32 vcc_lo, 32, v6
	v_cndmask_b32_e32 v6, v3, v6, vcc_lo
	v_cmp_eq_u32_e32 vcc_lo, 31, v0
	s_waitcnt lgkmcnt(0)
	v_add_f32_e32 v3, v4, v5
	v_lshlrev_b32_e32 v4, 2, v6
	ds_bpermute_b32 v4, v4, v3
	s_and_b32 exec_lo, exec_lo, vcc_lo
	s_cbranch_execz .LBB13_15
; %bb.11:
	s_waitcnt lgkmcnt(0)
	v_add_f32_e32 v0, v3, v4
	v_cmp_eq_f32_e64 s1, s8, 0
	v_mul_f32_e32 v0, s10, v0
	s_and_b32 vcc_lo, exec_lo, s1
	s_cbranch_vccz .LBB13_13
; %bb.12:
	v_add_co_u32 v3, vcc_lo, s6, v1
	v_add_co_ci_u32_e64 v4, null, s7, v2, vcc_lo
	s_mov_b32 s0, 0
	global_store_dword v[3:4], v0, off
.LBB13_13:
	s_andn2_b32 vcc_lo, exec_lo, s0
	s_cbranch_vccnz .LBB13_15
; %bb.14:
	v_add_co_u32 v1, vcc_lo, s6, v1
	v_add_co_ci_u32_e64 v2, null, s7, v2, vcc_lo
	global_load_dword v3, v[1:2], off
	s_waitcnt vmcnt(0)
	v_fmac_f32_e32 v0, s8, v3
	global_store_dword v[1:2], v0, off
.LBB13_15:
	s_endpgm
	.section	.rodata,"a",@progbits
	.p2align	6, 0x0
	.amdhsa_kernel _ZN9rocsparseL19gebsrmvn_1xn_kernelILj128ELj4ELj32EfEEvi20rocsparse_direction_NS_24const_host_device_scalarIT2_EEPKiS6_PKS3_S8_S4_PS3_21rocsparse_index_base_b
		.amdhsa_group_segment_fixed_size 0
		.amdhsa_private_segment_fixed_size 0
		.amdhsa_kernarg_size 72
		.amdhsa_user_sgpr_count 6
		.amdhsa_user_sgpr_private_segment_buffer 1
		.amdhsa_user_sgpr_dispatch_ptr 0
		.amdhsa_user_sgpr_queue_ptr 0
		.amdhsa_user_sgpr_kernarg_segment_ptr 1
		.amdhsa_user_sgpr_dispatch_id 0
		.amdhsa_user_sgpr_flat_scratch_init 0
		.amdhsa_user_sgpr_private_segment_size 0
		.amdhsa_wavefront_size32 1
		.amdhsa_uses_dynamic_stack 0
		.amdhsa_system_sgpr_private_segment_wavefront_offset 0
		.amdhsa_system_sgpr_workgroup_id_x 1
		.amdhsa_system_sgpr_workgroup_id_y 0
		.amdhsa_system_sgpr_workgroup_id_z 0
		.amdhsa_system_sgpr_workgroup_info 0
		.amdhsa_system_vgpr_workitem_id 0
		.amdhsa_next_free_vgpr 17
		.amdhsa_next_free_sgpr 14
		.amdhsa_reserve_vcc 1
		.amdhsa_reserve_flat_scratch 0
		.amdhsa_float_round_mode_32 0
		.amdhsa_float_round_mode_16_64 0
		.amdhsa_float_denorm_mode_32 3
		.amdhsa_float_denorm_mode_16_64 3
		.amdhsa_dx10_clamp 1
		.amdhsa_ieee_mode 1
		.amdhsa_fp16_overflow 0
		.amdhsa_workgroup_processor_mode 1
		.amdhsa_memory_ordered 1
		.amdhsa_forward_progress 1
		.amdhsa_shared_vgpr_count 0
		.amdhsa_exception_fp_ieee_invalid_op 0
		.amdhsa_exception_fp_denorm_src 0
		.amdhsa_exception_fp_ieee_div_zero 0
		.amdhsa_exception_fp_ieee_overflow 0
		.amdhsa_exception_fp_ieee_underflow 0
		.amdhsa_exception_fp_ieee_inexact 0
		.amdhsa_exception_int_div_zero 0
	.end_amdhsa_kernel
	.section	.text._ZN9rocsparseL19gebsrmvn_1xn_kernelILj128ELj4ELj32EfEEvi20rocsparse_direction_NS_24const_host_device_scalarIT2_EEPKiS6_PKS3_S8_S4_PS3_21rocsparse_index_base_b,"axG",@progbits,_ZN9rocsparseL19gebsrmvn_1xn_kernelILj128ELj4ELj32EfEEvi20rocsparse_direction_NS_24const_host_device_scalarIT2_EEPKiS6_PKS3_S8_S4_PS3_21rocsparse_index_base_b,comdat
.Lfunc_end13:
	.size	_ZN9rocsparseL19gebsrmvn_1xn_kernelILj128ELj4ELj32EfEEvi20rocsparse_direction_NS_24const_host_device_scalarIT2_EEPKiS6_PKS3_S8_S4_PS3_21rocsparse_index_base_b, .Lfunc_end13-_ZN9rocsparseL19gebsrmvn_1xn_kernelILj128ELj4ELj32EfEEvi20rocsparse_direction_NS_24const_host_device_scalarIT2_EEPKiS6_PKS3_S8_S4_PS3_21rocsparse_index_base_b
                                        ; -- End function
	.set _ZN9rocsparseL19gebsrmvn_1xn_kernelILj128ELj4ELj32EfEEvi20rocsparse_direction_NS_24const_host_device_scalarIT2_EEPKiS6_PKS3_S8_S4_PS3_21rocsparse_index_base_b.num_vgpr, 17
	.set _ZN9rocsparseL19gebsrmvn_1xn_kernelILj128ELj4ELj32EfEEvi20rocsparse_direction_NS_24const_host_device_scalarIT2_EEPKiS6_PKS3_S8_S4_PS3_21rocsparse_index_base_b.num_agpr, 0
	.set _ZN9rocsparseL19gebsrmvn_1xn_kernelILj128ELj4ELj32EfEEvi20rocsparse_direction_NS_24const_host_device_scalarIT2_EEPKiS6_PKS3_S8_S4_PS3_21rocsparse_index_base_b.numbered_sgpr, 14
	.set _ZN9rocsparseL19gebsrmvn_1xn_kernelILj128ELj4ELj32EfEEvi20rocsparse_direction_NS_24const_host_device_scalarIT2_EEPKiS6_PKS3_S8_S4_PS3_21rocsparse_index_base_b.num_named_barrier, 0
	.set _ZN9rocsparseL19gebsrmvn_1xn_kernelILj128ELj4ELj32EfEEvi20rocsparse_direction_NS_24const_host_device_scalarIT2_EEPKiS6_PKS3_S8_S4_PS3_21rocsparse_index_base_b.private_seg_size, 0
	.set _ZN9rocsparseL19gebsrmvn_1xn_kernelILj128ELj4ELj32EfEEvi20rocsparse_direction_NS_24const_host_device_scalarIT2_EEPKiS6_PKS3_S8_S4_PS3_21rocsparse_index_base_b.uses_vcc, 1
	.set _ZN9rocsparseL19gebsrmvn_1xn_kernelILj128ELj4ELj32EfEEvi20rocsparse_direction_NS_24const_host_device_scalarIT2_EEPKiS6_PKS3_S8_S4_PS3_21rocsparse_index_base_b.uses_flat_scratch, 0
	.set _ZN9rocsparseL19gebsrmvn_1xn_kernelILj128ELj4ELj32EfEEvi20rocsparse_direction_NS_24const_host_device_scalarIT2_EEPKiS6_PKS3_S8_S4_PS3_21rocsparse_index_base_b.has_dyn_sized_stack, 0
	.set _ZN9rocsparseL19gebsrmvn_1xn_kernelILj128ELj4ELj32EfEEvi20rocsparse_direction_NS_24const_host_device_scalarIT2_EEPKiS6_PKS3_S8_S4_PS3_21rocsparse_index_base_b.has_recursion, 0
	.set _ZN9rocsparseL19gebsrmvn_1xn_kernelILj128ELj4ELj32EfEEvi20rocsparse_direction_NS_24const_host_device_scalarIT2_EEPKiS6_PKS3_S8_S4_PS3_21rocsparse_index_base_b.has_indirect_call, 0
	.section	.AMDGPU.csdata,"",@progbits
; Kernel info:
; codeLenInByte = 784
; TotalNumSgprs: 16
; NumVgprs: 17
; ScratchSize: 0
; MemoryBound: 0
; FloatMode: 240
; IeeeMode: 1
; LDSByteSize: 0 bytes/workgroup (compile time only)
; SGPRBlocks: 0
; VGPRBlocks: 2
; NumSGPRsForWavesPerEU: 16
; NumVGPRsForWavesPerEU: 17
; Occupancy: 16
; WaveLimiterHint : 1
; COMPUTE_PGM_RSRC2:SCRATCH_EN: 0
; COMPUTE_PGM_RSRC2:USER_SGPR: 6
; COMPUTE_PGM_RSRC2:TRAP_HANDLER: 0
; COMPUTE_PGM_RSRC2:TGID_X_EN: 1
; COMPUTE_PGM_RSRC2:TGID_Y_EN: 0
; COMPUTE_PGM_RSRC2:TGID_Z_EN: 0
; COMPUTE_PGM_RSRC2:TIDIG_COMP_CNT: 0
	.section	.text._ZN9rocsparseL19gebsrmvn_1xn_kernelILj128ELj4ELj64EfEEvi20rocsparse_direction_NS_24const_host_device_scalarIT2_EEPKiS6_PKS3_S8_S4_PS3_21rocsparse_index_base_b,"axG",@progbits,_ZN9rocsparseL19gebsrmvn_1xn_kernelILj128ELj4ELj64EfEEvi20rocsparse_direction_NS_24const_host_device_scalarIT2_EEPKiS6_PKS3_S8_S4_PS3_21rocsparse_index_base_b,comdat
	.globl	_ZN9rocsparseL19gebsrmvn_1xn_kernelILj128ELj4ELj64EfEEvi20rocsparse_direction_NS_24const_host_device_scalarIT2_EEPKiS6_PKS3_S8_S4_PS3_21rocsparse_index_base_b ; -- Begin function _ZN9rocsparseL19gebsrmvn_1xn_kernelILj128ELj4ELj64EfEEvi20rocsparse_direction_NS_24const_host_device_scalarIT2_EEPKiS6_PKS3_S8_S4_PS3_21rocsparse_index_base_b
	.p2align	8
	.type	_ZN9rocsparseL19gebsrmvn_1xn_kernelILj128ELj4ELj64EfEEvi20rocsparse_direction_NS_24const_host_device_scalarIT2_EEPKiS6_PKS3_S8_S4_PS3_21rocsparse_index_base_b,@function
_ZN9rocsparseL19gebsrmvn_1xn_kernelILj128ELj4ELj64EfEEvi20rocsparse_direction_NS_24const_host_device_scalarIT2_EEPKiS6_PKS3_S8_S4_PS3_21rocsparse_index_base_b: ; @_ZN9rocsparseL19gebsrmvn_1xn_kernelILj128ELj4ELj64EfEEvi20rocsparse_direction_NS_24const_host_device_scalarIT2_EEPKiS6_PKS3_S8_S4_PS3_21rocsparse_index_base_b
; %bb.0:
	s_clause 0x2
	s_load_dwordx2 s[12:13], s[4:5], 0x40
	s_load_dwordx2 s[10:11], s[4:5], 0x8
	;; [unrolled: 1-line block ×3, first 2 shown]
	s_waitcnt lgkmcnt(0)
	s_bitcmp1_b32 s13, 0
	s_cselect_b32 s0, -1, 0
	s_and_b32 vcc_lo, exec_lo, s0
	s_xor_b32 s0, s0, -1
	s_cbranch_vccnz .LBB14_2
; %bb.1:
	s_load_dword s10, s[10:11], 0x0
.LBB14_2:
	s_andn2_b32 vcc_lo, exec_lo, s0
	s_cbranch_vccnz .LBB14_4
; %bb.3:
	s_load_dword s8, s[8:9], 0x0
.LBB14_4:
	s_waitcnt lgkmcnt(0)
	v_cmp_eq_f32_e64 s0, s10, 0
	v_cmp_eq_f32_e64 s1, s8, 1.0
	s_and_b32 s0, s0, s1
	s_and_b32 vcc_lo, exec_lo, s0
	s_cbranch_vccnz .LBB14_15
; %bb.5:
	s_load_dword s0, s[4:5], 0x0
	v_lshrrev_b32_e32 v1, 6, v0
	v_lshl_or_b32 v1, s6, 1, v1
	s_waitcnt lgkmcnt(0)
	v_cmp_gt_i32_e32 vcc_lo, s0, v1
	s_and_saveexec_b32 s0, vcc_lo
	s_cbranch_execz .LBB14_15
; %bb.6:
	s_clause 0x1
	s_load_dwordx2 s[0:1], s[4:5], 0x10
	s_load_dwordx2 s[6:7], s[4:5], 0x38
	v_ashrrev_i32_e32 v2, 31, v1
	v_and_b32_e32 v0, 63, v0
	v_mov_b32_e32 v7, 0
	s_mov_b32 s9, exec_lo
	v_lshlrev_b64 v[1:2], 2, v[1:2]
	v_subrev_nc_u32_e32 v5, s12, v0
	s_waitcnt lgkmcnt(0)
	v_add_co_u32 v3, vcc_lo, s0, v1
	v_add_co_ci_u32_e64 v4, null, s1, v2, vcc_lo
	global_load_dwordx2 v[3:4], v[3:4], off
	s_waitcnt vmcnt(0)
	v_subrev_nc_u32_e32 v8, s12, v4
	v_add_nc_u32_e32 v3, v3, v5
	v_cmpx_lt_i32_e64 v3, v8
	s_cbranch_execz .LBB14_10
; %bb.7:
	s_clause 0x1
	s_load_dwordx4 s[0:3], s[4:5], 0x18
	s_load_dwordx2 s[4:5], s[4:5], 0x28
	v_mov_b32_e32 v6, 0
	v_lshlrev_b32_e32 v5, 2, v3
	s_mov_b32 s11, 0
	v_mov_b32_e32 v7, v6
	s_inst_prefetch 0x1
	.p2align	6
.LBB14_8:                               ; =>This Inner Loop Header: Depth=1
	v_ashrrev_i32_e32 v4, 31, v3
	v_mov_b32_e32 v12, v6
	v_lshlrev_b64 v[9:10], 2, v[3:4]
	v_add_nc_u32_e32 v3, 64, v3
	s_waitcnt lgkmcnt(0)
	v_add_co_u32 v9, vcc_lo, s0, v9
	v_add_co_ci_u32_e64 v10, null, s1, v10, vcc_lo
	global_load_dword v4, v[9:10], off
	v_lshlrev_b64 v[9:10], 2, v[5:6]
	v_add_nc_u32_e32 v5, 0x100, v5
	v_add_co_u32 v9, vcc_lo, s2, v9
	v_add_co_ci_u32_e64 v10, null, s3, v10, vcc_lo
	s_waitcnt vmcnt(0)
	v_subrev_nc_u32_e32 v4, s12, v4
	v_lshlrev_b32_e32 v11, 2, v4
	v_lshlrev_b64 v[11:12], 2, v[11:12]
	v_add_co_u32 v13, vcc_lo, s4, v11
	v_add_co_ci_u32_e64 v14, null, s5, v12, vcc_lo
	v_cmp_ge_i32_e32 vcc_lo, v3, v8
	global_load_dwordx4 v[9:12], v[9:10], off
	global_load_dwordx4 v[13:16], v[13:14], off
	s_or_b32 s11, vcc_lo, s11
	s_waitcnt vmcnt(0)
	v_fmac_f32_e32 v7, v9, v13
	v_fmac_f32_e32 v7, v10, v14
	;; [unrolled: 1-line block ×4, first 2 shown]
	s_andn2_b32 exec_lo, exec_lo, s11
	s_cbranch_execnz .LBB14_8
; %bb.9:
	s_inst_prefetch 0x2
	s_or_b32 exec_lo, exec_lo, s11
.LBB14_10:
	s_or_b32 exec_lo, exec_lo, s9
	v_mbcnt_lo_u32_b32 v3, -1, 0
	s_mov_b32 s0, -1
	v_or_b32_e32 v4, 32, v3
	v_xor_b32_e32 v5, 16, v3
	v_xor_b32_e32 v6, 8, v3
	v_cmp_gt_i32_e32 vcc_lo, 32, v4
	v_cndmask_b32_e32 v4, v3, v4, vcc_lo
	v_cmp_gt_i32_e32 vcc_lo, 32, v5
	v_lshlrev_b32_e32 v4, 2, v4
	v_cndmask_b32_e32 v5, v3, v5, vcc_lo
	v_cmp_gt_i32_e32 vcc_lo, 32, v6
	ds_bpermute_b32 v4, v4, v7
	v_lshlrev_b32_e32 v5, 2, v5
	v_cndmask_b32_e32 v6, v3, v6, vcc_lo
	v_lshlrev_b32_e32 v6, 2, v6
	s_waitcnt lgkmcnt(0)
	v_add_f32_e32 v4, v7, v4
	ds_bpermute_b32 v5, v5, v4
	s_waitcnt lgkmcnt(0)
	v_add_f32_e32 v4, v4, v5
	ds_bpermute_b32 v5, v6, v4
	v_xor_b32_e32 v6, 4, v3
	v_cmp_gt_i32_e32 vcc_lo, 32, v6
	v_cndmask_b32_e32 v6, v3, v6, vcc_lo
	v_lshlrev_b32_e32 v6, 2, v6
	s_waitcnt lgkmcnt(0)
	v_add_f32_e32 v4, v4, v5
	ds_bpermute_b32 v5, v6, v4
	v_xor_b32_e32 v6, 2, v3
	v_cmp_gt_i32_e32 vcc_lo, 32, v6
	v_cndmask_b32_e32 v6, v3, v6, vcc_lo
	v_lshlrev_b32_e32 v6, 2, v6
	s_waitcnt lgkmcnt(0)
	v_add_f32_e32 v4, v4, v5
	ds_bpermute_b32 v5, v6, v4
	v_xor_b32_e32 v6, 1, v3
	v_cmp_gt_i32_e32 vcc_lo, 32, v6
	v_cndmask_b32_e32 v6, v3, v6, vcc_lo
	v_cmp_eq_u32_e32 vcc_lo, 63, v0
	s_waitcnt lgkmcnt(0)
	v_add_f32_e32 v3, v4, v5
	v_lshlrev_b32_e32 v4, 2, v6
	ds_bpermute_b32 v4, v4, v3
	s_and_b32 exec_lo, exec_lo, vcc_lo
	s_cbranch_execz .LBB14_15
; %bb.11:
	s_waitcnt lgkmcnt(0)
	v_add_f32_e32 v0, v3, v4
	v_cmp_eq_f32_e64 s1, s8, 0
	v_mul_f32_e32 v0, s10, v0
	s_and_b32 vcc_lo, exec_lo, s1
	s_cbranch_vccz .LBB14_13
; %bb.12:
	v_add_co_u32 v3, vcc_lo, s6, v1
	v_add_co_ci_u32_e64 v4, null, s7, v2, vcc_lo
	s_mov_b32 s0, 0
	global_store_dword v[3:4], v0, off
.LBB14_13:
	s_andn2_b32 vcc_lo, exec_lo, s0
	s_cbranch_vccnz .LBB14_15
; %bb.14:
	v_add_co_u32 v1, vcc_lo, s6, v1
	v_add_co_ci_u32_e64 v2, null, s7, v2, vcc_lo
	global_load_dword v3, v[1:2], off
	s_waitcnt vmcnt(0)
	v_fmac_f32_e32 v0, s8, v3
	global_store_dword v[1:2], v0, off
.LBB14_15:
	s_endpgm
	.section	.rodata,"a",@progbits
	.p2align	6, 0x0
	.amdhsa_kernel _ZN9rocsparseL19gebsrmvn_1xn_kernelILj128ELj4ELj64EfEEvi20rocsparse_direction_NS_24const_host_device_scalarIT2_EEPKiS6_PKS3_S8_S4_PS3_21rocsparse_index_base_b
		.amdhsa_group_segment_fixed_size 0
		.amdhsa_private_segment_fixed_size 0
		.amdhsa_kernarg_size 72
		.amdhsa_user_sgpr_count 6
		.amdhsa_user_sgpr_private_segment_buffer 1
		.amdhsa_user_sgpr_dispatch_ptr 0
		.amdhsa_user_sgpr_queue_ptr 0
		.amdhsa_user_sgpr_kernarg_segment_ptr 1
		.amdhsa_user_sgpr_dispatch_id 0
		.amdhsa_user_sgpr_flat_scratch_init 0
		.amdhsa_user_sgpr_private_segment_size 0
		.amdhsa_wavefront_size32 1
		.amdhsa_uses_dynamic_stack 0
		.amdhsa_system_sgpr_private_segment_wavefront_offset 0
		.amdhsa_system_sgpr_workgroup_id_x 1
		.amdhsa_system_sgpr_workgroup_id_y 0
		.amdhsa_system_sgpr_workgroup_id_z 0
		.amdhsa_system_sgpr_workgroup_info 0
		.amdhsa_system_vgpr_workitem_id 0
		.amdhsa_next_free_vgpr 17
		.amdhsa_next_free_sgpr 14
		.amdhsa_reserve_vcc 1
		.amdhsa_reserve_flat_scratch 0
		.amdhsa_float_round_mode_32 0
		.amdhsa_float_round_mode_16_64 0
		.amdhsa_float_denorm_mode_32 3
		.amdhsa_float_denorm_mode_16_64 3
		.amdhsa_dx10_clamp 1
		.amdhsa_ieee_mode 1
		.amdhsa_fp16_overflow 0
		.amdhsa_workgroup_processor_mode 1
		.amdhsa_memory_ordered 1
		.amdhsa_forward_progress 1
		.amdhsa_shared_vgpr_count 0
		.amdhsa_exception_fp_ieee_invalid_op 0
		.amdhsa_exception_fp_denorm_src 0
		.amdhsa_exception_fp_ieee_div_zero 0
		.amdhsa_exception_fp_ieee_overflow 0
		.amdhsa_exception_fp_ieee_underflow 0
		.amdhsa_exception_fp_ieee_inexact 0
		.amdhsa_exception_int_div_zero 0
	.end_amdhsa_kernel
	.section	.text._ZN9rocsparseL19gebsrmvn_1xn_kernelILj128ELj4ELj64EfEEvi20rocsparse_direction_NS_24const_host_device_scalarIT2_EEPKiS6_PKS3_S8_S4_PS3_21rocsparse_index_base_b,"axG",@progbits,_ZN9rocsparseL19gebsrmvn_1xn_kernelILj128ELj4ELj64EfEEvi20rocsparse_direction_NS_24const_host_device_scalarIT2_EEPKiS6_PKS3_S8_S4_PS3_21rocsparse_index_base_b,comdat
.Lfunc_end14:
	.size	_ZN9rocsparseL19gebsrmvn_1xn_kernelILj128ELj4ELj64EfEEvi20rocsparse_direction_NS_24const_host_device_scalarIT2_EEPKiS6_PKS3_S8_S4_PS3_21rocsparse_index_base_b, .Lfunc_end14-_ZN9rocsparseL19gebsrmvn_1xn_kernelILj128ELj4ELj64EfEEvi20rocsparse_direction_NS_24const_host_device_scalarIT2_EEPKiS6_PKS3_S8_S4_PS3_21rocsparse_index_base_b
                                        ; -- End function
	.set _ZN9rocsparseL19gebsrmvn_1xn_kernelILj128ELj4ELj64EfEEvi20rocsparse_direction_NS_24const_host_device_scalarIT2_EEPKiS6_PKS3_S8_S4_PS3_21rocsparse_index_base_b.num_vgpr, 17
	.set _ZN9rocsparseL19gebsrmvn_1xn_kernelILj128ELj4ELj64EfEEvi20rocsparse_direction_NS_24const_host_device_scalarIT2_EEPKiS6_PKS3_S8_S4_PS3_21rocsparse_index_base_b.num_agpr, 0
	.set _ZN9rocsparseL19gebsrmvn_1xn_kernelILj128ELj4ELj64EfEEvi20rocsparse_direction_NS_24const_host_device_scalarIT2_EEPKiS6_PKS3_S8_S4_PS3_21rocsparse_index_base_b.numbered_sgpr, 14
	.set _ZN9rocsparseL19gebsrmvn_1xn_kernelILj128ELj4ELj64EfEEvi20rocsparse_direction_NS_24const_host_device_scalarIT2_EEPKiS6_PKS3_S8_S4_PS3_21rocsparse_index_base_b.num_named_barrier, 0
	.set _ZN9rocsparseL19gebsrmvn_1xn_kernelILj128ELj4ELj64EfEEvi20rocsparse_direction_NS_24const_host_device_scalarIT2_EEPKiS6_PKS3_S8_S4_PS3_21rocsparse_index_base_b.private_seg_size, 0
	.set _ZN9rocsparseL19gebsrmvn_1xn_kernelILj128ELj4ELj64EfEEvi20rocsparse_direction_NS_24const_host_device_scalarIT2_EEPKiS6_PKS3_S8_S4_PS3_21rocsparse_index_base_b.uses_vcc, 1
	.set _ZN9rocsparseL19gebsrmvn_1xn_kernelILj128ELj4ELj64EfEEvi20rocsparse_direction_NS_24const_host_device_scalarIT2_EEPKiS6_PKS3_S8_S4_PS3_21rocsparse_index_base_b.uses_flat_scratch, 0
	.set _ZN9rocsparseL19gebsrmvn_1xn_kernelILj128ELj4ELj64EfEEvi20rocsparse_direction_NS_24const_host_device_scalarIT2_EEPKiS6_PKS3_S8_S4_PS3_21rocsparse_index_base_b.has_dyn_sized_stack, 0
	.set _ZN9rocsparseL19gebsrmvn_1xn_kernelILj128ELj4ELj64EfEEvi20rocsparse_direction_NS_24const_host_device_scalarIT2_EEPKiS6_PKS3_S8_S4_PS3_21rocsparse_index_base_b.has_recursion, 0
	.set _ZN9rocsparseL19gebsrmvn_1xn_kernelILj128ELj4ELj64EfEEvi20rocsparse_direction_NS_24const_host_device_scalarIT2_EEPKiS6_PKS3_S8_S4_PS3_21rocsparse_index_base_b.has_indirect_call, 0
	.section	.AMDGPU.csdata,"",@progbits
; Kernel info:
; codeLenInByte = 816
; TotalNumSgprs: 16
; NumVgprs: 17
; ScratchSize: 0
; MemoryBound: 0
; FloatMode: 240
; IeeeMode: 1
; LDSByteSize: 0 bytes/workgroup (compile time only)
; SGPRBlocks: 0
; VGPRBlocks: 2
; NumSGPRsForWavesPerEU: 16
; NumVGPRsForWavesPerEU: 17
; Occupancy: 16
; WaveLimiterHint : 1
; COMPUTE_PGM_RSRC2:SCRATCH_EN: 0
; COMPUTE_PGM_RSRC2:USER_SGPR: 6
; COMPUTE_PGM_RSRC2:TRAP_HANDLER: 0
; COMPUTE_PGM_RSRC2:TGID_X_EN: 1
; COMPUTE_PGM_RSRC2:TGID_Y_EN: 0
; COMPUTE_PGM_RSRC2:TGID_Z_EN: 0
; COMPUTE_PGM_RSRC2:TIDIG_COMP_CNT: 0
	.section	.text._ZN9rocsparseL19gebsrmvn_1xn_kernelILj128ELj5ELj4EfEEvi20rocsparse_direction_NS_24const_host_device_scalarIT2_EEPKiS6_PKS3_S8_S4_PS3_21rocsparse_index_base_b,"axG",@progbits,_ZN9rocsparseL19gebsrmvn_1xn_kernelILj128ELj5ELj4EfEEvi20rocsparse_direction_NS_24const_host_device_scalarIT2_EEPKiS6_PKS3_S8_S4_PS3_21rocsparse_index_base_b,comdat
	.globl	_ZN9rocsparseL19gebsrmvn_1xn_kernelILj128ELj5ELj4EfEEvi20rocsparse_direction_NS_24const_host_device_scalarIT2_EEPKiS6_PKS3_S8_S4_PS3_21rocsparse_index_base_b ; -- Begin function _ZN9rocsparseL19gebsrmvn_1xn_kernelILj128ELj5ELj4EfEEvi20rocsparse_direction_NS_24const_host_device_scalarIT2_EEPKiS6_PKS3_S8_S4_PS3_21rocsparse_index_base_b
	.p2align	8
	.type	_ZN9rocsparseL19gebsrmvn_1xn_kernelILj128ELj5ELj4EfEEvi20rocsparse_direction_NS_24const_host_device_scalarIT2_EEPKiS6_PKS3_S8_S4_PS3_21rocsparse_index_base_b,@function
_ZN9rocsparseL19gebsrmvn_1xn_kernelILj128ELj5ELj4EfEEvi20rocsparse_direction_NS_24const_host_device_scalarIT2_EEPKiS6_PKS3_S8_S4_PS3_21rocsparse_index_base_b: ; @_ZN9rocsparseL19gebsrmvn_1xn_kernelILj128ELj5ELj4EfEEvi20rocsparse_direction_NS_24const_host_device_scalarIT2_EEPKiS6_PKS3_S8_S4_PS3_21rocsparse_index_base_b
; %bb.0:
	s_clause 0x2
	s_load_dwordx2 s[12:13], s[4:5], 0x40
	s_load_dwordx2 s[10:11], s[4:5], 0x8
	;; [unrolled: 1-line block ×3, first 2 shown]
	s_waitcnt lgkmcnt(0)
	s_bitcmp1_b32 s13, 0
	s_cselect_b32 s0, -1, 0
	s_and_b32 vcc_lo, exec_lo, s0
	s_xor_b32 s0, s0, -1
	s_cbranch_vccnz .LBB15_2
; %bb.1:
	s_load_dword s10, s[10:11], 0x0
.LBB15_2:
	s_andn2_b32 vcc_lo, exec_lo, s0
	s_cbranch_vccnz .LBB15_4
; %bb.3:
	s_load_dword s8, s[8:9], 0x0
.LBB15_4:
	s_waitcnt lgkmcnt(0)
	v_cmp_eq_f32_e64 s0, s10, 0
	v_cmp_eq_f32_e64 s1, s8, 1.0
	s_and_b32 s0, s0, s1
	s_and_b32 vcc_lo, exec_lo, s0
	s_cbranch_vccnz .LBB15_15
; %bb.5:
	s_load_dword s0, s[4:5], 0x0
	v_lshrrev_b32_e32 v1, 2, v0
	v_lshl_or_b32 v1, s6, 5, v1
	s_waitcnt lgkmcnt(0)
	v_cmp_gt_i32_e32 vcc_lo, s0, v1
	s_and_saveexec_b32 s0, vcc_lo
	s_cbranch_execz .LBB15_15
; %bb.6:
	s_clause 0x1
	s_load_dwordx2 s[0:1], s[4:5], 0x10
	s_load_dwordx2 s[6:7], s[4:5], 0x38
	v_ashrrev_i32_e32 v2, 31, v1
	v_and_b32_e32 v0, 3, v0
	v_mov_b32_e32 v9, 0
	s_mov_b32 s9, exec_lo
	v_lshlrev_b64 v[1:2], 2, v[1:2]
	v_subrev_nc_u32_e32 v5, s12, v0
	s_waitcnt lgkmcnt(0)
	v_add_co_u32 v3, vcc_lo, s0, v1
	v_add_co_ci_u32_e64 v4, null, s1, v2, vcc_lo
	global_load_dwordx2 v[3:4], v[3:4], off
	s_waitcnt vmcnt(0)
	v_subrev_nc_u32_e32 v10, s12, v4
	v_add_nc_u32_e32 v3, v3, v5
	v_cmpx_lt_i32_e64 v3, v10
	s_cbranch_execz .LBB15_10
; %bb.7:
	s_clause 0x1
	s_load_dwordx4 s[0:3], s[4:5], 0x18
	s_load_dwordx2 s[4:5], s[4:5], 0x28
	v_mad_u64_u32 v[5:6], null, v3, 5, 4
	v_mov_b32_e32 v8, 0
	v_mov_b32_e32 v9, 0
	s_mov_b32 s11, 0
.LBB15_8:                               ; =>This Inner Loop Header: Depth=1
	v_ashrrev_i32_e32 v4, 31, v3
	v_mov_b32_e32 v12, v8
	v_lshlrev_b64 v[6:7], 2, v[3:4]
	v_add_nc_u32_e32 v3, 4, v3
	s_waitcnt lgkmcnt(0)
	v_add_co_u32 v6, vcc_lo, s0, v6
	v_add_co_ci_u32_e64 v7, null, s1, v7, vcc_lo
	global_load_dword v4, v[6:7], off
	v_add_nc_u32_e32 v7, -4, v5
	v_mov_b32_e32 v6, v8
	v_lshlrev_b64 v[13:14], 2, v[7:8]
	v_add_nc_u32_e32 v7, -3, v5
	v_lshlrev_b64 v[15:16], 2, v[5:6]
	v_lshlrev_b64 v[6:7], 2, v[7:8]
	v_add_co_u32 v13, vcc_lo, s2, v13
	v_add_co_ci_u32_e64 v14, null, s3, v14, vcc_lo
	v_add_co_u32 v15, vcc_lo, s2, v15
	v_add_co_ci_u32_e64 v16, null, s3, v16, vcc_lo
	;; [unrolled: 2-line block ×3, first 2 shown]
	s_clause 0x1
	global_load_dword v21, v[13:14], off
	global_load_dword v22, v[6:7], off
	s_waitcnt vmcnt(2)
	v_subrev_nc_u32_e32 v4, s12, v4
	v_lshl_add_u32 v11, v4, 2, v4
	v_add_nc_u32_e32 v7, 1, v11
	v_lshlrev_b64 v[12:13], 2, v[11:12]
	v_lshlrev_b64 v[17:18], 2, v[7:8]
	v_add_nc_u32_e32 v7, -2, v5
	v_add_co_u32 v12, vcc_lo, s4, v12
	v_add_co_ci_u32_e64 v13, null, s5, v13, vcc_lo
	v_add_co_u32 v17, vcc_lo, s4, v17
	v_lshlrev_b64 v[19:20], 2, v[7:8]
	v_add_nc_u32_e32 v7, 2, v11
	v_add_co_ci_u32_e64 v18, null, s5, v18, vcc_lo
	s_clause 0x1
	global_load_dword v4, v[12:13], off
	global_load_dword v23, v[17:18], off
	v_lshlrev_b64 v[12:13], 2, v[7:8]
	v_add_nc_u32_e32 v7, -1, v5
	v_add_co_u32 v17, vcc_lo, s2, v19
	v_add_co_ci_u32_e64 v18, null, s3, v20, vcc_lo
	v_lshlrev_b64 v[19:20], 2, v[7:8]
	v_add_nc_u32_e32 v7, 3, v11
	v_add_co_u32 v12, vcc_lo, s4, v12
	global_load_dword v24, v[17:18], off
	v_add_co_ci_u32_e64 v13, null, s5, v13, vcc_lo
	v_lshlrev_b64 v[17:18], 2, v[7:8]
	v_add_nc_u32_e32 v7, 4, v11
	v_add_co_u32 v11, vcc_lo, s2, v19
	global_load_dword v25, v[12:13], off
	v_add_co_ci_u32_e64 v12, null, s3, v20, vcc_lo
	v_lshlrev_b64 v[6:7], 2, v[7:8]
	v_add_co_u32 v13, vcc_lo, s4, v17
	v_add_co_ci_u32_e64 v14, null, s5, v18, vcc_lo
	global_load_dword v11, v[11:12], off
	global_load_dword v12, v[13:14], off
	v_add_co_u32 v6, vcc_lo, s4, v6
	v_add_co_ci_u32_e64 v7, null, s5, v7, vcc_lo
	global_load_dword v13, v[15:16], off
	global_load_dword v6, v[6:7], off
	v_cmp_ge_i32_e32 vcc_lo, v3, v10
	v_add_nc_u32_e32 v5, 20, v5
	s_or_b32 s11, vcc_lo, s11
	s_waitcnt vmcnt(7)
	v_fmac_f32_e32 v9, v21, v4
	s_waitcnt vmcnt(6)
	v_fmac_f32_e32 v9, v22, v23
	;; [unrolled: 2-line block ×5, first 2 shown]
	s_andn2_b32 exec_lo, exec_lo, s11
	s_cbranch_execnz .LBB15_8
; %bb.9:
	s_or_b32 exec_lo, exec_lo, s11
.LBB15_10:
	s_or_b32 exec_lo, exec_lo, s9
	v_mbcnt_lo_u32_b32 v3, -1, 0
	s_mov_b32 s0, -1
	v_xor_b32_e32 v4, 2, v3
	v_xor_b32_e32 v5, 1, v3
	v_cmp_gt_i32_e32 vcc_lo, 32, v4
	v_cndmask_b32_e32 v4, v3, v4, vcc_lo
	v_cmp_gt_i32_e32 vcc_lo, 32, v5
	v_lshlrev_b32_e32 v4, 2, v4
	v_cndmask_b32_e32 v5, v3, v5, vcc_lo
	v_cmp_eq_u32_e32 vcc_lo, 3, v0
	ds_bpermute_b32 v4, v4, v9
	s_waitcnt lgkmcnt(0)
	v_add_f32_e32 v3, v9, v4
	v_lshlrev_b32_e32 v4, 2, v5
	ds_bpermute_b32 v4, v4, v3
	s_and_b32 exec_lo, exec_lo, vcc_lo
	s_cbranch_execz .LBB15_15
; %bb.11:
	s_waitcnt lgkmcnt(0)
	v_add_f32_e32 v0, v3, v4
	v_cmp_eq_f32_e64 s1, s8, 0
	v_mul_f32_e32 v0, s10, v0
	s_and_b32 vcc_lo, exec_lo, s1
	s_cbranch_vccz .LBB15_13
; %bb.12:
	v_add_co_u32 v3, vcc_lo, s6, v1
	v_add_co_ci_u32_e64 v4, null, s7, v2, vcc_lo
	s_mov_b32 s0, 0
	global_store_dword v[3:4], v0, off
.LBB15_13:
	s_andn2_b32 vcc_lo, exec_lo, s0
	s_cbranch_vccnz .LBB15_15
; %bb.14:
	v_add_co_u32 v1, vcc_lo, s6, v1
	v_add_co_ci_u32_e64 v2, null, s7, v2, vcc_lo
	global_load_dword v3, v[1:2], off
	s_waitcnt vmcnt(0)
	v_fmac_f32_e32 v0, s8, v3
	global_store_dword v[1:2], v0, off
.LBB15_15:
	s_endpgm
	.section	.rodata,"a",@progbits
	.p2align	6, 0x0
	.amdhsa_kernel _ZN9rocsparseL19gebsrmvn_1xn_kernelILj128ELj5ELj4EfEEvi20rocsparse_direction_NS_24const_host_device_scalarIT2_EEPKiS6_PKS3_S8_S4_PS3_21rocsparse_index_base_b
		.amdhsa_group_segment_fixed_size 0
		.amdhsa_private_segment_fixed_size 0
		.amdhsa_kernarg_size 72
		.amdhsa_user_sgpr_count 6
		.amdhsa_user_sgpr_private_segment_buffer 1
		.amdhsa_user_sgpr_dispatch_ptr 0
		.amdhsa_user_sgpr_queue_ptr 0
		.amdhsa_user_sgpr_kernarg_segment_ptr 1
		.amdhsa_user_sgpr_dispatch_id 0
		.amdhsa_user_sgpr_flat_scratch_init 0
		.amdhsa_user_sgpr_private_segment_size 0
		.amdhsa_wavefront_size32 1
		.amdhsa_uses_dynamic_stack 0
		.amdhsa_system_sgpr_private_segment_wavefront_offset 0
		.amdhsa_system_sgpr_workgroup_id_x 1
		.amdhsa_system_sgpr_workgroup_id_y 0
		.amdhsa_system_sgpr_workgroup_id_z 0
		.amdhsa_system_sgpr_workgroup_info 0
		.amdhsa_system_vgpr_workitem_id 0
		.amdhsa_next_free_vgpr 26
		.amdhsa_next_free_sgpr 14
		.amdhsa_reserve_vcc 1
		.amdhsa_reserve_flat_scratch 0
		.amdhsa_float_round_mode_32 0
		.amdhsa_float_round_mode_16_64 0
		.amdhsa_float_denorm_mode_32 3
		.amdhsa_float_denorm_mode_16_64 3
		.amdhsa_dx10_clamp 1
		.amdhsa_ieee_mode 1
		.amdhsa_fp16_overflow 0
		.amdhsa_workgroup_processor_mode 1
		.amdhsa_memory_ordered 1
		.amdhsa_forward_progress 1
		.amdhsa_shared_vgpr_count 0
		.amdhsa_exception_fp_ieee_invalid_op 0
		.amdhsa_exception_fp_denorm_src 0
		.amdhsa_exception_fp_ieee_div_zero 0
		.amdhsa_exception_fp_ieee_overflow 0
		.amdhsa_exception_fp_ieee_underflow 0
		.amdhsa_exception_fp_ieee_inexact 0
		.amdhsa_exception_int_div_zero 0
	.end_amdhsa_kernel
	.section	.text._ZN9rocsparseL19gebsrmvn_1xn_kernelILj128ELj5ELj4EfEEvi20rocsparse_direction_NS_24const_host_device_scalarIT2_EEPKiS6_PKS3_S8_S4_PS3_21rocsparse_index_base_b,"axG",@progbits,_ZN9rocsparseL19gebsrmvn_1xn_kernelILj128ELj5ELj4EfEEvi20rocsparse_direction_NS_24const_host_device_scalarIT2_EEPKiS6_PKS3_S8_S4_PS3_21rocsparse_index_base_b,comdat
.Lfunc_end15:
	.size	_ZN9rocsparseL19gebsrmvn_1xn_kernelILj128ELj5ELj4EfEEvi20rocsparse_direction_NS_24const_host_device_scalarIT2_EEPKiS6_PKS3_S8_S4_PS3_21rocsparse_index_base_b, .Lfunc_end15-_ZN9rocsparseL19gebsrmvn_1xn_kernelILj128ELj5ELj4EfEEvi20rocsparse_direction_NS_24const_host_device_scalarIT2_EEPKiS6_PKS3_S8_S4_PS3_21rocsparse_index_base_b
                                        ; -- End function
	.set _ZN9rocsparseL19gebsrmvn_1xn_kernelILj128ELj5ELj4EfEEvi20rocsparse_direction_NS_24const_host_device_scalarIT2_EEPKiS6_PKS3_S8_S4_PS3_21rocsparse_index_base_b.num_vgpr, 26
	.set _ZN9rocsparseL19gebsrmvn_1xn_kernelILj128ELj5ELj4EfEEvi20rocsparse_direction_NS_24const_host_device_scalarIT2_EEPKiS6_PKS3_S8_S4_PS3_21rocsparse_index_base_b.num_agpr, 0
	.set _ZN9rocsparseL19gebsrmvn_1xn_kernelILj128ELj5ELj4EfEEvi20rocsparse_direction_NS_24const_host_device_scalarIT2_EEPKiS6_PKS3_S8_S4_PS3_21rocsparse_index_base_b.numbered_sgpr, 14
	.set _ZN9rocsparseL19gebsrmvn_1xn_kernelILj128ELj5ELj4EfEEvi20rocsparse_direction_NS_24const_host_device_scalarIT2_EEPKiS6_PKS3_S8_S4_PS3_21rocsparse_index_base_b.num_named_barrier, 0
	.set _ZN9rocsparseL19gebsrmvn_1xn_kernelILj128ELj5ELj4EfEEvi20rocsparse_direction_NS_24const_host_device_scalarIT2_EEPKiS6_PKS3_S8_S4_PS3_21rocsparse_index_base_b.private_seg_size, 0
	.set _ZN9rocsparseL19gebsrmvn_1xn_kernelILj128ELj5ELj4EfEEvi20rocsparse_direction_NS_24const_host_device_scalarIT2_EEPKiS6_PKS3_S8_S4_PS3_21rocsparse_index_base_b.uses_vcc, 1
	.set _ZN9rocsparseL19gebsrmvn_1xn_kernelILj128ELj5ELj4EfEEvi20rocsparse_direction_NS_24const_host_device_scalarIT2_EEPKiS6_PKS3_S8_S4_PS3_21rocsparse_index_base_b.uses_flat_scratch, 0
	.set _ZN9rocsparseL19gebsrmvn_1xn_kernelILj128ELj5ELj4EfEEvi20rocsparse_direction_NS_24const_host_device_scalarIT2_EEPKiS6_PKS3_S8_S4_PS3_21rocsparse_index_base_b.has_dyn_sized_stack, 0
	.set _ZN9rocsparseL19gebsrmvn_1xn_kernelILj128ELj5ELj4EfEEvi20rocsparse_direction_NS_24const_host_device_scalarIT2_EEPKiS6_PKS3_S8_S4_PS3_21rocsparse_index_base_b.has_recursion, 0
	.set _ZN9rocsparseL19gebsrmvn_1xn_kernelILj128ELj5ELj4EfEEvi20rocsparse_direction_NS_24const_host_device_scalarIT2_EEPKiS6_PKS3_S8_S4_PS3_21rocsparse_index_base_b.has_indirect_call, 0
	.section	.AMDGPU.csdata,"",@progbits
; Kernel info:
; codeLenInByte = 968
; TotalNumSgprs: 16
; NumVgprs: 26
; ScratchSize: 0
; MemoryBound: 0
; FloatMode: 240
; IeeeMode: 1
; LDSByteSize: 0 bytes/workgroup (compile time only)
; SGPRBlocks: 0
; VGPRBlocks: 3
; NumSGPRsForWavesPerEU: 16
; NumVGPRsForWavesPerEU: 26
; Occupancy: 16
; WaveLimiterHint : 1
; COMPUTE_PGM_RSRC2:SCRATCH_EN: 0
; COMPUTE_PGM_RSRC2:USER_SGPR: 6
; COMPUTE_PGM_RSRC2:TRAP_HANDLER: 0
; COMPUTE_PGM_RSRC2:TGID_X_EN: 1
; COMPUTE_PGM_RSRC2:TGID_Y_EN: 0
; COMPUTE_PGM_RSRC2:TGID_Z_EN: 0
; COMPUTE_PGM_RSRC2:TIDIG_COMP_CNT: 0
	.section	.text._ZN9rocsparseL19gebsrmvn_1xn_kernelILj128ELj5ELj8EfEEvi20rocsparse_direction_NS_24const_host_device_scalarIT2_EEPKiS6_PKS3_S8_S4_PS3_21rocsparse_index_base_b,"axG",@progbits,_ZN9rocsparseL19gebsrmvn_1xn_kernelILj128ELj5ELj8EfEEvi20rocsparse_direction_NS_24const_host_device_scalarIT2_EEPKiS6_PKS3_S8_S4_PS3_21rocsparse_index_base_b,comdat
	.globl	_ZN9rocsparseL19gebsrmvn_1xn_kernelILj128ELj5ELj8EfEEvi20rocsparse_direction_NS_24const_host_device_scalarIT2_EEPKiS6_PKS3_S8_S4_PS3_21rocsparse_index_base_b ; -- Begin function _ZN9rocsparseL19gebsrmvn_1xn_kernelILj128ELj5ELj8EfEEvi20rocsparse_direction_NS_24const_host_device_scalarIT2_EEPKiS6_PKS3_S8_S4_PS3_21rocsparse_index_base_b
	.p2align	8
	.type	_ZN9rocsparseL19gebsrmvn_1xn_kernelILj128ELj5ELj8EfEEvi20rocsparse_direction_NS_24const_host_device_scalarIT2_EEPKiS6_PKS3_S8_S4_PS3_21rocsparse_index_base_b,@function
_ZN9rocsparseL19gebsrmvn_1xn_kernelILj128ELj5ELj8EfEEvi20rocsparse_direction_NS_24const_host_device_scalarIT2_EEPKiS6_PKS3_S8_S4_PS3_21rocsparse_index_base_b: ; @_ZN9rocsparseL19gebsrmvn_1xn_kernelILj128ELj5ELj8EfEEvi20rocsparse_direction_NS_24const_host_device_scalarIT2_EEPKiS6_PKS3_S8_S4_PS3_21rocsparse_index_base_b
; %bb.0:
	s_clause 0x2
	s_load_dwordx2 s[12:13], s[4:5], 0x40
	s_load_dwordx2 s[10:11], s[4:5], 0x8
	;; [unrolled: 1-line block ×3, first 2 shown]
	s_waitcnt lgkmcnt(0)
	s_bitcmp1_b32 s13, 0
	s_cselect_b32 s0, -1, 0
	s_and_b32 vcc_lo, exec_lo, s0
	s_xor_b32 s0, s0, -1
	s_cbranch_vccnz .LBB16_2
; %bb.1:
	s_load_dword s10, s[10:11], 0x0
.LBB16_2:
	s_andn2_b32 vcc_lo, exec_lo, s0
	s_cbranch_vccnz .LBB16_4
; %bb.3:
	s_load_dword s8, s[8:9], 0x0
.LBB16_4:
	s_waitcnt lgkmcnt(0)
	v_cmp_eq_f32_e64 s0, s10, 0
	v_cmp_eq_f32_e64 s1, s8, 1.0
	s_and_b32 s0, s0, s1
	s_and_b32 vcc_lo, exec_lo, s0
	s_cbranch_vccnz .LBB16_15
; %bb.5:
	s_load_dword s0, s[4:5], 0x0
	v_lshrrev_b32_e32 v1, 3, v0
	v_lshl_or_b32 v1, s6, 4, v1
	s_waitcnt lgkmcnt(0)
	v_cmp_gt_i32_e32 vcc_lo, s0, v1
	s_and_saveexec_b32 s0, vcc_lo
	s_cbranch_execz .LBB16_15
; %bb.6:
	s_clause 0x1
	s_load_dwordx2 s[0:1], s[4:5], 0x10
	s_load_dwordx2 s[6:7], s[4:5], 0x38
	v_ashrrev_i32_e32 v2, 31, v1
	v_and_b32_e32 v0, 7, v0
	v_mov_b32_e32 v9, 0
	s_mov_b32 s9, exec_lo
	v_lshlrev_b64 v[1:2], 2, v[1:2]
	v_subrev_nc_u32_e32 v5, s12, v0
	s_waitcnt lgkmcnt(0)
	v_add_co_u32 v3, vcc_lo, s0, v1
	v_add_co_ci_u32_e64 v4, null, s1, v2, vcc_lo
	global_load_dwordx2 v[3:4], v[3:4], off
	s_waitcnt vmcnt(0)
	v_subrev_nc_u32_e32 v10, s12, v4
	v_add_nc_u32_e32 v3, v3, v5
	v_cmpx_lt_i32_e64 v3, v10
	s_cbranch_execz .LBB16_10
; %bb.7:
	s_clause 0x1
	s_load_dwordx4 s[0:3], s[4:5], 0x18
	s_load_dwordx2 s[4:5], s[4:5], 0x28
	v_mad_u64_u32 v[5:6], null, v3, 5, 4
	v_mov_b32_e32 v8, 0
	v_mov_b32_e32 v9, 0
	s_mov_b32 s11, 0
.LBB16_8:                               ; =>This Inner Loop Header: Depth=1
	v_ashrrev_i32_e32 v4, 31, v3
	v_mov_b32_e32 v12, v8
	v_lshlrev_b64 v[6:7], 2, v[3:4]
	v_add_nc_u32_e32 v3, 8, v3
	s_waitcnt lgkmcnt(0)
	v_add_co_u32 v6, vcc_lo, s0, v6
	v_add_co_ci_u32_e64 v7, null, s1, v7, vcc_lo
	global_load_dword v4, v[6:7], off
	v_add_nc_u32_e32 v7, -4, v5
	v_mov_b32_e32 v6, v8
	v_lshlrev_b64 v[13:14], 2, v[7:8]
	v_add_nc_u32_e32 v7, -3, v5
	v_lshlrev_b64 v[15:16], 2, v[5:6]
	v_lshlrev_b64 v[6:7], 2, v[7:8]
	v_add_co_u32 v13, vcc_lo, s2, v13
	v_add_co_ci_u32_e64 v14, null, s3, v14, vcc_lo
	v_add_co_u32 v15, vcc_lo, s2, v15
	v_add_co_ci_u32_e64 v16, null, s3, v16, vcc_lo
	;; [unrolled: 2-line block ×3, first 2 shown]
	s_clause 0x1
	global_load_dword v21, v[13:14], off
	global_load_dword v22, v[6:7], off
	s_waitcnt vmcnt(2)
	v_subrev_nc_u32_e32 v4, s12, v4
	v_lshl_add_u32 v11, v4, 2, v4
	v_add_nc_u32_e32 v7, 1, v11
	v_lshlrev_b64 v[12:13], 2, v[11:12]
	v_lshlrev_b64 v[17:18], 2, v[7:8]
	v_add_nc_u32_e32 v7, -2, v5
	v_add_co_u32 v12, vcc_lo, s4, v12
	v_add_co_ci_u32_e64 v13, null, s5, v13, vcc_lo
	v_add_co_u32 v17, vcc_lo, s4, v17
	v_lshlrev_b64 v[19:20], 2, v[7:8]
	v_add_nc_u32_e32 v7, 2, v11
	v_add_co_ci_u32_e64 v18, null, s5, v18, vcc_lo
	s_clause 0x1
	global_load_dword v4, v[12:13], off
	global_load_dword v23, v[17:18], off
	v_lshlrev_b64 v[12:13], 2, v[7:8]
	v_add_nc_u32_e32 v7, -1, v5
	v_add_co_u32 v17, vcc_lo, s2, v19
	v_add_co_ci_u32_e64 v18, null, s3, v20, vcc_lo
	v_lshlrev_b64 v[19:20], 2, v[7:8]
	v_add_nc_u32_e32 v7, 3, v11
	v_add_co_u32 v12, vcc_lo, s4, v12
	global_load_dword v24, v[17:18], off
	v_add_co_ci_u32_e64 v13, null, s5, v13, vcc_lo
	v_lshlrev_b64 v[17:18], 2, v[7:8]
	v_add_nc_u32_e32 v7, 4, v11
	v_add_co_u32 v11, vcc_lo, s2, v19
	global_load_dword v25, v[12:13], off
	v_add_co_ci_u32_e64 v12, null, s3, v20, vcc_lo
	v_lshlrev_b64 v[6:7], 2, v[7:8]
	v_add_co_u32 v13, vcc_lo, s4, v17
	v_add_co_ci_u32_e64 v14, null, s5, v18, vcc_lo
	global_load_dword v11, v[11:12], off
	global_load_dword v12, v[13:14], off
	v_add_co_u32 v6, vcc_lo, s4, v6
	v_add_co_ci_u32_e64 v7, null, s5, v7, vcc_lo
	global_load_dword v13, v[15:16], off
	global_load_dword v6, v[6:7], off
	v_cmp_ge_i32_e32 vcc_lo, v3, v10
	v_add_nc_u32_e32 v5, 40, v5
	s_or_b32 s11, vcc_lo, s11
	s_waitcnt vmcnt(7)
	v_fmac_f32_e32 v9, v21, v4
	s_waitcnt vmcnt(6)
	v_fmac_f32_e32 v9, v22, v23
	;; [unrolled: 2-line block ×5, first 2 shown]
	s_andn2_b32 exec_lo, exec_lo, s11
	s_cbranch_execnz .LBB16_8
; %bb.9:
	s_or_b32 exec_lo, exec_lo, s11
.LBB16_10:
	s_or_b32 exec_lo, exec_lo, s9
	v_mbcnt_lo_u32_b32 v3, -1, 0
	s_mov_b32 s0, -1
	v_xor_b32_e32 v4, 4, v3
	v_xor_b32_e32 v5, 2, v3
	v_xor_b32_e32 v6, 1, v3
	v_cmp_gt_i32_e32 vcc_lo, 32, v4
	v_cndmask_b32_e32 v4, v3, v4, vcc_lo
	v_cmp_gt_i32_e32 vcc_lo, 32, v5
	v_lshlrev_b32_e32 v4, 2, v4
	v_cndmask_b32_e32 v5, v3, v5, vcc_lo
	v_cmp_gt_i32_e32 vcc_lo, 32, v6
	ds_bpermute_b32 v4, v4, v9
	v_lshlrev_b32_e32 v5, 2, v5
	v_cndmask_b32_e32 v6, v3, v6, vcc_lo
	v_cmp_eq_u32_e32 vcc_lo, 7, v0
	s_waitcnt lgkmcnt(0)
	v_add_f32_e32 v4, v9, v4
	ds_bpermute_b32 v5, v5, v4
	s_waitcnt lgkmcnt(0)
	v_add_f32_e32 v3, v4, v5
	v_lshlrev_b32_e32 v4, 2, v6
	ds_bpermute_b32 v4, v4, v3
	s_and_b32 exec_lo, exec_lo, vcc_lo
	s_cbranch_execz .LBB16_15
; %bb.11:
	s_waitcnt lgkmcnt(0)
	v_add_f32_e32 v0, v3, v4
	v_cmp_eq_f32_e64 s1, s8, 0
	v_mul_f32_e32 v0, s10, v0
	s_and_b32 vcc_lo, exec_lo, s1
	s_cbranch_vccz .LBB16_13
; %bb.12:
	v_add_co_u32 v3, vcc_lo, s6, v1
	v_add_co_ci_u32_e64 v4, null, s7, v2, vcc_lo
	s_mov_b32 s0, 0
	global_store_dword v[3:4], v0, off
.LBB16_13:
	s_andn2_b32 vcc_lo, exec_lo, s0
	s_cbranch_vccnz .LBB16_15
; %bb.14:
	v_add_co_u32 v1, vcc_lo, s6, v1
	v_add_co_ci_u32_e64 v2, null, s7, v2, vcc_lo
	global_load_dword v3, v[1:2], off
	s_waitcnt vmcnt(0)
	v_fmac_f32_e32 v0, s8, v3
	global_store_dword v[1:2], v0, off
.LBB16_15:
	s_endpgm
	.section	.rodata,"a",@progbits
	.p2align	6, 0x0
	.amdhsa_kernel _ZN9rocsparseL19gebsrmvn_1xn_kernelILj128ELj5ELj8EfEEvi20rocsparse_direction_NS_24const_host_device_scalarIT2_EEPKiS6_PKS3_S8_S4_PS3_21rocsparse_index_base_b
		.amdhsa_group_segment_fixed_size 0
		.amdhsa_private_segment_fixed_size 0
		.amdhsa_kernarg_size 72
		.amdhsa_user_sgpr_count 6
		.amdhsa_user_sgpr_private_segment_buffer 1
		.amdhsa_user_sgpr_dispatch_ptr 0
		.amdhsa_user_sgpr_queue_ptr 0
		.amdhsa_user_sgpr_kernarg_segment_ptr 1
		.amdhsa_user_sgpr_dispatch_id 0
		.amdhsa_user_sgpr_flat_scratch_init 0
		.amdhsa_user_sgpr_private_segment_size 0
		.amdhsa_wavefront_size32 1
		.amdhsa_uses_dynamic_stack 0
		.amdhsa_system_sgpr_private_segment_wavefront_offset 0
		.amdhsa_system_sgpr_workgroup_id_x 1
		.amdhsa_system_sgpr_workgroup_id_y 0
		.amdhsa_system_sgpr_workgroup_id_z 0
		.amdhsa_system_sgpr_workgroup_info 0
		.amdhsa_system_vgpr_workitem_id 0
		.amdhsa_next_free_vgpr 26
		.amdhsa_next_free_sgpr 14
		.amdhsa_reserve_vcc 1
		.amdhsa_reserve_flat_scratch 0
		.amdhsa_float_round_mode_32 0
		.amdhsa_float_round_mode_16_64 0
		.amdhsa_float_denorm_mode_32 3
		.amdhsa_float_denorm_mode_16_64 3
		.amdhsa_dx10_clamp 1
		.amdhsa_ieee_mode 1
		.amdhsa_fp16_overflow 0
		.amdhsa_workgroup_processor_mode 1
		.amdhsa_memory_ordered 1
		.amdhsa_forward_progress 1
		.amdhsa_shared_vgpr_count 0
		.amdhsa_exception_fp_ieee_invalid_op 0
		.amdhsa_exception_fp_denorm_src 0
		.amdhsa_exception_fp_ieee_div_zero 0
		.amdhsa_exception_fp_ieee_overflow 0
		.amdhsa_exception_fp_ieee_underflow 0
		.amdhsa_exception_fp_ieee_inexact 0
		.amdhsa_exception_int_div_zero 0
	.end_amdhsa_kernel
	.section	.text._ZN9rocsparseL19gebsrmvn_1xn_kernelILj128ELj5ELj8EfEEvi20rocsparse_direction_NS_24const_host_device_scalarIT2_EEPKiS6_PKS3_S8_S4_PS3_21rocsparse_index_base_b,"axG",@progbits,_ZN9rocsparseL19gebsrmvn_1xn_kernelILj128ELj5ELj8EfEEvi20rocsparse_direction_NS_24const_host_device_scalarIT2_EEPKiS6_PKS3_S8_S4_PS3_21rocsparse_index_base_b,comdat
.Lfunc_end16:
	.size	_ZN9rocsparseL19gebsrmvn_1xn_kernelILj128ELj5ELj8EfEEvi20rocsparse_direction_NS_24const_host_device_scalarIT2_EEPKiS6_PKS3_S8_S4_PS3_21rocsparse_index_base_b, .Lfunc_end16-_ZN9rocsparseL19gebsrmvn_1xn_kernelILj128ELj5ELj8EfEEvi20rocsparse_direction_NS_24const_host_device_scalarIT2_EEPKiS6_PKS3_S8_S4_PS3_21rocsparse_index_base_b
                                        ; -- End function
	.set _ZN9rocsparseL19gebsrmvn_1xn_kernelILj128ELj5ELj8EfEEvi20rocsparse_direction_NS_24const_host_device_scalarIT2_EEPKiS6_PKS3_S8_S4_PS3_21rocsparse_index_base_b.num_vgpr, 26
	.set _ZN9rocsparseL19gebsrmvn_1xn_kernelILj128ELj5ELj8EfEEvi20rocsparse_direction_NS_24const_host_device_scalarIT2_EEPKiS6_PKS3_S8_S4_PS3_21rocsparse_index_base_b.num_agpr, 0
	.set _ZN9rocsparseL19gebsrmvn_1xn_kernelILj128ELj5ELj8EfEEvi20rocsparse_direction_NS_24const_host_device_scalarIT2_EEPKiS6_PKS3_S8_S4_PS3_21rocsparse_index_base_b.numbered_sgpr, 14
	.set _ZN9rocsparseL19gebsrmvn_1xn_kernelILj128ELj5ELj8EfEEvi20rocsparse_direction_NS_24const_host_device_scalarIT2_EEPKiS6_PKS3_S8_S4_PS3_21rocsparse_index_base_b.num_named_barrier, 0
	.set _ZN9rocsparseL19gebsrmvn_1xn_kernelILj128ELj5ELj8EfEEvi20rocsparse_direction_NS_24const_host_device_scalarIT2_EEPKiS6_PKS3_S8_S4_PS3_21rocsparse_index_base_b.private_seg_size, 0
	.set _ZN9rocsparseL19gebsrmvn_1xn_kernelILj128ELj5ELj8EfEEvi20rocsparse_direction_NS_24const_host_device_scalarIT2_EEPKiS6_PKS3_S8_S4_PS3_21rocsparse_index_base_b.uses_vcc, 1
	.set _ZN9rocsparseL19gebsrmvn_1xn_kernelILj128ELj5ELj8EfEEvi20rocsparse_direction_NS_24const_host_device_scalarIT2_EEPKiS6_PKS3_S8_S4_PS3_21rocsparse_index_base_b.uses_flat_scratch, 0
	.set _ZN9rocsparseL19gebsrmvn_1xn_kernelILj128ELj5ELj8EfEEvi20rocsparse_direction_NS_24const_host_device_scalarIT2_EEPKiS6_PKS3_S8_S4_PS3_21rocsparse_index_base_b.has_dyn_sized_stack, 0
	.set _ZN9rocsparseL19gebsrmvn_1xn_kernelILj128ELj5ELj8EfEEvi20rocsparse_direction_NS_24const_host_device_scalarIT2_EEPKiS6_PKS3_S8_S4_PS3_21rocsparse_index_base_b.has_recursion, 0
	.set _ZN9rocsparseL19gebsrmvn_1xn_kernelILj128ELj5ELj8EfEEvi20rocsparse_direction_NS_24const_host_device_scalarIT2_EEPKiS6_PKS3_S8_S4_PS3_21rocsparse_index_base_b.has_indirect_call, 0
	.section	.AMDGPU.csdata,"",@progbits
; Kernel info:
; codeLenInByte = 1000
; TotalNumSgprs: 16
; NumVgprs: 26
; ScratchSize: 0
; MemoryBound: 0
; FloatMode: 240
; IeeeMode: 1
; LDSByteSize: 0 bytes/workgroup (compile time only)
; SGPRBlocks: 0
; VGPRBlocks: 3
; NumSGPRsForWavesPerEU: 16
; NumVGPRsForWavesPerEU: 26
; Occupancy: 16
; WaveLimiterHint : 1
; COMPUTE_PGM_RSRC2:SCRATCH_EN: 0
; COMPUTE_PGM_RSRC2:USER_SGPR: 6
; COMPUTE_PGM_RSRC2:TRAP_HANDLER: 0
; COMPUTE_PGM_RSRC2:TGID_X_EN: 1
; COMPUTE_PGM_RSRC2:TGID_Y_EN: 0
; COMPUTE_PGM_RSRC2:TGID_Z_EN: 0
; COMPUTE_PGM_RSRC2:TIDIG_COMP_CNT: 0
	.section	.text._ZN9rocsparseL19gebsrmvn_1xn_kernelILj128ELj5ELj16EfEEvi20rocsparse_direction_NS_24const_host_device_scalarIT2_EEPKiS6_PKS3_S8_S4_PS3_21rocsparse_index_base_b,"axG",@progbits,_ZN9rocsparseL19gebsrmvn_1xn_kernelILj128ELj5ELj16EfEEvi20rocsparse_direction_NS_24const_host_device_scalarIT2_EEPKiS6_PKS3_S8_S4_PS3_21rocsparse_index_base_b,comdat
	.globl	_ZN9rocsparseL19gebsrmvn_1xn_kernelILj128ELj5ELj16EfEEvi20rocsparse_direction_NS_24const_host_device_scalarIT2_EEPKiS6_PKS3_S8_S4_PS3_21rocsparse_index_base_b ; -- Begin function _ZN9rocsparseL19gebsrmvn_1xn_kernelILj128ELj5ELj16EfEEvi20rocsparse_direction_NS_24const_host_device_scalarIT2_EEPKiS6_PKS3_S8_S4_PS3_21rocsparse_index_base_b
	.p2align	8
	.type	_ZN9rocsparseL19gebsrmvn_1xn_kernelILj128ELj5ELj16EfEEvi20rocsparse_direction_NS_24const_host_device_scalarIT2_EEPKiS6_PKS3_S8_S4_PS3_21rocsparse_index_base_b,@function
_ZN9rocsparseL19gebsrmvn_1xn_kernelILj128ELj5ELj16EfEEvi20rocsparse_direction_NS_24const_host_device_scalarIT2_EEPKiS6_PKS3_S8_S4_PS3_21rocsparse_index_base_b: ; @_ZN9rocsparseL19gebsrmvn_1xn_kernelILj128ELj5ELj16EfEEvi20rocsparse_direction_NS_24const_host_device_scalarIT2_EEPKiS6_PKS3_S8_S4_PS3_21rocsparse_index_base_b
; %bb.0:
	s_clause 0x2
	s_load_dwordx2 s[12:13], s[4:5], 0x40
	s_load_dwordx2 s[10:11], s[4:5], 0x8
	;; [unrolled: 1-line block ×3, first 2 shown]
	s_waitcnt lgkmcnt(0)
	s_bitcmp1_b32 s13, 0
	s_cselect_b32 s0, -1, 0
	s_and_b32 vcc_lo, exec_lo, s0
	s_xor_b32 s0, s0, -1
	s_cbranch_vccnz .LBB17_2
; %bb.1:
	s_load_dword s10, s[10:11], 0x0
.LBB17_2:
	s_andn2_b32 vcc_lo, exec_lo, s0
	s_cbranch_vccnz .LBB17_4
; %bb.3:
	s_load_dword s8, s[8:9], 0x0
.LBB17_4:
	s_waitcnt lgkmcnt(0)
	v_cmp_eq_f32_e64 s0, s10, 0
	v_cmp_eq_f32_e64 s1, s8, 1.0
	s_and_b32 s0, s0, s1
	s_and_b32 vcc_lo, exec_lo, s0
	s_cbranch_vccnz .LBB17_15
; %bb.5:
	s_load_dword s0, s[4:5], 0x0
	v_lshrrev_b32_e32 v1, 4, v0
	v_lshl_or_b32 v1, s6, 3, v1
	s_waitcnt lgkmcnt(0)
	v_cmp_gt_i32_e32 vcc_lo, s0, v1
	s_and_saveexec_b32 s0, vcc_lo
	s_cbranch_execz .LBB17_15
; %bb.6:
	s_clause 0x1
	s_load_dwordx2 s[0:1], s[4:5], 0x10
	s_load_dwordx2 s[6:7], s[4:5], 0x38
	v_ashrrev_i32_e32 v2, 31, v1
	v_and_b32_e32 v0, 15, v0
	v_mov_b32_e32 v9, 0
	s_mov_b32 s9, exec_lo
	v_lshlrev_b64 v[1:2], 2, v[1:2]
	v_subrev_nc_u32_e32 v5, s12, v0
	s_waitcnt lgkmcnt(0)
	v_add_co_u32 v3, vcc_lo, s0, v1
	v_add_co_ci_u32_e64 v4, null, s1, v2, vcc_lo
	global_load_dwordx2 v[3:4], v[3:4], off
	s_waitcnt vmcnt(0)
	v_subrev_nc_u32_e32 v10, s12, v4
	v_add_nc_u32_e32 v3, v3, v5
	v_cmpx_lt_i32_e64 v3, v10
	s_cbranch_execz .LBB17_10
; %bb.7:
	s_clause 0x1
	s_load_dwordx4 s[0:3], s[4:5], 0x18
	s_load_dwordx2 s[4:5], s[4:5], 0x28
	v_mad_u64_u32 v[5:6], null, v3, 5, 4
	v_mov_b32_e32 v8, 0
	v_mov_b32_e32 v9, 0
	s_mov_b32 s11, 0
.LBB17_8:                               ; =>This Inner Loop Header: Depth=1
	v_ashrrev_i32_e32 v4, 31, v3
	v_mov_b32_e32 v12, v8
	v_lshlrev_b64 v[6:7], 2, v[3:4]
	v_add_nc_u32_e32 v3, 16, v3
	s_waitcnt lgkmcnt(0)
	v_add_co_u32 v6, vcc_lo, s0, v6
	v_add_co_ci_u32_e64 v7, null, s1, v7, vcc_lo
	global_load_dword v4, v[6:7], off
	v_add_nc_u32_e32 v7, -4, v5
	v_mov_b32_e32 v6, v8
	v_lshlrev_b64 v[13:14], 2, v[7:8]
	v_add_nc_u32_e32 v7, -3, v5
	v_lshlrev_b64 v[15:16], 2, v[5:6]
	v_lshlrev_b64 v[6:7], 2, v[7:8]
	v_add_co_u32 v13, vcc_lo, s2, v13
	v_add_co_ci_u32_e64 v14, null, s3, v14, vcc_lo
	v_add_co_u32 v15, vcc_lo, s2, v15
	v_add_co_ci_u32_e64 v16, null, s3, v16, vcc_lo
	v_add_co_u32 v6, vcc_lo, s2, v6
	v_add_co_ci_u32_e64 v7, null, s3, v7, vcc_lo
	s_clause 0x1
	global_load_dword v21, v[13:14], off
	global_load_dword v22, v[6:7], off
	s_waitcnt vmcnt(2)
	v_subrev_nc_u32_e32 v4, s12, v4
	v_lshl_add_u32 v11, v4, 2, v4
	v_add_nc_u32_e32 v7, 1, v11
	v_lshlrev_b64 v[12:13], 2, v[11:12]
	v_lshlrev_b64 v[17:18], 2, v[7:8]
	v_add_nc_u32_e32 v7, -2, v5
	v_add_co_u32 v12, vcc_lo, s4, v12
	v_add_co_ci_u32_e64 v13, null, s5, v13, vcc_lo
	v_add_co_u32 v17, vcc_lo, s4, v17
	v_lshlrev_b64 v[19:20], 2, v[7:8]
	v_add_nc_u32_e32 v7, 2, v11
	v_add_co_ci_u32_e64 v18, null, s5, v18, vcc_lo
	s_clause 0x1
	global_load_dword v4, v[12:13], off
	global_load_dword v23, v[17:18], off
	v_lshlrev_b64 v[12:13], 2, v[7:8]
	v_add_nc_u32_e32 v7, -1, v5
	v_add_co_u32 v17, vcc_lo, s2, v19
	v_add_co_ci_u32_e64 v18, null, s3, v20, vcc_lo
	v_lshlrev_b64 v[19:20], 2, v[7:8]
	v_add_nc_u32_e32 v7, 3, v11
	v_add_co_u32 v12, vcc_lo, s4, v12
	global_load_dword v24, v[17:18], off
	v_add_co_ci_u32_e64 v13, null, s5, v13, vcc_lo
	v_lshlrev_b64 v[17:18], 2, v[7:8]
	v_add_nc_u32_e32 v7, 4, v11
	v_add_co_u32 v11, vcc_lo, s2, v19
	global_load_dword v25, v[12:13], off
	v_add_co_ci_u32_e64 v12, null, s3, v20, vcc_lo
	v_lshlrev_b64 v[6:7], 2, v[7:8]
	v_add_co_u32 v13, vcc_lo, s4, v17
	v_add_co_ci_u32_e64 v14, null, s5, v18, vcc_lo
	global_load_dword v11, v[11:12], off
	global_load_dword v12, v[13:14], off
	v_add_co_u32 v6, vcc_lo, s4, v6
	v_add_co_ci_u32_e64 v7, null, s5, v7, vcc_lo
	global_load_dword v13, v[15:16], off
	global_load_dword v6, v[6:7], off
	v_cmp_ge_i32_e32 vcc_lo, v3, v10
	v_add_nc_u32_e32 v5, 0x50, v5
	s_or_b32 s11, vcc_lo, s11
	s_waitcnt vmcnt(7)
	v_fmac_f32_e32 v9, v21, v4
	s_waitcnt vmcnt(6)
	v_fmac_f32_e32 v9, v22, v23
	;; [unrolled: 2-line block ×5, first 2 shown]
	s_andn2_b32 exec_lo, exec_lo, s11
	s_cbranch_execnz .LBB17_8
; %bb.9:
	s_or_b32 exec_lo, exec_lo, s11
.LBB17_10:
	s_or_b32 exec_lo, exec_lo, s9
	v_mbcnt_lo_u32_b32 v3, -1, 0
	s_mov_b32 s0, -1
	v_xor_b32_e32 v4, 8, v3
	v_xor_b32_e32 v5, 4, v3
	;; [unrolled: 1-line block ×3, first 2 shown]
	v_cmp_gt_i32_e32 vcc_lo, 32, v4
	v_cndmask_b32_e32 v4, v3, v4, vcc_lo
	v_cmp_gt_i32_e32 vcc_lo, 32, v5
	v_lshlrev_b32_e32 v4, 2, v4
	v_cndmask_b32_e32 v5, v3, v5, vcc_lo
	v_cmp_gt_i32_e32 vcc_lo, 32, v6
	ds_bpermute_b32 v4, v4, v9
	v_lshlrev_b32_e32 v5, 2, v5
	v_cndmask_b32_e32 v6, v3, v6, vcc_lo
	v_lshlrev_b32_e32 v6, 2, v6
	s_waitcnt lgkmcnt(0)
	v_add_f32_e32 v4, v9, v4
	ds_bpermute_b32 v5, v5, v4
	s_waitcnt lgkmcnt(0)
	v_add_f32_e32 v4, v4, v5
	ds_bpermute_b32 v5, v6, v4
	v_xor_b32_e32 v6, 1, v3
	v_cmp_gt_i32_e32 vcc_lo, 32, v6
	v_cndmask_b32_e32 v6, v3, v6, vcc_lo
	v_cmp_eq_u32_e32 vcc_lo, 15, v0
	s_waitcnt lgkmcnt(0)
	v_add_f32_e32 v3, v4, v5
	v_lshlrev_b32_e32 v4, 2, v6
	ds_bpermute_b32 v4, v4, v3
	s_and_b32 exec_lo, exec_lo, vcc_lo
	s_cbranch_execz .LBB17_15
; %bb.11:
	s_waitcnt lgkmcnt(0)
	v_add_f32_e32 v0, v3, v4
	v_cmp_eq_f32_e64 s1, s8, 0
	v_mul_f32_e32 v0, s10, v0
	s_and_b32 vcc_lo, exec_lo, s1
	s_cbranch_vccz .LBB17_13
; %bb.12:
	v_add_co_u32 v3, vcc_lo, s6, v1
	v_add_co_ci_u32_e64 v4, null, s7, v2, vcc_lo
	s_mov_b32 s0, 0
	global_store_dword v[3:4], v0, off
.LBB17_13:
	s_andn2_b32 vcc_lo, exec_lo, s0
	s_cbranch_vccnz .LBB17_15
; %bb.14:
	v_add_co_u32 v1, vcc_lo, s6, v1
	v_add_co_ci_u32_e64 v2, null, s7, v2, vcc_lo
	global_load_dword v3, v[1:2], off
	s_waitcnt vmcnt(0)
	v_fmac_f32_e32 v0, s8, v3
	global_store_dword v[1:2], v0, off
.LBB17_15:
	s_endpgm
	.section	.rodata,"a",@progbits
	.p2align	6, 0x0
	.amdhsa_kernel _ZN9rocsparseL19gebsrmvn_1xn_kernelILj128ELj5ELj16EfEEvi20rocsparse_direction_NS_24const_host_device_scalarIT2_EEPKiS6_PKS3_S8_S4_PS3_21rocsparse_index_base_b
		.amdhsa_group_segment_fixed_size 0
		.amdhsa_private_segment_fixed_size 0
		.amdhsa_kernarg_size 72
		.amdhsa_user_sgpr_count 6
		.amdhsa_user_sgpr_private_segment_buffer 1
		.amdhsa_user_sgpr_dispatch_ptr 0
		.amdhsa_user_sgpr_queue_ptr 0
		.amdhsa_user_sgpr_kernarg_segment_ptr 1
		.amdhsa_user_sgpr_dispatch_id 0
		.amdhsa_user_sgpr_flat_scratch_init 0
		.amdhsa_user_sgpr_private_segment_size 0
		.amdhsa_wavefront_size32 1
		.amdhsa_uses_dynamic_stack 0
		.amdhsa_system_sgpr_private_segment_wavefront_offset 0
		.amdhsa_system_sgpr_workgroup_id_x 1
		.amdhsa_system_sgpr_workgroup_id_y 0
		.amdhsa_system_sgpr_workgroup_id_z 0
		.amdhsa_system_sgpr_workgroup_info 0
		.amdhsa_system_vgpr_workitem_id 0
		.amdhsa_next_free_vgpr 26
		.amdhsa_next_free_sgpr 14
		.amdhsa_reserve_vcc 1
		.amdhsa_reserve_flat_scratch 0
		.amdhsa_float_round_mode_32 0
		.amdhsa_float_round_mode_16_64 0
		.amdhsa_float_denorm_mode_32 3
		.amdhsa_float_denorm_mode_16_64 3
		.amdhsa_dx10_clamp 1
		.amdhsa_ieee_mode 1
		.amdhsa_fp16_overflow 0
		.amdhsa_workgroup_processor_mode 1
		.amdhsa_memory_ordered 1
		.amdhsa_forward_progress 1
		.amdhsa_shared_vgpr_count 0
		.amdhsa_exception_fp_ieee_invalid_op 0
		.amdhsa_exception_fp_denorm_src 0
		.amdhsa_exception_fp_ieee_div_zero 0
		.amdhsa_exception_fp_ieee_overflow 0
		.amdhsa_exception_fp_ieee_underflow 0
		.amdhsa_exception_fp_ieee_inexact 0
		.amdhsa_exception_int_div_zero 0
	.end_amdhsa_kernel
	.section	.text._ZN9rocsparseL19gebsrmvn_1xn_kernelILj128ELj5ELj16EfEEvi20rocsparse_direction_NS_24const_host_device_scalarIT2_EEPKiS6_PKS3_S8_S4_PS3_21rocsparse_index_base_b,"axG",@progbits,_ZN9rocsparseL19gebsrmvn_1xn_kernelILj128ELj5ELj16EfEEvi20rocsparse_direction_NS_24const_host_device_scalarIT2_EEPKiS6_PKS3_S8_S4_PS3_21rocsparse_index_base_b,comdat
.Lfunc_end17:
	.size	_ZN9rocsparseL19gebsrmvn_1xn_kernelILj128ELj5ELj16EfEEvi20rocsparse_direction_NS_24const_host_device_scalarIT2_EEPKiS6_PKS3_S8_S4_PS3_21rocsparse_index_base_b, .Lfunc_end17-_ZN9rocsparseL19gebsrmvn_1xn_kernelILj128ELj5ELj16EfEEvi20rocsparse_direction_NS_24const_host_device_scalarIT2_EEPKiS6_PKS3_S8_S4_PS3_21rocsparse_index_base_b
                                        ; -- End function
	.set _ZN9rocsparseL19gebsrmvn_1xn_kernelILj128ELj5ELj16EfEEvi20rocsparse_direction_NS_24const_host_device_scalarIT2_EEPKiS6_PKS3_S8_S4_PS3_21rocsparse_index_base_b.num_vgpr, 26
	.set _ZN9rocsparseL19gebsrmvn_1xn_kernelILj128ELj5ELj16EfEEvi20rocsparse_direction_NS_24const_host_device_scalarIT2_EEPKiS6_PKS3_S8_S4_PS3_21rocsparse_index_base_b.num_agpr, 0
	.set _ZN9rocsparseL19gebsrmvn_1xn_kernelILj128ELj5ELj16EfEEvi20rocsparse_direction_NS_24const_host_device_scalarIT2_EEPKiS6_PKS3_S8_S4_PS3_21rocsparse_index_base_b.numbered_sgpr, 14
	.set _ZN9rocsparseL19gebsrmvn_1xn_kernelILj128ELj5ELj16EfEEvi20rocsparse_direction_NS_24const_host_device_scalarIT2_EEPKiS6_PKS3_S8_S4_PS3_21rocsparse_index_base_b.num_named_barrier, 0
	.set _ZN9rocsparseL19gebsrmvn_1xn_kernelILj128ELj5ELj16EfEEvi20rocsparse_direction_NS_24const_host_device_scalarIT2_EEPKiS6_PKS3_S8_S4_PS3_21rocsparse_index_base_b.private_seg_size, 0
	.set _ZN9rocsparseL19gebsrmvn_1xn_kernelILj128ELj5ELj16EfEEvi20rocsparse_direction_NS_24const_host_device_scalarIT2_EEPKiS6_PKS3_S8_S4_PS3_21rocsparse_index_base_b.uses_vcc, 1
	.set _ZN9rocsparseL19gebsrmvn_1xn_kernelILj128ELj5ELj16EfEEvi20rocsparse_direction_NS_24const_host_device_scalarIT2_EEPKiS6_PKS3_S8_S4_PS3_21rocsparse_index_base_b.uses_flat_scratch, 0
	.set _ZN9rocsparseL19gebsrmvn_1xn_kernelILj128ELj5ELj16EfEEvi20rocsparse_direction_NS_24const_host_device_scalarIT2_EEPKiS6_PKS3_S8_S4_PS3_21rocsparse_index_base_b.has_dyn_sized_stack, 0
	.set _ZN9rocsparseL19gebsrmvn_1xn_kernelILj128ELj5ELj16EfEEvi20rocsparse_direction_NS_24const_host_device_scalarIT2_EEPKiS6_PKS3_S8_S4_PS3_21rocsparse_index_base_b.has_recursion, 0
	.set _ZN9rocsparseL19gebsrmvn_1xn_kernelILj128ELj5ELj16EfEEvi20rocsparse_direction_NS_24const_host_device_scalarIT2_EEPKiS6_PKS3_S8_S4_PS3_21rocsparse_index_base_b.has_indirect_call, 0
	.section	.AMDGPU.csdata,"",@progbits
; Kernel info:
; codeLenInByte = 1036
; TotalNumSgprs: 16
; NumVgprs: 26
; ScratchSize: 0
; MemoryBound: 0
; FloatMode: 240
; IeeeMode: 1
; LDSByteSize: 0 bytes/workgroup (compile time only)
; SGPRBlocks: 0
; VGPRBlocks: 3
; NumSGPRsForWavesPerEU: 16
; NumVGPRsForWavesPerEU: 26
; Occupancy: 16
; WaveLimiterHint : 1
; COMPUTE_PGM_RSRC2:SCRATCH_EN: 0
; COMPUTE_PGM_RSRC2:USER_SGPR: 6
; COMPUTE_PGM_RSRC2:TRAP_HANDLER: 0
; COMPUTE_PGM_RSRC2:TGID_X_EN: 1
; COMPUTE_PGM_RSRC2:TGID_Y_EN: 0
; COMPUTE_PGM_RSRC2:TGID_Z_EN: 0
; COMPUTE_PGM_RSRC2:TIDIG_COMP_CNT: 0
	.section	.text._ZN9rocsparseL19gebsrmvn_1xn_kernelILj128ELj5ELj32EfEEvi20rocsparse_direction_NS_24const_host_device_scalarIT2_EEPKiS6_PKS3_S8_S4_PS3_21rocsparse_index_base_b,"axG",@progbits,_ZN9rocsparseL19gebsrmvn_1xn_kernelILj128ELj5ELj32EfEEvi20rocsparse_direction_NS_24const_host_device_scalarIT2_EEPKiS6_PKS3_S8_S4_PS3_21rocsparse_index_base_b,comdat
	.globl	_ZN9rocsparseL19gebsrmvn_1xn_kernelILj128ELj5ELj32EfEEvi20rocsparse_direction_NS_24const_host_device_scalarIT2_EEPKiS6_PKS3_S8_S4_PS3_21rocsparse_index_base_b ; -- Begin function _ZN9rocsparseL19gebsrmvn_1xn_kernelILj128ELj5ELj32EfEEvi20rocsparse_direction_NS_24const_host_device_scalarIT2_EEPKiS6_PKS3_S8_S4_PS3_21rocsparse_index_base_b
	.p2align	8
	.type	_ZN9rocsparseL19gebsrmvn_1xn_kernelILj128ELj5ELj32EfEEvi20rocsparse_direction_NS_24const_host_device_scalarIT2_EEPKiS6_PKS3_S8_S4_PS3_21rocsparse_index_base_b,@function
_ZN9rocsparseL19gebsrmvn_1xn_kernelILj128ELj5ELj32EfEEvi20rocsparse_direction_NS_24const_host_device_scalarIT2_EEPKiS6_PKS3_S8_S4_PS3_21rocsparse_index_base_b: ; @_ZN9rocsparseL19gebsrmvn_1xn_kernelILj128ELj5ELj32EfEEvi20rocsparse_direction_NS_24const_host_device_scalarIT2_EEPKiS6_PKS3_S8_S4_PS3_21rocsparse_index_base_b
; %bb.0:
	s_clause 0x2
	s_load_dwordx2 s[12:13], s[4:5], 0x40
	s_load_dwordx2 s[10:11], s[4:5], 0x8
	;; [unrolled: 1-line block ×3, first 2 shown]
	s_waitcnt lgkmcnt(0)
	s_bitcmp1_b32 s13, 0
	s_cselect_b32 s0, -1, 0
	s_and_b32 vcc_lo, exec_lo, s0
	s_xor_b32 s0, s0, -1
	s_cbranch_vccnz .LBB18_2
; %bb.1:
	s_load_dword s10, s[10:11], 0x0
.LBB18_2:
	s_andn2_b32 vcc_lo, exec_lo, s0
	s_cbranch_vccnz .LBB18_4
; %bb.3:
	s_load_dword s8, s[8:9], 0x0
.LBB18_4:
	s_waitcnt lgkmcnt(0)
	v_cmp_eq_f32_e64 s0, s10, 0
	v_cmp_eq_f32_e64 s1, s8, 1.0
	s_and_b32 s0, s0, s1
	s_and_b32 vcc_lo, exec_lo, s0
	s_cbranch_vccnz .LBB18_15
; %bb.5:
	s_load_dword s0, s[4:5], 0x0
	v_lshrrev_b32_e32 v1, 5, v0
	v_lshl_or_b32 v1, s6, 2, v1
	s_waitcnt lgkmcnt(0)
	v_cmp_gt_i32_e32 vcc_lo, s0, v1
	s_and_saveexec_b32 s0, vcc_lo
	s_cbranch_execz .LBB18_15
; %bb.6:
	s_clause 0x1
	s_load_dwordx2 s[0:1], s[4:5], 0x10
	s_load_dwordx2 s[6:7], s[4:5], 0x38
	v_ashrrev_i32_e32 v2, 31, v1
	v_and_b32_e32 v0, 31, v0
	v_mov_b32_e32 v9, 0
	s_mov_b32 s9, exec_lo
	v_lshlrev_b64 v[1:2], 2, v[1:2]
	v_subrev_nc_u32_e32 v5, s12, v0
	s_waitcnt lgkmcnt(0)
	v_add_co_u32 v3, vcc_lo, s0, v1
	v_add_co_ci_u32_e64 v4, null, s1, v2, vcc_lo
	global_load_dwordx2 v[3:4], v[3:4], off
	s_waitcnt vmcnt(0)
	v_subrev_nc_u32_e32 v10, s12, v4
	v_add_nc_u32_e32 v3, v3, v5
	v_cmpx_lt_i32_e64 v3, v10
	s_cbranch_execz .LBB18_10
; %bb.7:
	s_clause 0x1
	s_load_dwordx4 s[0:3], s[4:5], 0x18
	s_load_dwordx2 s[4:5], s[4:5], 0x28
	v_mad_u64_u32 v[5:6], null, v3, 5, 4
	v_mov_b32_e32 v8, 0
	v_mov_b32_e32 v9, 0
	s_mov_b32 s11, 0
.LBB18_8:                               ; =>This Inner Loop Header: Depth=1
	v_ashrrev_i32_e32 v4, 31, v3
	v_mov_b32_e32 v12, v8
	v_lshlrev_b64 v[6:7], 2, v[3:4]
	v_add_nc_u32_e32 v3, 32, v3
	s_waitcnt lgkmcnt(0)
	v_add_co_u32 v6, vcc_lo, s0, v6
	v_add_co_ci_u32_e64 v7, null, s1, v7, vcc_lo
	global_load_dword v4, v[6:7], off
	v_add_nc_u32_e32 v7, -4, v5
	v_mov_b32_e32 v6, v8
	v_lshlrev_b64 v[13:14], 2, v[7:8]
	v_add_nc_u32_e32 v7, -3, v5
	v_lshlrev_b64 v[15:16], 2, v[5:6]
	v_lshlrev_b64 v[6:7], 2, v[7:8]
	v_add_co_u32 v13, vcc_lo, s2, v13
	v_add_co_ci_u32_e64 v14, null, s3, v14, vcc_lo
	v_add_co_u32 v15, vcc_lo, s2, v15
	v_add_co_ci_u32_e64 v16, null, s3, v16, vcc_lo
	;; [unrolled: 2-line block ×3, first 2 shown]
	s_clause 0x1
	global_load_dword v21, v[13:14], off
	global_load_dword v22, v[6:7], off
	s_waitcnt vmcnt(2)
	v_subrev_nc_u32_e32 v4, s12, v4
	v_lshl_add_u32 v11, v4, 2, v4
	v_add_nc_u32_e32 v7, 1, v11
	v_lshlrev_b64 v[12:13], 2, v[11:12]
	v_lshlrev_b64 v[17:18], 2, v[7:8]
	v_add_nc_u32_e32 v7, -2, v5
	v_add_co_u32 v12, vcc_lo, s4, v12
	v_add_co_ci_u32_e64 v13, null, s5, v13, vcc_lo
	v_add_co_u32 v17, vcc_lo, s4, v17
	v_lshlrev_b64 v[19:20], 2, v[7:8]
	v_add_nc_u32_e32 v7, 2, v11
	v_add_co_ci_u32_e64 v18, null, s5, v18, vcc_lo
	s_clause 0x1
	global_load_dword v4, v[12:13], off
	global_load_dword v23, v[17:18], off
	v_lshlrev_b64 v[12:13], 2, v[7:8]
	v_add_nc_u32_e32 v7, -1, v5
	v_add_co_u32 v17, vcc_lo, s2, v19
	v_add_co_ci_u32_e64 v18, null, s3, v20, vcc_lo
	v_lshlrev_b64 v[19:20], 2, v[7:8]
	v_add_nc_u32_e32 v7, 3, v11
	v_add_co_u32 v12, vcc_lo, s4, v12
	global_load_dword v24, v[17:18], off
	v_add_co_ci_u32_e64 v13, null, s5, v13, vcc_lo
	v_lshlrev_b64 v[17:18], 2, v[7:8]
	v_add_nc_u32_e32 v7, 4, v11
	v_add_co_u32 v11, vcc_lo, s2, v19
	global_load_dword v25, v[12:13], off
	v_add_co_ci_u32_e64 v12, null, s3, v20, vcc_lo
	v_lshlrev_b64 v[6:7], 2, v[7:8]
	v_add_co_u32 v13, vcc_lo, s4, v17
	v_add_co_ci_u32_e64 v14, null, s5, v18, vcc_lo
	global_load_dword v11, v[11:12], off
	global_load_dword v12, v[13:14], off
	v_add_co_u32 v6, vcc_lo, s4, v6
	v_add_co_ci_u32_e64 v7, null, s5, v7, vcc_lo
	global_load_dword v13, v[15:16], off
	global_load_dword v6, v[6:7], off
	v_cmp_ge_i32_e32 vcc_lo, v3, v10
	v_add_nc_u32_e32 v5, 0xa0, v5
	s_or_b32 s11, vcc_lo, s11
	s_waitcnt vmcnt(7)
	v_fmac_f32_e32 v9, v21, v4
	s_waitcnt vmcnt(6)
	v_fmac_f32_e32 v9, v22, v23
	;; [unrolled: 2-line block ×5, first 2 shown]
	s_andn2_b32 exec_lo, exec_lo, s11
	s_cbranch_execnz .LBB18_8
; %bb.9:
	s_or_b32 exec_lo, exec_lo, s11
.LBB18_10:
	s_or_b32 exec_lo, exec_lo, s9
	v_mbcnt_lo_u32_b32 v3, -1, 0
	s_mov_b32 s0, -1
	v_xor_b32_e32 v4, 16, v3
	v_xor_b32_e32 v5, 8, v3
	;; [unrolled: 1-line block ×3, first 2 shown]
	v_cmp_gt_i32_e32 vcc_lo, 32, v4
	v_cndmask_b32_e32 v4, v3, v4, vcc_lo
	v_cmp_gt_i32_e32 vcc_lo, 32, v5
	v_lshlrev_b32_e32 v4, 2, v4
	v_cndmask_b32_e32 v5, v3, v5, vcc_lo
	v_cmp_gt_i32_e32 vcc_lo, 32, v6
	ds_bpermute_b32 v4, v4, v9
	v_lshlrev_b32_e32 v5, 2, v5
	v_cndmask_b32_e32 v6, v3, v6, vcc_lo
	v_lshlrev_b32_e32 v6, 2, v6
	s_waitcnt lgkmcnt(0)
	v_add_f32_e32 v4, v9, v4
	ds_bpermute_b32 v5, v5, v4
	s_waitcnt lgkmcnt(0)
	v_add_f32_e32 v4, v4, v5
	ds_bpermute_b32 v5, v6, v4
	v_xor_b32_e32 v6, 2, v3
	v_cmp_gt_i32_e32 vcc_lo, 32, v6
	v_cndmask_b32_e32 v6, v3, v6, vcc_lo
	v_lshlrev_b32_e32 v6, 2, v6
	s_waitcnt lgkmcnt(0)
	v_add_f32_e32 v4, v4, v5
	ds_bpermute_b32 v5, v6, v4
	v_xor_b32_e32 v6, 1, v3
	v_cmp_gt_i32_e32 vcc_lo, 32, v6
	v_cndmask_b32_e32 v6, v3, v6, vcc_lo
	v_cmp_eq_u32_e32 vcc_lo, 31, v0
	s_waitcnt lgkmcnt(0)
	v_add_f32_e32 v3, v4, v5
	v_lshlrev_b32_e32 v4, 2, v6
	ds_bpermute_b32 v4, v4, v3
	s_and_b32 exec_lo, exec_lo, vcc_lo
	s_cbranch_execz .LBB18_15
; %bb.11:
	s_waitcnt lgkmcnt(0)
	v_add_f32_e32 v0, v3, v4
	v_cmp_eq_f32_e64 s1, s8, 0
	v_mul_f32_e32 v0, s10, v0
	s_and_b32 vcc_lo, exec_lo, s1
	s_cbranch_vccz .LBB18_13
; %bb.12:
	v_add_co_u32 v3, vcc_lo, s6, v1
	v_add_co_ci_u32_e64 v4, null, s7, v2, vcc_lo
	s_mov_b32 s0, 0
	global_store_dword v[3:4], v0, off
.LBB18_13:
	s_andn2_b32 vcc_lo, exec_lo, s0
	s_cbranch_vccnz .LBB18_15
; %bb.14:
	v_add_co_u32 v1, vcc_lo, s6, v1
	v_add_co_ci_u32_e64 v2, null, s7, v2, vcc_lo
	global_load_dword v3, v[1:2], off
	s_waitcnt vmcnt(0)
	v_fmac_f32_e32 v0, s8, v3
	global_store_dword v[1:2], v0, off
.LBB18_15:
	s_endpgm
	.section	.rodata,"a",@progbits
	.p2align	6, 0x0
	.amdhsa_kernel _ZN9rocsparseL19gebsrmvn_1xn_kernelILj128ELj5ELj32EfEEvi20rocsparse_direction_NS_24const_host_device_scalarIT2_EEPKiS6_PKS3_S8_S4_PS3_21rocsparse_index_base_b
		.amdhsa_group_segment_fixed_size 0
		.amdhsa_private_segment_fixed_size 0
		.amdhsa_kernarg_size 72
		.amdhsa_user_sgpr_count 6
		.amdhsa_user_sgpr_private_segment_buffer 1
		.amdhsa_user_sgpr_dispatch_ptr 0
		.amdhsa_user_sgpr_queue_ptr 0
		.amdhsa_user_sgpr_kernarg_segment_ptr 1
		.amdhsa_user_sgpr_dispatch_id 0
		.amdhsa_user_sgpr_flat_scratch_init 0
		.amdhsa_user_sgpr_private_segment_size 0
		.amdhsa_wavefront_size32 1
		.amdhsa_uses_dynamic_stack 0
		.amdhsa_system_sgpr_private_segment_wavefront_offset 0
		.amdhsa_system_sgpr_workgroup_id_x 1
		.amdhsa_system_sgpr_workgroup_id_y 0
		.amdhsa_system_sgpr_workgroup_id_z 0
		.amdhsa_system_sgpr_workgroup_info 0
		.amdhsa_system_vgpr_workitem_id 0
		.amdhsa_next_free_vgpr 26
		.amdhsa_next_free_sgpr 14
		.amdhsa_reserve_vcc 1
		.amdhsa_reserve_flat_scratch 0
		.amdhsa_float_round_mode_32 0
		.amdhsa_float_round_mode_16_64 0
		.amdhsa_float_denorm_mode_32 3
		.amdhsa_float_denorm_mode_16_64 3
		.amdhsa_dx10_clamp 1
		.amdhsa_ieee_mode 1
		.amdhsa_fp16_overflow 0
		.amdhsa_workgroup_processor_mode 1
		.amdhsa_memory_ordered 1
		.amdhsa_forward_progress 1
		.amdhsa_shared_vgpr_count 0
		.amdhsa_exception_fp_ieee_invalid_op 0
		.amdhsa_exception_fp_denorm_src 0
		.amdhsa_exception_fp_ieee_div_zero 0
		.amdhsa_exception_fp_ieee_overflow 0
		.amdhsa_exception_fp_ieee_underflow 0
		.amdhsa_exception_fp_ieee_inexact 0
		.amdhsa_exception_int_div_zero 0
	.end_amdhsa_kernel
	.section	.text._ZN9rocsparseL19gebsrmvn_1xn_kernelILj128ELj5ELj32EfEEvi20rocsparse_direction_NS_24const_host_device_scalarIT2_EEPKiS6_PKS3_S8_S4_PS3_21rocsparse_index_base_b,"axG",@progbits,_ZN9rocsparseL19gebsrmvn_1xn_kernelILj128ELj5ELj32EfEEvi20rocsparse_direction_NS_24const_host_device_scalarIT2_EEPKiS6_PKS3_S8_S4_PS3_21rocsparse_index_base_b,comdat
.Lfunc_end18:
	.size	_ZN9rocsparseL19gebsrmvn_1xn_kernelILj128ELj5ELj32EfEEvi20rocsparse_direction_NS_24const_host_device_scalarIT2_EEPKiS6_PKS3_S8_S4_PS3_21rocsparse_index_base_b, .Lfunc_end18-_ZN9rocsparseL19gebsrmvn_1xn_kernelILj128ELj5ELj32EfEEvi20rocsparse_direction_NS_24const_host_device_scalarIT2_EEPKiS6_PKS3_S8_S4_PS3_21rocsparse_index_base_b
                                        ; -- End function
	.set _ZN9rocsparseL19gebsrmvn_1xn_kernelILj128ELj5ELj32EfEEvi20rocsparse_direction_NS_24const_host_device_scalarIT2_EEPKiS6_PKS3_S8_S4_PS3_21rocsparse_index_base_b.num_vgpr, 26
	.set _ZN9rocsparseL19gebsrmvn_1xn_kernelILj128ELj5ELj32EfEEvi20rocsparse_direction_NS_24const_host_device_scalarIT2_EEPKiS6_PKS3_S8_S4_PS3_21rocsparse_index_base_b.num_agpr, 0
	.set _ZN9rocsparseL19gebsrmvn_1xn_kernelILj128ELj5ELj32EfEEvi20rocsparse_direction_NS_24const_host_device_scalarIT2_EEPKiS6_PKS3_S8_S4_PS3_21rocsparse_index_base_b.numbered_sgpr, 14
	.set _ZN9rocsparseL19gebsrmvn_1xn_kernelILj128ELj5ELj32EfEEvi20rocsparse_direction_NS_24const_host_device_scalarIT2_EEPKiS6_PKS3_S8_S4_PS3_21rocsparse_index_base_b.num_named_barrier, 0
	.set _ZN9rocsparseL19gebsrmvn_1xn_kernelILj128ELj5ELj32EfEEvi20rocsparse_direction_NS_24const_host_device_scalarIT2_EEPKiS6_PKS3_S8_S4_PS3_21rocsparse_index_base_b.private_seg_size, 0
	.set _ZN9rocsparseL19gebsrmvn_1xn_kernelILj128ELj5ELj32EfEEvi20rocsparse_direction_NS_24const_host_device_scalarIT2_EEPKiS6_PKS3_S8_S4_PS3_21rocsparse_index_base_b.uses_vcc, 1
	.set _ZN9rocsparseL19gebsrmvn_1xn_kernelILj128ELj5ELj32EfEEvi20rocsparse_direction_NS_24const_host_device_scalarIT2_EEPKiS6_PKS3_S8_S4_PS3_21rocsparse_index_base_b.uses_flat_scratch, 0
	.set _ZN9rocsparseL19gebsrmvn_1xn_kernelILj128ELj5ELj32EfEEvi20rocsparse_direction_NS_24const_host_device_scalarIT2_EEPKiS6_PKS3_S8_S4_PS3_21rocsparse_index_base_b.has_dyn_sized_stack, 0
	.set _ZN9rocsparseL19gebsrmvn_1xn_kernelILj128ELj5ELj32EfEEvi20rocsparse_direction_NS_24const_host_device_scalarIT2_EEPKiS6_PKS3_S8_S4_PS3_21rocsparse_index_base_b.has_recursion, 0
	.set _ZN9rocsparseL19gebsrmvn_1xn_kernelILj128ELj5ELj32EfEEvi20rocsparse_direction_NS_24const_host_device_scalarIT2_EEPKiS6_PKS3_S8_S4_PS3_21rocsparse_index_base_b.has_indirect_call, 0
	.section	.AMDGPU.csdata,"",@progbits
; Kernel info:
; codeLenInByte = 1068
; TotalNumSgprs: 16
; NumVgprs: 26
; ScratchSize: 0
; MemoryBound: 0
; FloatMode: 240
; IeeeMode: 1
; LDSByteSize: 0 bytes/workgroup (compile time only)
; SGPRBlocks: 0
; VGPRBlocks: 3
; NumSGPRsForWavesPerEU: 16
; NumVGPRsForWavesPerEU: 26
; Occupancy: 16
; WaveLimiterHint : 1
; COMPUTE_PGM_RSRC2:SCRATCH_EN: 0
; COMPUTE_PGM_RSRC2:USER_SGPR: 6
; COMPUTE_PGM_RSRC2:TRAP_HANDLER: 0
; COMPUTE_PGM_RSRC2:TGID_X_EN: 1
; COMPUTE_PGM_RSRC2:TGID_Y_EN: 0
; COMPUTE_PGM_RSRC2:TGID_Z_EN: 0
; COMPUTE_PGM_RSRC2:TIDIG_COMP_CNT: 0
	.section	.text._ZN9rocsparseL19gebsrmvn_1xn_kernelILj128ELj5ELj64EfEEvi20rocsparse_direction_NS_24const_host_device_scalarIT2_EEPKiS6_PKS3_S8_S4_PS3_21rocsparse_index_base_b,"axG",@progbits,_ZN9rocsparseL19gebsrmvn_1xn_kernelILj128ELj5ELj64EfEEvi20rocsparse_direction_NS_24const_host_device_scalarIT2_EEPKiS6_PKS3_S8_S4_PS3_21rocsparse_index_base_b,comdat
	.globl	_ZN9rocsparseL19gebsrmvn_1xn_kernelILj128ELj5ELj64EfEEvi20rocsparse_direction_NS_24const_host_device_scalarIT2_EEPKiS6_PKS3_S8_S4_PS3_21rocsparse_index_base_b ; -- Begin function _ZN9rocsparseL19gebsrmvn_1xn_kernelILj128ELj5ELj64EfEEvi20rocsparse_direction_NS_24const_host_device_scalarIT2_EEPKiS6_PKS3_S8_S4_PS3_21rocsparse_index_base_b
	.p2align	8
	.type	_ZN9rocsparseL19gebsrmvn_1xn_kernelILj128ELj5ELj64EfEEvi20rocsparse_direction_NS_24const_host_device_scalarIT2_EEPKiS6_PKS3_S8_S4_PS3_21rocsparse_index_base_b,@function
_ZN9rocsparseL19gebsrmvn_1xn_kernelILj128ELj5ELj64EfEEvi20rocsparse_direction_NS_24const_host_device_scalarIT2_EEPKiS6_PKS3_S8_S4_PS3_21rocsparse_index_base_b: ; @_ZN9rocsparseL19gebsrmvn_1xn_kernelILj128ELj5ELj64EfEEvi20rocsparse_direction_NS_24const_host_device_scalarIT2_EEPKiS6_PKS3_S8_S4_PS3_21rocsparse_index_base_b
; %bb.0:
	s_clause 0x2
	s_load_dwordx2 s[12:13], s[4:5], 0x40
	s_load_dwordx2 s[10:11], s[4:5], 0x8
	;; [unrolled: 1-line block ×3, first 2 shown]
	s_waitcnt lgkmcnt(0)
	s_bitcmp1_b32 s13, 0
	s_cselect_b32 s0, -1, 0
	s_and_b32 vcc_lo, exec_lo, s0
	s_xor_b32 s0, s0, -1
	s_cbranch_vccnz .LBB19_2
; %bb.1:
	s_load_dword s10, s[10:11], 0x0
.LBB19_2:
	s_andn2_b32 vcc_lo, exec_lo, s0
	s_cbranch_vccnz .LBB19_4
; %bb.3:
	s_load_dword s8, s[8:9], 0x0
.LBB19_4:
	s_waitcnt lgkmcnt(0)
	v_cmp_eq_f32_e64 s0, s10, 0
	v_cmp_eq_f32_e64 s1, s8, 1.0
	s_and_b32 s0, s0, s1
	s_and_b32 vcc_lo, exec_lo, s0
	s_cbranch_vccnz .LBB19_15
; %bb.5:
	s_load_dword s0, s[4:5], 0x0
	v_lshrrev_b32_e32 v1, 6, v0
	v_lshl_or_b32 v1, s6, 1, v1
	s_waitcnt lgkmcnt(0)
	v_cmp_gt_i32_e32 vcc_lo, s0, v1
	s_and_saveexec_b32 s0, vcc_lo
	s_cbranch_execz .LBB19_15
; %bb.6:
	s_clause 0x1
	s_load_dwordx2 s[0:1], s[4:5], 0x10
	s_load_dwordx2 s[6:7], s[4:5], 0x38
	v_ashrrev_i32_e32 v2, 31, v1
	v_and_b32_e32 v0, 63, v0
	v_mov_b32_e32 v9, 0
	s_mov_b32 s9, exec_lo
	v_lshlrev_b64 v[1:2], 2, v[1:2]
	v_subrev_nc_u32_e32 v5, s12, v0
	s_waitcnt lgkmcnt(0)
	v_add_co_u32 v3, vcc_lo, s0, v1
	v_add_co_ci_u32_e64 v4, null, s1, v2, vcc_lo
	global_load_dwordx2 v[3:4], v[3:4], off
	s_waitcnt vmcnt(0)
	v_subrev_nc_u32_e32 v10, s12, v4
	v_add_nc_u32_e32 v3, v3, v5
	v_cmpx_lt_i32_e64 v3, v10
	s_cbranch_execz .LBB19_10
; %bb.7:
	s_clause 0x1
	s_load_dwordx4 s[0:3], s[4:5], 0x18
	s_load_dwordx2 s[4:5], s[4:5], 0x28
	v_mad_u64_u32 v[5:6], null, v3, 5, 4
	v_mov_b32_e32 v8, 0
	v_mov_b32_e32 v9, 0
	s_mov_b32 s11, 0
.LBB19_8:                               ; =>This Inner Loop Header: Depth=1
	v_ashrrev_i32_e32 v4, 31, v3
	v_mov_b32_e32 v12, v8
	v_lshlrev_b64 v[6:7], 2, v[3:4]
	v_add_nc_u32_e32 v3, 64, v3
	s_waitcnt lgkmcnt(0)
	v_add_co_u32 v6, vcc_lo, s0, v6
	v_add_co_ci_u32_e64 v7, null, s1, v7, vcc_lo
	global_load_dword v4, v[6:7], off
	v_add_nc_u32_e32 v7, -4, v5
	v_mov_b32_e32 v6, v8
	v_lshlrev_b64 v[13:14], 2, v[7:8]
	v_add_nc_u32_e32 v7, -3, v5
	v_lshlrev_b64 v[15:16], 2, v[5:6]
	v_lshlrev_b64 v[6:7], 2, v[7:8]
	v_add_co_u32 v13, vcc_lo, s2, v13
	v_add_co_ci_u32_e64 v14, null, s3, v14, vcc_lo
	v_add_co_u32 v15, vcc_lo, s2, v15
	v_add_co_ci_u32_e64 v16, null, s3, v16, vcc_lo
	;; [unrolled: 2-line block ×3, first 2 shown]
	s_clause 0x1
	global_load_dword v21, v[13:14], off
	global_load_dword v22, v[6:7], off
	s_waitcnt vmcnt(2)
	v_subrev_nc_u32_e32 v4, s12, v4
	v_lshl_add_u32 v11, v4, 2, v4
	v_add_nc_u32_e32 v7, 1, v11
	v_lshlrev_b64 v[12:13], 2, v[11:12]
	v_lshlrev_b64 v[17:18], 2, v[7:8]
	v_add_nc_u32_e32 v7, -2, v5
	v_add_co_u32 v12, vcc_lo, s4, v12
	v_add_co_ci_u32_e64 v13, null, s5, v13, vcc_lo
	v_add_co_u32 v17, vcc_lo, s4, v17
	v_lshlrev_b64 v[19:20], 2, v[7:8]
	v_add_nc_u32_e32 v7, 2, v11
	v_add_co_ci_u32_e64 v18, null, s5, v18, vcc_lo
	s_clause 0x1
	global_load_dword v4, v[12:13], off
	global_load_dword v23, v[17:18], off
	v_lshlrev_b64 v[12:13], 2, v[7:8]
	v_add_nc_u32_e32 v7, -1, v5
	v_add_co_u32 v17, vcc_lo, s2, v19
	v_add_co_ci_u32_e64 v18, null, s3, v20, vcc_lo
	v_lshlrev_b64 v[19:20], 2, v[7:8]
	v_add_nc_u32_e32 v7, 3, v11
	v_add_co_u32 v12, vcc_lo, s4, v12
	global_load_dword v24, v[17:18], off
	v_add_co_ci_u32_e64 v13, null, s5, v13, vcc_lo
	v_lshlrev_b64 v[17:18], 2, v[7:8]
	v_add_nc_u32_e32 v7, 4, v11
	v_add_co_u32 v11, vcc_lo, s2, v19
	global_load_dword v25, v[12:13], off
	v_add_co_ci_u32_e64 v12, null, s3, v20, vcc_lo
	v_lshlrev_b64 v[6:7], 2, v[7:8]
	v_add_co_u32 v13, vcc_lo, s4, v17
	v_add_co_ci_u32_e64 v14, null, s5, v18, vcc_lo
	global_load_dword v11, v[11:12], off
	global_load_dword v12, v[13:14], off
	v_add_co_u32 v6, vcc_lo, s4, v6
	v_add_co_ci_u32_e64 v7, null, s5, v7, vcc_lo
	global_load_dword v13, v[15:16], off
	global_load_dword v6, v[6:7], off
	v_cmp_ge_i32_e32 vcc_lo, v3, v10
	v_add_nc_u32_e32 v5, 0x140, v5
	s_or_b32 s11, vcc_lo, s11
	s_waitcnt vmcnt(7)
	v_fmac_f32_e32 v9, v21, v4
	s_waitcnt vmcnt(6)
	v_fmac_f32_e32 v9, v22, v23
	;; [unrolled: 2-line block ×5, first 2 shown]
	s_andn2_b32 exec_lo, exec_lo, s11
	s_cbranch_execnz .LBB19_8
; %bb.9:
	s_or_b32 exec_lo, exec_lo, s11
.LBB19_10:
	s_or_b32 exec_lo, exec_lo, s9
	v_mbcnt_lo_u32_b32 v3, -1, 0
	s_mov_b32 s0, -1
	v_or_b32_e32 v4, 32, v3
	v_xor_b32_e32 v5, 16, v3
	v_xor_b32_e32 v6, 8, v3
	v_cmp_gt_i32_e32 vcc_lo, 32, v4
	v_cndmask_b32_e32 v4, v3, v4, vcc_lo
	v_cmp_gt_i32_e32 vcc_lo, 32, v5
	v_lshlrev_b32_e32 v4, 2, v4
	v_cndmask_b32_e32 v5, v3, v5, vcc_lo
	v_cmp_gt_i32_e32 vcc_lo, 32, v6
	ds_bpermute_b32 v4, v4, v9
	v_lshlrev_b32_e32 v5, 2, v5
	v_cndmask_b32_e32 v6, v3, v6, vcc_lo
	v_lshlrev_b32_e32 v6, 2, v6
	s_waitcnt lgkmcnt(0)
	v_add_f32_e32 v4, v9, v4
	ds_bpermute_b32 v5, v5, v4
	s_waitcnt lgkmcnt(0)
	v_add_f32_e32 v4, v4, v5
	ds_bpermute_b32 v5, v6, v4
	v_xor_b32_e32 v6, 4, v3
	v_cmp_gt_i32_e32 vcc_lo, 32, v6
	v_cndmask_b32_e32 v6, v3, v6, vcc_lo
	v_lshlrev_b32_e32 v6, 2, v6
	s_waitcnt lgkmcnt(0)
	v_add_f32_e32 v4, v4, v5
	ds_bpermute_b32 v5, v6, v4
	v_xor_b32_e32 v6, 2, v3
	v_cmp_gt_i32_e32 vcc_lo, 32, v6
	v_cndmask_b32_e32 v6, v3, v6, vcc_lo
	v_lshlrev_b32_e32 v6, 2, v6
	s_waitcnt lgkmcnt(0)
	v_add_f32_e32 v4, v4, v5
	ds_bpermute_b32 v5, v6, v4
	v_xor_b32_e32 v6, 1, v3
	v_cmp_gt_i32_e32 vcc_lo, 32, v6
	v_cndmask_b32_e32 v6, v3, v6, vcc_lo
	v_cmp_eq_u32_e32 vcc_lo, 63, v0
	s_waitcnt lgkmcnt(0)
	v_add_f32_e32 v3, v4, v5
	v_lshlrev_b32_e32 v4, 2, v6
	ds_bpermute_b32 v4, v4, v3
	s_and_b32 exec_lo, exec_lo, vcc_lo
	s_cbranch_execz .LBB19_15
; %bb.11:
	s_waitcnt lgkmcnt(0)
	v_add_f32_e32 v0, v3, v4
	v_cmp_eq_f32_e64 s1, s8, 0
	v_mul_f32_e32 v0, s10, v0
	s_and_b32 vcc_lo, exec_lo, s1
	s_cbranch_vccz .LBB19_13
; %bb.12:
	v_add_co_u32 v3, vcc_lo, s6, v1
	v_add_co_ci_u32_e64 v4, null, s7, v2, vcc_lo
	s_mov_b32 s0, 0
	global_store_dword v[3:4], v0, off
.LBB19_13:
	s_andn2_b32 vcc_lo, exec_lo, s0
	s_cbranch_vccnz .LBB19_15
; %bb.14:
	v_add_co_u32 v1, vcc_lo, s6, v1
	v_add_co_ci_u32_e64 v2, null, s7, v2, vcc_lo
	global_load_dword v3, v[1:2], off
	s_waitcnt vmcnt(0)
	v_fmac_f32_e32 v0, s8, v3
	global_store_dword v[1:2], v0, off
.LBB19_15:
	s_endpgm
	.section	.rodata,"a",@progbits
	.p2align	6, 0x0
	.amdhsa_kernel _ZN9rocsparseL19gebsrmvn_1xn_kernelILj128ELj5ELj64EfEEvi20rocsparse_direction_NS_24const_host_device_scalarIT2_EEPKiS6_PKS3_S8_S4_PS3_21rocsparse_index_base_b
		.amdhsa_group_segment_fixed_size 0
		.amdhsa_private_segment_fixed_size 0
		.amdhsa_kernarg_size 72
		.amdhsa_user_sgpr_count 6
		.amdhsa_user_sgpr_private_segment_buffer 1
		.amdhsa_user_sgpr_dispatch_ptr 0
		.amdhsa_user_sgpr_queue_ptr 0
		.amdhsa_user_sgpr_kernarg_segment_ptr 1
		.amdhsa_user_sgpr_dispatch_id 0
		.amdhsa_user_sgpr_flat_scratch_init 0
		.amdhsa_user_sgpr_private_segment_size 0
		.amdhsa_wavefront_size32 1
		.amdhsa_uses_dynamic_stack 0
		.amdhsa_system_sgpr_private_segment_wavefront_offset 0
		.amdhsa_system_sgpr_workgroup_id_x 1
		.amdhsa_system_sgpr_workgroup_id_y 0
		.amdhsa_system_sgpr_workgroup_id_z 0
		.amdhsa_system_sgpr_workgroup_info 0
		.amdhsa_system_vgpr_workitem_id 0
		.amdhsa_next_free_vgpr 26
		.amdhsa_next_free_sgpr 14
		.amdhsa_reserve_vcc 1
		.amdhsa_reserve_flat_scratch 0
		.amdhsa_float_round_mode_32 0
		.amdhsa_float_round_mode_16_64 0
		.amdhsa_float_denorm_mode_32 3
		.amdhsa_float_denorm_mode_16_64 3
		.amdhsa_dx10_clamp 1
		.amdhsa_ieee_mode 1
		.amdhsa_fp16_overflow 0
		.amdhsa_workgroup_processor_mode 1
		.amdhsa_memory_ordered 1
		.amdhsa_forward_progress 1
		.amdhsa_shared_vgpr_count 0
		.amdhsa_exception_fp_ieee_invalid_op 0
		.amdhsa_exception_fp_denorm_src 0
		.amdhsa_exception_fp_ieee_div_zero 0
		.amdhsa_exception_fp_ieee_overflow 0
		.amdhsa_exception_fp_ieee_underflow 0
		.amdhsa_exception_fp_ieee_inexact 0
		.amdhsa_exception_int_div_zero 0
	.end_amdhsa_kernel
	.section	.text._ZN9rocsparseL19gebsrmvn_1xn_kernelILj128ELj5ELj64EfEEvi20rocsparse_direction_NS_24const_host_device_scalarIT2_EEPKiS6_PKS3_S8_S4_PS3_21rocsparse_index_base_b,"axG",@progbits,_ZN9rocsparseL19gebsrmvn_1xn_kernelILj128ELj5ELj64EfEEvi20rocsparse_direction_NS_24const_host_device_scalarIT2_EEPKiS6_PKS3_S8_S4_PS3_21rocsparse_index_base_b,comdat
.Lfunc_end19:
	.size	_ZN9rocsparseL19gebsrmvn_1xn_kernelILj128ELj5ELj64EfEEvi20rocsparse_direction_NS_24const_host_device_scalarIT2_EEPKiS6_PKS3_S8_S4_PS3_21rocsparse_index_base_b, .Lfunc_end19-_ZN9rocsparseL19gebsrmvn_1xn_kernelILj128ELj5ELj64EfEEvi20rocsparse_direction_NS_24const_host_device_scalarIT2_EEPKiS6_PKS3_S8_S4_PS3_21rocsparse_index_base_b
                                        ; -- End function
	.set _ZN9rocsparseL19gebsrmvn_1xn_kernelILj128ELj5ELj64EfEEvi20rocsparse_direction_NS_24const_host_device_scalarIT2_EEPKiS6_PKS3_S8_S4_PS3_21rocsparse_index_base_b.num_vgpr, 26
	.set _ZN9rocsparseL19gebsrmvn_1xn_kernelILj128ELj5ELj64EfEEvi20rocsparse_direction_NS_24const_host_device_scalarIT2_EEPKiS6_PKS3_S8_S4_PS3_21rocsparse_index_base_b.num_agpr, 0
	.set _ZN9rocsparseL19gebsrmvn_1xn_kernelILj128ELj5ELj64EfEEvi20rocsparse_direction_NS_24const_host_device_scalarIT2_EEPKiS6_PKS3_S8_S4_PS3_21rocsparse_index_base_b.numbered_sgpr, 14
	.set _ZN9rocsparseL19gebsrmvn_1xn_kernelILj128ELj5ELj64EfEEvi20rocsparse_direction_NS_24const_host_device_scalarIT2_EEPKiS6_PKS3_S8_S4_PS3_21rocsparse_index_base_b.num_named_barrier, 0
	.set _ZN9rocsparseL19gebsrmvn_1xn_kernelILj128ELj5ELj64EfEEvi20rocsparse_direction_NS_24const_host_device_scalarIT2_EEPKiS6_PKS3_S8_S4_PS3_21rocsparse_index_base_b.private_seg_size, 0
	.set _ZN9rocsparseL19gebsrmvn_1xn_kernelILj128ELj5ELj64EfEEvi20rocsparse_direction_NS_24const_host_device_scalarIT2_EEPKiS6_PKS3_S8_S4_PS3_21rocsparse_index_base_b.uses_vcc, 1
	.set _ZN9rocsparseL19gebsrmvn_1xn_kernelILj128ELj5ELj64EfEEvi20rocsparse_direction_NS_24const_host_device_scalarIT2_EEPKiS6_PKS3_S8_S4_PS3_21rocsparse_index_base_b.uses_flat_scratch, 0
	.set _ZN9rocsparseL19gebsrmvn_1xn_kernelILj128ELj5ELj64EfEEvi20rocsparse_direction_NS_24const_host_device_scalarIT2_EEPKiS6_PKS3_S8_S4_PS3_21rocsparse_index_base_b.has_dyn_sized_stack, 0
	.set _ZN9rocsparseL19gebsrmvn_1xn_kernelILj128ELj5ELj64EfEEvi20rocsparse_direction_NS_24const_host_device_scalarIT2_EEPKiS6_PKS3_S8_S4_PS3_21rocsparse_index_base_b.has_recursion, 0
	.set _ZN9rocsparseL19gebsrmvn_1xn_kernelILj128ELj5ELj64EfEEvi20rocsparse_direction_NS_24const_host_device_scalarIT2_EEPKiS6_PKS3_S8_S4_PS3_21rocsparse_index_base_b.has_indirect_call, 0
	.section	.AMDGPU.csdata,"",@progbits
; Kernel info:
; codeLenInByte = 1100
; TotalNumSgprs: 16
; NumVgprs: 26
; ScratchSize: 0
; MemoryBound: 0
; FloatMode: 240
; IeeeMode: 1
; LDSByteSize: 0 bytes/workgroup (compile time only)
; SGPRBlocks: 0
; VGPRBlocks: 3
; NumSGPRsForWavesPerEU: 16
; NumVGPRsForWavesPerEU: 26
; Occupancy: 16
; WaveLimiterHint : 1
; COMPUTE_PGM_RSRC2:SCRATCH_EN: 0
; COMPUTE_PGM_RSRC2:USER_SGPR: 6
; COMPUTE_PGM_RSRC2:TRAP_HANDLER: 0
; COMPUTE_PGM_RSRC2:TGID_X_EN: 1
; COMPUTE_PGM_RSRC2:TGID_Y_EN: 0
; COMPUTE_PGM_RSRC2:TGID_Z_EN: 0
; COMPUTE_PGM_RSRC2:TIDIG_COMP_CNT: 0
	.section	.text._ZN9rocsparseL19gebsrmvn_1xn_kernelILj128ELj6ELj4EfEEvi20rocsparse_direction_NS_24const_host_device_scalarIT2_EEPKiS6_PKS3_S8_S4_PS3_21rocsparse_index_base_b,"axG",@progbits,_ZN9rocsparseL19gebsrmvn_1xn_kernelILj128ELj6ELj4EfEEvi20rocsparse_direction_NS_24const_host_device_scalarIT2_EEPKiS6_PKS3_S8_S4_PS3_21rocsparse_index_base_b,comdat
	.globl	_ZN9rocsparseL19gebsrmvn_1xn_kernelILj128ELj6ELj4EfEEvi20rocsparse_direction_NS_24const_host_device_scalarIT2_EEPKiS6_PKS3_S8_S4_PS3_21rocsparse_index_base_b ; -- Begin function _ZN9rocsparseL19gebsrmvn_1xn_kernelILj128ELj6ELj4EfEEvi20rocsparse_direction_NS_24const_host_device_scalarIT2_EEPKiS6_PKS3_S8_S4_PS3_21rocsparse_index_base_b
	.p2align	8
	.type	_ZN9rocsparseL19gebsrmvn_1xn_kernelILj128ELj6ELj4EfEEvi20rocsparse_direction_NS_24const_host_device_scalarIT2_EEPKiS6_PKS3_S8_S4_PS3_21rocsparse_index_base_b,@function
_ZN9rocsparseL19gebsrmvn_1xn_kernelILj128ELj6ELj4EfEEvi20rocsparse_direction_NS_24const_host_device_scalarIT2_EEPKiS6_PKS3_S8_S4_PS3_21rocsparse_index_base_b: ; @_ZN9rocsparseL19gebsrmvn_1xn_kernelILj128ELj6ELj4EfEEvi20rocsparse_direction_NS_24const_host_device_scalarIT2_EEPKiS6_PKS3_S8_S4_PS3_21rocsparse_index_base_b
; %bb.0:
	s_clause 0x2
	s_load_dwordx2 s[12:13], s[4:5], 0x40
	s_load_dwordx2 s[10:11], s[4:5], 0x8
	;; [unrolled: 1-line block ×3, first 2 shown]
	s_waitcnt lgkmcnt(0)
	s_bitcmp1_b32 s13, 0
	s_cselect_b32 s0, -1, 0
	s_and_b32 vcc_lo, exec_lo, s0
	s_xor_b32 s0, s0, -1
	s_cbranch_vccnz .LBB20_2
; %bb.1:
	s_load_dword s10, s[10:11], 0x0
.LBB20_2:
	s_andn2_b32 vcc_lo, exec_lo, s0
	s_cbranch_vccnz .LBB20_4
; %bb.3:
	s_load_dword s8, s[8:9], 0x0
.LBB20_4:
	s_waitcnt lgkmcnt(0)
	v_cmp_eq_f32_e64 s0, s10, 0
	v_cmp_eq_f32_e64 s1, s8, 1.0
	s_and_b32 s0, s0, s1
	s_and_b32 vcc_lo, exec_lo, s0
	s_cbranch_vccnz .LBB20_15
; %bb.5:
	s_load_dword s0, s[4:5], 0x0
	v_lshrrev_b32_e32 v1, 2, v0
	v_lshl_or_b32 v1, s6, 5, v1
	s_waitcnt lgkmcnt(0)
	v_cmp_gt_i32_e32 vcc_lo, s0, v1
	s_and_saveexec_b32 s0, vcc_lo
	s_cbranch_execz .LBB20_15
; %bb.6:
	s_clause 0x1
	s_load_dwordx2 s[0:1], s[4:5], 0x10
	s_load_dwordx2 s[6:7], s[4:5], 0x38
	v_ashrrev_i32_e32 v2, 31, v1
	v_and_b32_e32 v0, 3, v0
	v_mov_b32_e32 v9, 0
	s_mov_b32 s9, exec_lo
	v_lshlrev_b64 v[1:2], 2, v[1:2]
	v_subrev_nc_u32_e32 v5, s12, v0
	s_waitcnt lgkmcnt(0)
	v_add_co_u32 v3, vcc_lo, s0, v1
	v_add_co_ci_u32_e64 v4, null, s1, v2, vcc_lo
	global_load_dwordx2 v[3:4], v[3:4], off
	s_waitcnt vmcnt(0)
	v_subrev_nc_u32_e32 v10, s12, v4
	v_add_nc_u32_e32 v3, v3, v5
	v_cmpx_lt_i32_e64 v3, v10
	s_cbranch_execz .LBB20_10
; %bb.7:
	s_clause 0x1
	s_load_dwordx4 s[0:3], s[4:5], 0x18
	s_load_dwordx2 s[4:5], s[4:5], 0x28
	v_mad_u64_u32 v[5:6], null, v3, 6, 5
	v_mov_b32_e32 v8, 0
	v_mov_b32_e32 v9, 0
	s_mov_b32 s11, 0
.LBB20_8:                               ; =>This Inner Loop Header: Depth=1
	v_ashrrev_i32_e32 v4, 31, v3
	v_mov_b32_e32 v12, v8
	v_lshlrev_b64 v[6:7], 2, v[3:4]
	v_add_nc_u32_e32 v3, 4, v3
	s_waitcnt lgkmcnt(0)
	v_add_co_u32 v6, vcc_lo, s0, v6
	v_add_co_ci_u32_e64 v7, null, s1, v7, vcc_lo
	global_load_dword v4, v[6:7], off
	v_add_nc_u32_e32 v7, -5, v5
	v_mov_b32_e32 v6, v8
	v_lshlrev_b64 v[13:14], 2, v[7:8]
	v_add_nc_u32_e32 v7, -3, v5
	v_lshlrev_b64 v[15:16], 2, v[5:6]
	v_lshlrev_b64 v[6:7], 2, v[7:8]
	v_add_co_u32 v13, vcc_lo, s2, v13
	v_add_co_ci_u32_e64 v14, null, s3, v14, vcc_lo
	v_add_co_u32 v6, vcc_lo, s2, v6
	v_add_co_ci_u32_e64 v7, null, s3, v7, vcc_lo
	s_clause 0x1
	global_load_dwordx2 v[13:14], v[13:14], off
	global_load_dword v25, v[6:7], off
	s_waitcnt vmcnt(2)
	v_subrev_nc_u32_e32 v4, s12, v4
	v_mul_lo_u32 v11, v4, 6
	v_lshlrev_b64 v[17:18], 2, v[11:12]
	v_add_nc_u32_e32 v7, 2, v11
	v_lshlrev_b64 v[19:20], 2, v[7:8]
	v_add_nc_u32_e32 v7, -2, v5
	v_add_co_u32 v17, vcc_lo, s4, v17
	v_add_co_ci_u32_e64 v18, null, s5, v18, vcc_lo
	v_lshlrev_b64 v[21:22], 2, v[7:8]
	v_add_nc_u32_e32 v7, -1, v5
	v_add_co_u32 v19, vcc_lo, s4, v19
	global_load_dwordx2 v[17:18], v[17:18], off
	v_add_co_ci_u32_e64 v20, null, s5, v20, vcc_lo
	v_lshlrev_b64 v[23:24], 2, v[7:8]
	v_add_nc_u32_e32 v7, 4, v11
	v_add_co_u32 v11, vcc_lo, s2, v21
	v_add_co_ci_u32_e64 v12, null, s3, v22, vcc_lo
	v_lshlrev_b64 v[6:7], 2, v[7:8]
	global_load_dwordx2 v[19:20], v[19:20], off
	v_add_nc_u32_e32 v5, 24, v5
	global_load_dword v4, v[11:12], off
	v_add_co_u32 v11, vcc_lo, s2, v23
	v_add_co_ci_u32_e64 v12, null, s3, v24, vcc_lo
	v_add_co_u32 v6, vcc_lo, s4, v6
	v_add_co_ci_u32_e64 v7, null, s5, v7, vcc_lo
	;; [unrolled: 2-line block ×3, first 2 shown]
	global_load_dword v11, v[11:12], off
	global_load_dwordx2 v[6:7], v[6:7], off
	global_load_dword v12, v[15:16], off
	v_cmp_ge_i32_e32 vcc_lo, v3, v10
	s_or_b32 s11, vcc_lo, s11
	s_waitcnt vmcnt(5)
	v_fmac_f32_e32 v9, v13, v17
	v_fmac_f32_e32 v9, v14, v18
	s_waitcnt vmcnt(4)
	v_fmac_f32_e32 v9, v25, v19
	s_waitcnt vmcnt(3)
	;; [unrolled: 2-line block ×4, first 2 shown]
	v_fmac_f32_e32 v9, v12, v7
	s_andn2_b32 exec_lo, exec_lo, s11
	s_cbranch_execnz .LBB20_8
; %bb.9:
	s_or_b32 exec_lo, exec_lo, s11
.LBB20_10:
	s_or_b32 exec_lo, exec_lo, s9
	v_mbcnt_lo_u32_b32 v3, -1, 0
	s_mov_b32 s0, -1
	v_xor_b32_e32 v4, 2, v3
	v_xor_b32_e32 v5, 1, v3
	v_cmp_gt_i32_e32 vcc_lo, 32, v4
	v_cndmask_b32_e32 v4, v3, v4, vcc_lo
	v_cmp_gt_i32_e32 vcc_lo, 32, v5
	v_lshlrev_b32_e32 v4, 2, v4
	v_cndmask_b32_e32 v5, v3, v5, vcc_lo
	v_cmp_eq_u32_e32 vcc_lo, 3, v0
	ds_bpermute_b32 v4, v4, v9
	s_waitcnt lgkmcnt(0)
	v_add_f32_e32 v3, v9, v4
	v_lshlrev_b32_e32 v4, 2, v5
	ds_bpermute_b32 v4, v4, v3
	s_and_b32 exec_lo, exec_lo, vcc_lo
	s_cbranch_execz .LBB20_15
; %bb.11:
	s_waitcnt lgkmcnt(0)
	v_add_f32_e32 v0, v3, v4
	v_cmp_eq_f32_e64 s1, s8, 0
	v_mul_f32_e32 v0, s10, v0
	s_and_b32 vcc_lo, exec_lo, s1
	s_cbranch_vccz .LBB20_13
; %bb.12:
	v_add_co_u32 v3, vcc_lo, s6, v1
	v_add_co_ci_u32_e64 v4, null, s7, v2, vcc_lo
	s_mov_b32 s0, 0
	global_store_dword v[3:4], v0, off
.LBB20_13:
	s_andn2_b32 vcc_lo, exec_lo, s0
	s_cbranch_vccnz .LBB20_15
; %bb.14:
	v_add_co_u32 v1, vcc_lo, s6, v1
	v_add_co_ci_u32_e64 v2, null, s7, v2, vcc_lo
	global_load_dword v3, v[1:2], off
	s_waitcnt vmcnt(0)
	v_fmac_f32_e32 v0, s8, v3
	global_store_dword v[1:2], v0, off
.LBB20_15:
	s_endpgm
	.section	.rodata,"a",@progbits
	.p2align	6, 0x0
	.amdhsa_kernel _ZN9rocsparseL19gebsrmvn_1xn_kernelILj128ELj6ELj4EfEEvi20rocsparse_direction_NS_24const_host_device_scalarIT2_EEPKiS6_PKS3_S8_S4_PS3_21rocsparse_index_base_b
		.amdhsa_group_segment_fixed_size 0
		.amdhsa_private_segment_fixed_size 0
		.amdhsa_kernarg_size 72
		.amdhsa_user_sgpr_count 6
		.amdhsa_user_sgpr_private_segment_buffer 1
		.amdhsa_user_sgpr_dispatch_ptr 0
		.amdhsa_user_sgpr_queue_ptr 0
		.amdhsa_user_sgpr_kernarg_segment_ptr 1
		.amdhsa_user_sgpr_dispatch_id 0
		.amdhsa_user_sgpr_flat_scratch_init 0
		.amdhsa_user_sgpr_private_segment_size 0
		.amdhsa_wavefront_size32 1
		.amdhsa_uses_dynamic_stack 0
		.amdhsa_system_sgpr_private_segment_wavefront_offset 0
		.amdhsa_system_sgpr_workgroup_id_x 1
		.amdhsa_system_sgpr_workgroup_id_y 0
		.amdhsa_system_sgpr_workgroup_id_z 0
		.amdhsa_system_sgpr_workgroup_info 0
		.amdhsa_system_vgpr_workitem_id 0
		.amdhsa_next_free_vgpr 26
		.amdhsa_next_free_sgpr 14
		.amdhsa_reserve_vcc 1
		.amdhsa_reserve_flat_scratch 0
		.amdhsa_float_round_mode_32 0
		.amdhsa_float_round_mode_16_64 0
		.amdhsa_float_denorm_mode_32 3
		.amdhsa_float_denorm_mode_16_64 3
		.amdhsa_dx10_clamp 1
		.amdhsa_ieee_mode 1
		.amdhsa_fp16_overflow 0
		.amdhsa_workgroup_processor_mode 1
		.amdhsa_memory_ordered 1
		.amdhsa_forward_progress 1
		.amdhsa_shared_vgpr_count 0
		.amdhsa_exception_fp_ieee_invalid_op 0
		.amdhsa_exception_fp_denorm_src 0
		.amdhsa_exception_fp_ieee_div_zero 0
		.amdhsa_exception_fp_ieee_overflow 0
		.amdhsa_exception_fp_ieee_underflow 0
		.amdhsa_exception_fp_ieee_inexact 0
		.amdhsa_exception_int_div_zero 0
	.end_amdhsa_kernel
	.section	.text._ZN9rocsparseL19gebsrmvn_1xn_kernelILj128ELj6ELj4EfEEvi20rocsparse_direction_NS_24const_host_device_scalarIT2_EEPKiS6_PKS3_S8_S4_PS3_21rocsparse_index_base_b,"axG",@progbits,_ZN9rocsparseL19gebsrmvn_1xn_kernelILj128ELj6ELj4EfEEvi20rocsparse_direction_NS_24const_host_device_scalarIT2_EEPKiS6_PKS3_S8_S4_PS3_21rocsparse_index_base_b,comdat
.Lfunc_end20:
	.size	_ZN9rocsparseL19gebsrmvn_1xn_kernelILj128ELj6ELj4EfEEvi20rocsparse_direction_NS_24const_host_device_scalarIT2_EEPKiS6_PKS3_S8_S4_PS3_21rocsparse_index_base_b, .Lfunc_end20-_ZN9rocsparseL19gebsrmvn_1xn_kernelILj128ELj6ELj4EfEEvi20rocsparse_direction_NS_24const_host_device_scalarIT2_EEPKiS6_PKS3_S8_S4_PS3_21rocsparse_index_base_b
                                        ; -- End function
	.set _ZN9rocsparseL19gebsrmvn_1xn_kernelILj128ELj6ELj4EfEEvi20rocsparse_direction_NS_24const_host_device_scalarIT2_EEPKiS6_PKS3_S8_S4_PS3_21rocsparse_index_base_b.num_vgpr, 26
	.set _ZN9rocsparseL19gebsrmvn_1xn_kernelILj128ELj6ELj4EfEEvi20rocsparse_direction_NS_24const_host_device_scalarIT2_EEPKiS6_PKS3_S8_S4_PS3_21rocsparse_index_base_b.num_agpr, 0
	.set _ZN9rocsparseL19gebsrmvn_1xn_kernelILj128ELj6ELj4EfEEvi20rocsparse_direction_NS_24const_host_device_scalarIT2_EEPKiS6_PKS3_S8_S4_PS3_21rocsparse_index_base_b.numbered_sgpr, 14
	.set _ZN9rocsparseL19gebsrmvn_1xn_kernelILj128ELj6ELj4EfEEvi20rocsparse_direction_NS_24const_host_device_scalarIT2_EEPKiS6_PKS3_S8_S4_PS3_21rocsparse_index_base_b.num_named_barrier, 0
	.set _ZN9rocsparseL19gebsrmvn_1xn_kernelILj128ELj6ELj4EfEEvi20rocsparse_direction_NS_24const_host_device_scalarIT2_EEPKiS6_PKS3_S8_S4_PS3_21rocsparse_index_base_b.private_seg_size, 0
	.set _ZN9rocsparseL19gebsrmvn_1xn_kernelILj128ELj6ELj4EfEEvi20rocsparse_direction_NS_24const_host_device_scalarIT2_EEPKiS6_PKS3_S8_S4_PS3_21rocsparse_index_base_b.uses_vcc, 1
	.set _ZN9rocsparseL19gebsrmvn_1xn_kernelILj128ELj6ELj4EfEEvi20rocsparse_direction_NS_24const_host_device_scalarIT2_EEPKiS6_PKS3_S8_S4_PS3_21rocsparse_index_base_b.uses_flat_scratch, 0
	.set _ZN9rocsparseL19gebsrmvn_1xn_kernelILj128ELj6ELj4EfEEvi20rocsparse_direction_NS_24const_host_device_scalarIT2_EEPKiS6_PKS3_S8_S4_PS3_21rocsparse_index_base_b.has_dyn_sized_stack, 0
	.set _ZN9rocsparseL19gebsrmvn_1xn_kernelILj128ELj6ELj4EfEEvi20rocsparse_direction_NS_24const_host_device_scalarIT2_EEPKiS6_PKS3_S8_S4_PS3_21rocsparse_index_base_b.has_recursion, 0
	.set _ZN9rocsparseL19gebsrmvn_1xn_kernelILj128ELj6ELj4EfEEvi20rocsparse_direction_NS_24const_host_device_scalarIT2_EEPKiS6_PKS3_S8_S4_PS3_21rocsparse_index_base_b.has_indirect_call, 0
	.section	.AMDGPU.csdata,"",@progbits
; Kernel info:
; codeLenInByte = 896
; TotalNumSgprs: 16
; NumVgprs: 26
; ScratchSize: 0
; MemoryBound: 0
; FloatMode: 240
; IeeeMode: 1
; LDSByteSize: 0 bytes/workgroup (compile time only)
; SGPRBlocks: 0
; VGPRBlocks: 3
; NumSGPRsForWavesPerEU: 16
; NumVGPRsForWavesPerEU: 26
; Occupancy: 16
; WaveLimiterHint : 1
; COMPUTE_PGM_RSRC2:SCRATCH_EN: 0
; COMPUTE_PGM_RSRC2:USER_SGPR: 6
; COMPUTE_PGM_RSRC2:TRAP_HANDLER: 0
; COMPUTE_PGM_RSRC2:TGID_X_EN: 1
; COMPUTE_PGM_RSRC2:TGID_Y_EN: 0
; COMPUTE_PGM_RSRC2:TGID_Z_EN: 0
; COMPUTE_PGM_RSRC2:TIDIG_COMP_CNT: 0
	.section	.text._ZN9rocsparseL19gebsrmvn_1xn_kernelILj128ELj6ELj8EfEEvi20rocsparse_direction_NS_24const_host_device_scalarIT2_EEPKiS6_PKS3_S8_S4_PS3_21rocsparse_index_base_b,"axG",@progbits,_ZN9rocsparseL19gebsrmvn_1xn_kernelILj128ELj6ELj8EfEEvi20rocsparse_direction_NS_24const_host_device_scalarIT2_EEPKiS6_PKS3_S8_S4_PS3_21rocsparse_index_base_b,comdat
	.globl	_ZN9rocsparseL19gebsrmvn_1xn_kernelILj128ELj6ELj8EfEEvi20rocsparse_direction_NS_24const_host_device_scalarIT2_EEPKiS6_PKS3_S8_S4_PS3_21rocsparse_index_base_b ; -- Begin function _ZN9rocsparseL19gebsrmvn_1xn_kernelILj128ELj6ELj8EfEEvi20rocsparse_direction_NS_24const_host_device_scalarIT2_EEPKiS6_PKS3_S8_S4_PS3_21rocsparse_index_base_b
	.p2align	8
	.type	_ZN9rocsparseL19gebsrmvn_1xn_kernelILj128ELj6ELj8EfEEvi20rocsparse_direction_NS_24const_host_device_scalarIT2_EEPKiS6_PKS3_S8_S4_PS3_21rocsparse_index_base_b,@function
_ZN9rocsparseL19gebsrmvn_1xn_kernelILj128ELj6ELj8EfEEvi20rocsparse_direction_NS_24const_host_device_scalarIT2_EEPKiS6_PKS3_S8_S4_PS3_21rocsparse_index_base_b: ; @_ZN9rocsparseL19gebsrmvn_1xn_kernelILj128ELj6ELj8EfEEvi20rocsparse_direction_NS_24const_host_device_scalarIT2_EEPKiS6_PKS3_S8_S4_PS3_21rocsparse_index_base_b
; %bb.0:
	s_clause 0x2
	s_load_dwordx2 s[12:13], s[4:5], 0x40
	s_load_dwordx2 s[10:11], s[4:5], 0x8
	;; [unrolled: 1-line block ×3, first 2 shown]
	s_waitcnt lgkmcnt(0)
	s_bitcmp1_b32 s13, 0
	s_cselect_b32 s0, -1, 0
	s_and_b32 vcc_lo, exec_lo, s0
	s_xor_b32 s0, s0, -1
	s_cbranch_vccnz .LBB21_2
; %bb.1:
	s_load_dword s10, s[10:11], 0x0
.LBB21_2:
	s_andn2_b32 vcc_lo, exec_lo, s0
	s_cbranch_vccnz .LBB21_4
; %bb.3:
	s_load_dword s8, s[8:9], 0x0
.LBB21_4:
	s_waitcnt lgkmcnt(0)
	v_cmp_eq_f32_e64 s0, s10, 0
	v_cmp_eq_f32_e64 s1, s8, 1.0
	s_and_b32 s0, s0, s1
	s_and_b32 vcc_lo, exec_lo, s0
	s_cbranch_vccnz .LBB21_15
; %bb.5:
	s_load_dword s0, s[4:5], 0x0
	v_lshrrev_b32_e32 v1, 3, v0
	v_lshl_or_b32 v1, s6, 4, v1
	s_waitcnt lgkmcnt(0)
	v_cmp_gt_i32_e32 vcc_lo, s0, v1
	s_and_saveexec_b32 s0, vcc_lo
	s_cbranch_execz .LBB21_15
; %bb.6:
	s_clause 0x1
	s_load_dwordx2 s[0:1], s[4:5], 0x10
	s_load_dwordx2 s[6:7], s[4:5], 0x38
	v_ashrrev_i32_e32 v2, 31, v1
	v_and_b32_e32 v0, 7, v0
	v_mov_b32_e32 v9, 0
	s_mov_b32 s9, exec_lo
	v_lshlrev_b64 v[1:2], 2, v[1:2]
	v_subrev_nc_u32_e32 v5, s12, v0
	s_waitcnt lgkmcnt(0)
	v_add_co_u32 v3, vcc_lo, s0, v1
	v_add_co_ci_u32_e64 v4, null, s1, v2, vcc_lo
	global_load_dwordx2 v[3:4], v[3:4], off
	s_waitcnt vmcnt(0)
	v_subrev_nc_u32_e32 v10, s12, v4
	v_add_nc_u32_e32 v3, v3, v5
	v_cmpx_lt_i32_e64 v3, v10
	s_cbranch_execz .LBB21_10
; %bb.7:
	s_clause 0x1
	s_load_dwordx4 s[0:3], s[4:5], 0x18
	s_load_dwordx2 s[4:5], s[4:5], 0x28
	v_mad_u64_u32 v[5:6], null, v3, 6, 5
	v_mov_b32_e32 v8, 0
	v_mov_b32_e32 v9, 0
	s_mov_b32 s11, 0
.LBB21_8:                               ; =>This Inner Loop Header: Depth=1
	v_ashrrev_i32_e32 v4, 31, v3
	v_mov_b32_e32 v12, v8
	v_lshlrev_b64 v[6:7], 2, v[3:4]
	v_add_nc_u32_e32 v3, 8, v3
	s_waitcnt lgkmcnt(0)
	v_add_co_u32 v6, vcc_lo, s0, v6
	v_add_co_ci_u32_e64 v7, null, s1, v7, vcc_lo
	global_load_dword v4, v[6:7], off
	v_add_nc_u32_e32 v7, -5, v5
	v_mov_b32_e32 v6, v8
	v_lshlrev_b64 v[13:14], 2, v[7:8]
	v_add_nc_u32_e32 v7, -3, v5
	v_lshlrev_b64 v[15:16], 2, v[5:6]
	v_lshlrev_b64 v[6:7], 2, v[7:8]
	v_add_co_u32 v13, vcc_lo, s2, v13
	v_add_co_ci_u32_e64 v14, null, s3, v14, vcc_lo
	v_add_co_u32 v6, vcc_lo, s2, v6
	v_add_co_ci_u32_e64 v7, null, s3, v7, vcc_lo
	s_clause 0x1
	global_load_dwordx2 v[13:14], v[13:14], off
	global_load_dword v25, v[6:7], off
	s_waitcnt vmcnt(2)
	v_subrev_nc_u32_e32 v4, s12, v4
	v_mul_lo_u32 v11, v4, 6
	v_lshlrev_b64 v[17:18], 2, v[11:12]
	v_add_nc_u32_e32 v7, 2, v11
	v_lshlrev_b64 v[19:20], 2, v[7:8]
	v_add_nc_u32_e32 v7, -2, v5
	v_add_co_u32 v17, vcc_lo, s4, v17
	v_add_co_ci_u32_e64 v18, null, s5, v18, vcc_lo
	v_lshlrev_b64 v[21:22], 2, v[7:8]
	v_add_nc_u32_e32 v7, -1, v5
	v_add_co_u32 v19, vcc_lo, s4, v19
	global_load_dwordx2 v[17:18], v[17:18], off
	v_add_co_ci_u32_e64 v20, null, s5, v20, vcc_lo
	v_lshlrev_b64 v[23:24], 2, v[7:8]
	v_add_nc_u32_e32 v7, 4, v11
	v_add_co_u32 v11, vcc_lo, s2, v21
	v_add_co_ci_u32_e64 v12, null, s3, v22, vcc_lo
	v_lshlrev_b64 v[6:7], 2, v[7:8]
	global_load_dwordx2 v[19:20], v[19:20], off
	v_add_nc_u32_e32 v5, 48, v5
	global_load_dword v4, v[11:12], off
	v_add_co_u32 v11, vcc_lo, s2, v23
	v_add_co_ci_u32_e64 v12, null, s3, v24, vcc_lo
	v_add_co_u32 v6, vcc_lo, s4, v6
	v_add_co_ci_u32_e64 v7, null, s5, v7, vcc_lo
	;; [unrolled: 2-line block ×3, first 2 shown]
	global_load_dword v11, v[11:12], off
	global_load_dwordx2 v[6:7], v[6:7], off
	global_load_dword v12, v[15:16], off
	v_cmp_ge_i32_e32 vcc_lo, v3, v10
	s_or_b32 s11, vcc_lo, s11
	s_waitcnt vmcnt(5)
	v_fmac_f32_e32 v9, v13, v17
	v_fmac_f32_e32 v9, v14, v18
	s_waitcnt vmcnt(4)
	v_fmac_f32_e32 v9, v25, v19
	s_waitcnt vmcnt(3)
	;; [unrolled: 2-line block ×4, first 2 shown]
	v_fmac_f32_e32 v9, v12, v7
	s_andn2_b32 exec_lo, exec_lo, s11
	s_cbranch_execnz .LBB21_8
; %bb.9:
	s_or_b32 exec_lo, exec_lo, s11
.LBB21_10:
	s_or_b32 exec_lo, exec_lo, s9
	v_mbcnt_lo_u32_b32 v3, -1, 0
	s_mov_b32 s0, -1
	v_xor_b32_e32 v4, 4, v3
	v_xor_b32_e32 v5, 2, v3
	;; [unrolled: 1-line block ×3, first 2 shown]
	v_cmp_gt_i32_e32 vcc_lo, 32, v4
	v_cndmask_b32_e32 v4, v3, v4, vcc_lo
	v_cmp_gt_i32_e32 vcc_lo, 32, v5
	v_lshlrev_b32_e32 v4, 2, v4
	v_cndmask_b32_e32 v5, v3, v5, vcc_lo
	v_cmp_gt_i32_e32 vcc_lo, 32, v6
	ds_bpermute_b32 v4, v4, v9
	v_lshlrev_b32_e32 v5, 2, v5
	v_cndmask_b32_e32 v6, v3, v6, vcc_lo
	v_cmp_eq_u32_e32 vcc_lo, 7, v0
	s_waitcnt lgkmcnt(0)
	v_add_f32_e32 v4, v9, v4
	ds_bpermute_b32 v5, v5, v4
	s_waitcnt lgkmcnt(0)
	v_add_f32_e32 v3, v4, v5
	v_lshlrev_b32_e32 v4, 2, v6
	ds_bpermute_b32 v4, v4, v3
	s_and_b32 exec_lo, exec_lo, vcc_lo
	s_cbranch_execz .LBB21_15
; %bb.11:
	s_waitcnt lgkmcnt(0)
	v_add_f32_e32 v0, v3, v4
	v_cmp_eq_f32_e64 s1, s8, 0
	v_mul_f32_e32 v0, s10, v0
	s_and_b32 vcc_lo, exec_lo, s1
	s_cbranch_vccz .LBB21_13
; %bb.12:
	v_add_co_u32 v3, vcc_lo, s6, v1
	v_add_co_ci_u32_e64 v4, null, s7, v2, vcc_lo
	s_mov_b32 s0, 0
	global_store_dword v[3:4], v0, off
.LBB21_13:
	s_andn2_b32 vcc_lo, exec_lo, s0
	s_cbranch_vccnz .LBB21_15
; %bb.14:
	v_add_co_u32 v1, vcc_lo, s6, v1
	v_add_co_ci_u32_e64 v2, null, s7, v2, vcc_lo
	global_load_dword v3, v[1:2], off
	s_waitcnt vmcnt(0)
	v_fmac_f32_e32 v0, s8, v3
	global_store_dword v[1:2], v0, off
.LBB21_15:
	s_endpgm
	.section	.rodata,"a",@progbits
	.p2align	6, 0x0
	.amdhsa_kernel _ZN9rocsparseL19gebsrmvn_1xn_kernelILj128ELj6ELj8EfEEvi20rocsparse_direction_NS_24const_host_device_scalarIT2_EEPKiS6_PKS3_S8_S4_PS3_21rocsparse_index_base_b
		.amdhsa_group_segment_fixed_size 0
		.amdhsa_private_segment_fixed_size 0
		.amdhsa_kernarg_size 72
		.amdhsa_user_sgpr_count 6
		.amdhsa_user_sgpr_private_segment_buffer 1
		.amdhsa_user_sgpr_dispatch_ptr 0
		.amdhsa_user_sgpr_queue_ptr 0
		.amdhsa_user_sgpr_kernarg_segment_ptr 1
		.amdhsa_user_sgpr_dispatch_id 0
		.amdhsa_user_sgpr_flat_scratch_init 0
		.amdhsa_user_sgpr_private_segment_size 0
		.amdhsa_wavefront_size32 1
		.amdhsa_uses_dynamic_stack 0
		.amdhsa_system_sgpr_private_segment_wavefront_offset 0
		.amdhsa_system_sgpr_workgroup_id_x 1
		.amdhsa_system_sgpr_workgroup_id_y 0
		.amdhsa_system_sgpr_workgroup_id_z 0
		.amdhsa_system_sgpr_workgroup_info 0
		.amdhsa_system_vgpr_workitem_id 0
		.amdhsa_next_free_vgpr 26
		.amdhsa_next_free_sgpr 14
		.amdhsa_reserve_vcc 1
		.amdhsa_reserve_flat_scratch 0
		.amdhsa_float_round_mode_32 0
		.amdhsa_float_round_mode_16_64 0
		.amdhsa_float_denorm_mode_32 3
		.amdhsa_float_denorm_mode_16_64 3
		.amdhsa_dx10_clamp 1
		.amdhsa_ieee_mode 1
		.amdhsa_fp16_overflow 0
		.amdhsa_workgroup_processor_mode 1
		.amdhsa_memory_ordered 1
		.amdhsa_forward_progress 1
		.amdhsa_shared_vgpr_count 0
		.amdhsa_exception_fp_ieee_invalid_op 0
		.amdhsa_exception_fp_denorm_src 0
		.amdhsa_exception_fp_ieee_div_zero 0
		.amdhsa_exception_fp_ieee_overflow 0
		.amdhsa_exception_fp_ieee_underflow 0
		.amdhsa_exception_fp_ieee_inexact 0
		.amdhsa_exception_int_div_zero 0
	.end_amdhsa_kernel
	.section	.text._ZN9rocsparseL19gebsrmvn_1xn_kernelILj128ELj6ELj8EfEEvi20rocsparse_direction_NS_24const_host_device_scalarIT2_EEPKiS6_PKS3_S8_S4_PS3_21rocsparse_index_base_b,"axG",@progbits,_ZN9rocsparseL19gebsrmvn_1xn_kernelILj128ELj6ELj8EfEEvi20rocsparse_direction_NS_24const_host_device_scalarIT2_EEPKiS6_PKS3_S8_S4_PS3_21rocsparse_index_base_b,comdat
.Lfunc_end21:
	.size	_ZN9rocsparseL19gebsrmvn_1xn_kernelILj128ELj6ELj8EfEEvi20rocsparse_direction_NS_24const_host_device_scalarIT2_EEPKiS6_PKS3_S8_S4_PS3_21rocsparse_index_base_b, .Lfunc_end21-_ZN9rocsparseL19gebsrmvn_1xn_kernelILj128ELj6ELj8EfEEvi20rocsparse_direction_NS_24const_host_device_scalarIT2_EEPKiS6_PKS3_S8_S4_PS3_21rocsparse_index_base_b
                                        ; -- End function
	.set _ZN9rocsparseL19gebsrmvn_1xn_kernelILj128ELj6ELj8EfEEvi20rocsparse_direction_NS_24const_host_device_scalarIT2_EEPKiS6_PKS3_S8_S4_PS3_21rocsparse_index_base_b.num_vgpr, 26
	.set _ZN9rocsparseL19gebsrmvn_1xn_kernelILj128ELj6ELj8EfEEvi20rocsparse_direction_NS_24const_host_device_scalarIT2_EEPKiS6_PKS3_S8_S4_PS3_21rocsparse_index_base_b.num_agpr, 0
	.set _ZN9rocsparseL19gebsrmvn_1xn_kernelILj128ELj6ELj8EfEEvi20rocsparse_direction_NS_24const_host_device_scalarIT2_EEPKiS6_PKS3_S8_S4_PS3_21rocsparse_index_base_b.numbered_sgpr, 14
	.set _ZN9rocsparseL19gebsrmvn_1xn_kernelILj128ELj6ELj8EfEEvi20rocsparse_direction_NS_24const_host_device_scalarIT2_EEPKiS6_PKS3_S8_S4_PS3_21rocsparse_index_base_b.num_named_barrier, 0
	.set _ZN9rocsparseL19gebsrmvn_1xn_kernelILj128ELj6ELj8EfEEvi20rocsparse_direction_NS_24const_host_device_scalarIT2_EEPKiS6_PKS3_S8_S4_PS3_21rocsparse_index_base_b.private_seg_size, 0
	.set _ZN9rocsparseL19gebsrmvn_1xn_kernelILj128ELj6ELj8EfEEvi20rocsparse_direction_NS_24const_host_device_scalarIT2_EEPKiS6_PKS3_S8_S4_PS3_21rocsparse_index_base_b.uses_vcc, 1
	.set _ZN9rocsparseL19gebsrmvn_1xn_kernelILj128ELj6ELj8EfEEvi20rocsparse_direction_NS_24const_host_device_scalarIT2_EEPKiS6_PKS3_S8_S4_PS3_21rocsparse_index_base_b.uses_flat_scratch, 0
	.set _ZN9rocsparseL19gebsrmvn_1xn_kernelILj128ELj6ELj8EfEEvi20rocsparse_direction_NS_24const_host_device_scalarIT2_EEPKiS6_PKS3_S8_S4_PS3_21rocsparse_index_base_b.has_dyn_sized_stack, 0
	.set _ZN9rocsparseL19gebsrmvn_1xn_kernelILj128ELj6ELj8EfEEvi20rocsparse_direction_NS_24const_host_device_scalarIT2_EEPKiS6_PKS3_S8_S4_PS3_21rocsparse_index_base_b.has_recursion, 0
	.set _ZN9rocsparseL19gebsrmvn_1xn_kernelILj128ELj6ELj8EfEEvi20rocsparse_direction_NS_24const_host_device_scalarIT2_EEPKiS6_PKS3_S8_S4_PS3_21rocsparse_index_base_b.has_indirect_call, 0
	.section	.AMDGPU.csdata,"",@progbits
; Kernel info:
; codeLenInByte = 928
; TotalNumSgprs: 16
; NumVgprs: 26
; ScratchSize: 0
; MemoryBound: 0
; FloatMode: 240
; IeeeMode: 1
; LDSByteSize: 0 bytes/workgroup (compile time only)
; SGPRBlocks: 0
; VGPRBlocks: 3
; NumSGPRsForWavesPerEU: 16
; NumVGPRsForWavesPerEU: 26
; Occupancy: 16
; WaveLimiterHint : 1
; COMPUTE_PGM_RSRC2:SCRATCH_EN: 0
; COMPUTE_PGM_RSRC2:USER_SGPR: 6
; COMPUTE_PGM_RSRC2:TRAP_HANDLER: 0
; COMPUTE_PGM_RSRC2:TGID_X_EN: 1
; COMPUTE_PGM_RSRC2:TGID_Y_EN: 0
; COMPUTE_PGM_RSRC2:TGID_Z_EN: 0
; COMPUTE_PGM_RSRC2:TIDIG_COMP_CNT: 0
	.section	.text._ZN9rocsparseL19gebsrmvn_1xn_kernelILj128ELj6ELj16EfEEvi20rocsparse_direction_NS_24const_host_device_scalarIT2_EEPKiS6_PKS3_S8_S4_PS3_21rocsparse_index_base_b,"axG",@progbits,_ZN9rocsparseL19gebsrmvn_1xn_kernelILj128ELj6ELj16EfEEvi20rocsparse_direction_NS_24const_host_device_scalarIT2_EEPKiS6_PKS3_S8_S4_PS3_21rocsparse_index_base_b,comdat
	.globl	_ZN9rocsparseL19gebsrmvn_1xn_kernelILj128ELj6ELj16EfEEvi20rocsparse_direction_NS_24const_host_device_scalarIT2_EEPKiS6_PKS3_S8_S4_PS3_21rocsparse_index_base_b ; -- Begin function _ZN9rocsparseL19gebsrmvn_1xn_kernelILj128ELj6ELj16EfEEvi20rocsparse_direction_NS_24const_host_device_scalarIT2_EEPKiS6_PKS3_S8_S4_PS3_21rocsparse_index_base_b
	.p2align	8
	.type	_ZN9rocsparseL19gebsrmvn_1xn_kernelILj128ELj6ELj16EfEEvi20rocsparse_direction_NS_24const_host_device_scalarIT2_EEPKiS6_PKS3_S8_S4_PS3_21rocsparse_index_base_b,@function
_ZN9rocsparseL19gebsrmvn_1xn_kernelILj128ELj6ELj16EfEEvi20rocsparse_direction_NS_24const_host_device_scalarIT2_EEPKiS6_PKS3_S8_S4_PS3_21rocsparse_index_base_b: ; @_ZN9rocsparseL19gebsrmvn_1xn_kernelILj128ELj6ELj16EfEEvi20rocsparse_direction_NS_24const_host_device_scalarIT2_EEPKiS6_PKS3_S8_S4_PS3_21rocsparse_index_base_b
; %bb.0:
	s_clause 0x2
	s_load_dwordx2 s[12:13], s[4:5], 0x40
	s_load_dwordx2 s[10:11], s[4:5], 0x8
	s_load_dwordx2 s[8:9], s[4:5], 0x30
	s_waitcnt lgkmcnt(0)
	s_bitcmp1_b32 s13, 0
	s_cselect_b32 s0, -1, 0
	s_and_b32 vcc_lo, exec_lo, s0
	s_xor_b32 s0, s0, -1
	s_cbranch_vccnz .LBB22_2
; %bb.1:
	s_load_dword s10, s[10:11], 0x0
.LBB22_2:
	s_andn2_b32 vcc_lo, exec_lo, s0
	s_cbranch_vccnz .LBB22_4
; %bb.3:
	s_load_dword s8, s[8:9], 0x0
.LBB22_4:
	s_waitcnt lgkmcnt(0)
	v_cmp_eq_f32_e64 s0, s10, 0
	v_cmp_eq_f32_e64 s1, s8, 1.0
	s_and_b32 s0, s0, s1
	s_and_b32 vcc_lo, exec_lo, s0
	s_cbranch_vccnz .LBB22_15
; %bb.5:
	s_load_dword s0, s[4:5], 0x0
	v_lshrrev_b32_e32 v1, 4, v0
	v_lshl_or_b32 v1, s6, 3, v1
	s_waitcnt lgkmcnt(0)
	v_cmp_gt_i32_e32 vcc_lo, s0, v1
	s_and_saveexec_b32 s0, vcc_lo
	s_cbranch_execz .LBB22_15
; %bb.6:
	s_clause 0x1
	s_load_dwordx2 s[0:1], s[4:5], 0x10
	s_load_dwordx2 s[6:7], s[4:5], 0x38
	v_ashrrev_i32_e32 v2, 31, v1
	v_and_b32_e32 v0, 15, v0
	v_mov_b32_e32 v9, 0
	s_mov_b32 s9, exec_lo
	v_lshlrev_b64 v[1:2], 2, v[1:2]
	v_subrev_nc_u32_e32 v5, s12, v0
	s_waitcnt lgkmcnt(0)
	v_add_co_u32 v3, vcc_lo, s0, v1
	v_add_co_ci_u32_e64 v4, null, s1, v2, vcc_lo
	global_load_dwordx2 v[3:4], v[3:4], off
	s_waitcnt vmcnt(0)
	v_subrev_nc_u32_e32 v10, s12, v4
	v_add_nc_u32_e32 v3, v3, v5
	v_cmpx_lt_i32_e64 v3, v10
	s_cbranch_execz .LBB22_10
; %bb.7:
	s_clause 0x1
	s_load_dwordx4 s[0:3], s[4:5], 0x18
	s_load_dwordx2 s[4:5], s[4:5], 0x28
	v_mad_u64_u32 v[5:6], null, v3, 6, 5
	v_mov_b32_e32 v8, 0
	v_mov_b32_e32 v9, 0
	s_mov_b32 s11, 0
.LBB22_8:                               ; =>This Inner Loop Header: Depth=1
	v_ashrrev_i32_e32 v4, 31, v3
	v_mov_b32_e32 v12, v8
	v_lshlrev_b64 v[6:7], 2, v[3:4]
	v_add_nc_u32_e32 v3, 16, v3
	s_waitcnt lgkmcnt(0)
	v_add_co_u32 v6, vcc_lo, s0, v6
	v_add_co_ci_u32_e64 v7, null, s1, v7, vcc_lo
	global_load_dword v4, v[6:7], off
	v_add_nc_u32_e32 v7, -5, v5
	v_mov_b32_e32 v6, v8
	v_lshlrev_b64 v[13:14], 2, v[7:8]
	v_add_nc_u32_e32 v7, -3, v5
	v_lshlrev_b64 v[15:16], 2, v[5:6]
	v_lshlrev_b64 v[6:7], 2, v[7:8]
	v_add_co_u32 v13, vcc_lo, s2, v13
	v_add_co_ci_u32_e64 v14, null, s3, v14, vcc_lo
	v_add_co_u32 v6, vcc_lo, s2, v6
	v_add_co_ci_u32_e64 v7, null, s3, v7, vcc_lo
	s_clause 0x1
	global_load_dwordx2 v[13:14], v[13:14], off
	global_load_dword v25, v[6:7], off
	s_waitcnt vmcnt(2)
	v_subrev_nc_u32_e32 v4, s12, v4
	v_mul_lo_u32 v11, v4, 6
	v_lshlrev_b64 v[17:18], 2, v[11:12]
	v_add_nc_u32_e32 v7, 2, v11
	v_lshlrev_b64 v[19:20], 2, v[7:8]
	v_add_nc_u32_e32 v7, -2, v5
	v_add_co_u32 v17, vcc_lo, s4, v17
	v_add_co_ci_u32_e64 v18, null, s5, v18, vcc_lo
	v_lshlrev_b64 v[21:22], 2, v[7:8]
	v_add_nc_u32_e32 v7, -1, v5
	v_add_co_u32 v19, vcc_lo, s4, v19
	global_load_dwordx2 v[17:18], v[17:18], off
	v_add_co_ci_u32_e64 v20, null, s5, v20, vcc_lo
	v_lshlrev_b64 v[23:24], 2, v[7:8]
	v_add_nc_u32_e32 v7, 4, v11
	v_add_co_u32 v11, vcc_lo, s2, v21
	v_add_co_ci_u32_e64 v12, null, s3, v22, vcc_lo
	v_lshlrev_b64 v[6:7], 2, v[7:8]
	global_load_dwordx2 v[19:20], v[19:20], off
	v_add_nc_u32_e32 v5, 0x60, v5
	global_load_dword v4, v[11:12], off
	v_add_co_u32 v11, vcc_lo, s2, v23
	v_add_co_ci_u32_e64 v12, null, s3, v24, vcc_lo
	v_add_co_u32 v6, vcc_lo, s4, v6
	v_add_co_ci_u32_e64 v7, null, s5, v7, vcc_lo
	;; [unrolled: 2-line block ×3, first 2 shown]
	global_load_dword v11, v[11:12], off
	global_load_dwordx2 v[6:7], v[6:7], off
	global_load_dword v12, v[15:16], off
	v_cmp_ge_i32_e32 vcc_lo, v3, v10
	s_or_b32 s11, vcc_lo, s11
	s_waitcnt vmcnt(5)
	v_fmac_f32_e32 v9, v13, v17
	v_fmac_f32_e32 v9, v14, v18
	s_waitcnt vmcnt(4)
	v_fmac_f32_e32 v9, v25, v19
	s_waitcnt vmcnt(3)
	;; [unrolled: 2-line block ×4, first 2 shown]
	v_fmac_f32_e32 v9, v12, v7
	s_andn2_b32 exec_lo, exec_lo, s11
	s_cbranch_execnz .LBB22_8
; %bb.9:
	s_or_b32 exec_lo, exec_lo, s11
.LBB22_10:
	s_or_b32 exec_lo, exec_lo, s9
	v_mbcnt_lo_u32_b32 v3, -1, 0
	s_mov_b32 s0, -1
	v_xor_b32_e32 v4, 8, v3
	v_xor_b32_e32 v5, 4, v3
	;; [unrolled: 1-line block ×3, first 2 shown]
	v_cmp_gt_i32_e32 vcc_lo, 32, v4
	v_cndmask_b32_e32 v4, v3, v4, vcc_lo
	v_cmp_gt_i32_e32 vcc_lo, 32, v5
	v_lshlrev_b32_e32 v4, 2, v4
	v_cndmask_b32_e32 v5, v3, v5, vcc_lo
	v_cmp_gt_i32_e32 vcc_lo, 32, v6
	ds_bpermute_b32 v4, v4, v9
	v_lshlrev_b32_e32 v5, 2, v5
	v_cndmask_b32_e32 v6, v3, v6, vcc_lo
	v_lshlrev_b32_e32 v6, 2, v6
	s_waitcnt lgkmcnt(0)
	v_add_f32_e32 v4, v9, v4
	ds_bpermute_b32 v5, v5, v4
	s_waitcnt lgkmcnt(0)
	v_add_f32_e32 v4, v4, v5
	ds_bpermute_b32 v5, v6, v4
	v_xor_b32_e32 v6, 1, v3
	v_cmp_gt_i32_e32 vcc_lo, 32, v6
	v_cndmask_b32_e32 v6, v3, v6, vcc_lo
	v_cmp_eq_u32_e32 vcc_lo, 15, v0
	s_waitcnt lgkmcnt(0)
	v_add_f32_e32 v3, v4, v5
	v_lshlrev_b32_e32 v4, 2, v6
	ds_bpermute_b32 v4, v4, v3
	s_and_b32 exec_lo, exec_lo, vcc_lo
	s_cbranch_execz .LBB22_15
; %bb.11:
	s_waitcnt lgkmcnt(0)
	v_add_f32_e32 v0, v3, v4
	v_cmp_eq_f32_e64 s1, s8, 0
	v_mul_f32_e32 v0, s10, v0
	s_and_b32 vcc_lo, exec_lo, s1
	s_cbranch_vccz .LBB22_13
; %bb.12:
	v_add_co_u32 v3, vcc_lo, s6, v1
	v_add_co_ci_u32_e64 v4, null, s7, v2, vcc_lo
	s_mov_b32 s0, 0
	global_store_dword v[3:4], v0, off
.LBB22_13:
	s_andn2_b32 vcc_lo, exec_lo, s0
	s_cbranch_vccnz .LBB22_15
; %bb.14:
	v_add_co_u32 v1, vcc_lo, s6, v1
	v_add_co_ci_u32_e64 v2, null, s7, v2, vcc_lo
	global_load_dword v3, v[1:2], off
	s_waitcnt vmcnt(0)
	v_fmac_f32_e32 v0, s8, v3
	global_store_dword v[1:2], v0, off
.LBB22_15:
	s_endpgm
	.section	.rodata,"a",@progbits
	.p2align	6, 0x0
	.amdhsa_kernel _ZN9rocsparseL19gebsrmvn_1xn_kernelILj128ELj6ELj16EfEEvi20rocsparse_direction_NS_24const_host_device_scalarIT2_EEPKiS6_PKS3_S8_S4_PS3_21rocsparse_index_base_b
		.amdhsa_group_segment_fixed_size 0
		.amdhsa_private_segment_fixed_size 0
		.amdhsa_kernarg_size 72
		.amdhsa_user_sgpr_count 6
		.amdhsa_user_sgpr_private_segment_buffer 1
		.amdhsa_user_sgpr_dispatch_ptr 0
		.amdhsa_user_sgpr_queue_ptr 0
		.amdhsa_user_sgpr_kernarg_segment_ptr 1
		.amdhsa_user_sgpr_dispatch_id 0
		.amdhsa_user_sgpr_flat_scratch_init 0
		.amdhsa_user_sgpr_private_segment_size 0
		.amdhsa_wavefront_size32 1
		.amdhsa_uses_dynamic_stack 0
		.amdhsa_system_sgpr_private_segment_wavefront_offset 0
		.amdhsa_system_sgpr_workgroup_id_x 1
		.amdhsa_system_sgpr_workgroup_id_y 0
		.amdhsa_system_sgpr_workgroup_id_z 0
		.amdhsa_system_sgpr_workgroup_info 0
		.amdhsa_system_vgpr_workitem_id 0
		.amdhsa_next_free_vgpr 26
		.amdhsa_next_free_sgpr 14
		.amdhsa_reserve_vcc 1
		.amdhsa_reserve_flat_scratch 0
		.amdhsa_float_round_mode_32 0
		.amdhsa_float_round_mode_16_64 0
		.amdhsa_float_denorm_mode_32 3
		.amdhsa_float_denorm_mode_16_64 3
		.amdhsa_dx10_clamp 1
		.amdhsa_ieee_mode 1
		.amdhsa_fp16_overflow 0
		.amdhsa_workgroup_processor_mode 1
		.amdhsa_memory_ordered 1
		.amdhsa_forward_progress 1
		.amdhsa_shared_vgpr_count 0
		.amdhsa_exception_fp_ieee_invalid_op 0
		.amdhsa_exception_fp_denorm_src 0
		.amdhsa_exception_fp_ieee_div_zero 0
		.amdhsa_exception_fp_ieee_overflow 0
		.amdhsa_exception_fp_ieee_underflow 0
		.amdhsa_exception_fp_ieee_inexact 0
		.amdhsa_exception_int_div_zero 0
	.end_amdhsa_kernel
	.section	.text._ZN9rocsparseL19gebsrmvn_1xn_kernelILj128ELj6ELj16EfEEvi20rocsparse_direction_NS_24const_host_device_scalarIT2_EEPKiS6_PKS3_S8_S4_PS3_21rocsparse_index_base_b,"axG",@progbits,_ZN9rocsparseL19gebsrmvn_1xn_kernelILj128ELj6ELj16EfEEvi20rocsparse_direction_NS_24const_host_device_scalarIT2_EEPKiS6_PKS3_S8_S4_PS3_21rocsparse_index_base_b,comdat
.Lfunc_end22:
	.size	_ZN9rocsparseL19gebsrmvn_1xn_kernelILj128ELj6ELj16EfEEvi20rocsparse_direction_NS_24const_host_device_scalarIT2_EEPKiS6_PKS3_S8_S4_PS3_21rocsparse_index_base_b, .Lfunc_end22-_ZN9rocsparseL19gebsrmvn_1xn_kernelILj128ELj6ELj16EfEEvi20rocsparse_direction_NS_24const_host_device_scalarIT2_EEPKiS6_PKS3_S8_S4_PS3_21rocsparse_index_base_b
                                        ; -- End function
	.set _ZN9rocsparseL19gebsrmvn_1xn_kernelILj128ELj6ELj16EfEEvi20rocsparse_direction_NS_24const_host_device_scalarIT2_EEPKiS6_PKS3_S8_S4_PS3_21rocsparse_index_base_b.num_vgpr, 26
	.set _ZN9rocsparseL19gebsrmvn_1xn_kernelILj128ELj6ELj16EfEEvi20rocsparse_direction_NS_24const_host_device_scalarIT2_EEPKiS6_PKS3_S8_S4_PS3_21rocsparse_index_base_b.num_agpr, 0
	.set _ZN9rocsparseL19gebsrmvn_1xn_kernelILj128ELj6ELj16EfEEvi20rocsparse_direction_NS_24const_host_device_scalarIT2_EEPKiS6_PKS3_S8_S4_PS3_21rocsparse_index_base_b.numbered_sgpr, 14
	.set _ZN9rocsparseL19gebsrmvn_1xn_kernelILj128ELj6ELj16EfEEvi20rocsparse_direction_NS_24const_host_device_scalarIT2_EEPKiS6_PKS3_S8_S4_PS3_21rocsparse_index_base_b.num_named_barrier, 0
	.set _ZN9rocsparseL19gebsrmvn_1xn_kernelILj128ELj6ELj16EfEEvi20rocsparse_direction_NS_24const_host_device_scalarIT2_EEPKiS6_PKS3_S8_S4_PS3_21rocsparse_index_base_b.private_seg_size, 0
	.set _ZN9rocsparseL19gebsrmvn_1xn_kernelILj128ELj6ELj16EfEEvi20rocsparse_direction_NS_24const_host_device_scalarIT2_EEPKiS6_PKS3_S8_S4_PS3_21rocsparse_index_base_b.uses_vcc, 1
	.set _ZN9rocsparseL19gebsrmvn_1xn_kernelILj128ELj6ELj16EfEEvi20rocsparse_direction_NS_24const_host_device_scalarIT2_EEPKiS6_PKS3_S8_S4_PS3_21rocsparse_index_base_b.uses_flat_scratch, 0
	.set _ZN9rocsparseL19gebsrmvn_1xn_kernelILj128ELj6ELj16EfEEvi20rocsparse_direction_NS_24const_host_device_scalarIT2_EEPKiS6_PKS3_S8_S4_PS3_21rocsparse_index_base_b.has_dyn_sized_stack, 0
	.set _ZN9rocsparseL19gebsrmvn_1xn_kernelILj128ELj6ELj16EfEEvi20rocsparse_direction_NS_24const_host_device_scalarIT2_EEPKiS6_PKS3_S8_S4_PS3_21rocsparse_index_base_b.has_recursion, 0
	.set _ZN9rocsparseL19gebsrmvn_1xn_kernelILj128ELj6ELj16EfEEvi20rocsparse_direction_NS_24const_host_device_scalarIT2_EEPKiS6_PKS3_S8_S4_PS3_21rocsparse_index_base_b.has_indirect_call, 0
	.section	.AMDGPU.csdata,"",@progbits
; Kernel info:
; codeLenInByte = 964
; TotalNumSgprs: 16
; NumVgprs: 26
; ScratchSize: 0
; MemoryBound: 0
; FloatMode: 240
; IeeeMode: 1
; LDSByteSize: 0 bytes/workgroup (compile time only)
; SGPRBlocks: 0
; VGPRBlocks: 3
; NumSGPRsForWavesPerEU: 16
; NumVGPRsForWavesPerEU: 26
; Occupancy: 16
; WaveLimiterHint : 1
; COMPUTE_PGM_RSRC2:SCRATCH_EN: 0
; COMPUTE_PGM_RSRC2:USER_SGPR: 6
; COMPUTE_PGM_RSRC2:TRAP_HANDLER: 0
; COMPUTE_PGM_RSRC2:TGID_X_EN: 1
; COMPUTE_PGM_RSRC2:TGID_Y_EN: 0
; COMPUTE_PGM_RSRC2:TGID_Z_EN: 0
; COMPUTE_PGM_RSRC2:TIDIG_COMP_CNT: 0
	.section	.text._ZN9rocsparseL19gebsrmvn_1xn_kernelILj128ELj6ELj32EfEEvi20rocsparse_direction_NS_24const_host_device_scalarIT2_EEPKiS6_PKS3_S8_S4_PS3_21rocsparse_index_base_b,"axG",@progbits,_ZN9rocsparseL19gebsrmvn_1xn_kernelILj128ELj6ELj32EfEEvi20rocsparse_direction_NS_24const_host_device_scalarIT2_EEPKiS6_PKS3_S8_S4_PS3_21rocsparse_index_base_b,comdat
	.globl	_ZN9rocsparseL19gebsrmvn_1xn_kernelILj128ELj6ELj32EfEEvi20rocsparse_direction_NS_24const_host_device_scalarIT2_EEPKiS6_PKS3_S8_S4_PS3_21rocsparse_index_base_b ; -- Begin function _ZN9rocsparseL19gebsrmvn_1xn_kernelILj128ELj6ELj32EfEEvi20rocsparse_direction_NS_24const_host_device_scalarIT2_EEPKiS6_PKS3_S8_S4_PS3_21rocsparse_index_base_b
	.p2align	8
	.type	_ZN9rocsparseL19gebsrmvn_1xn_kernelILj128ELj6ELj32EfEEvi20rocsparse_direction_NS_24const_host_device_scalarIT2_EEPKiS6_PKS3_S8_S4_PS3_21rocsparse_index_base_b,@function
_ZN9rocsparseL19gebsrmvn_1xn_kernelILj128ELj6ELj32EfEEvi20rocsparse_direction_NS_24const_host_device_scalarIT2_EEPKiS6_PKS3_S8_S4_PS3_21rocsparse_index_base_b: ; @_ZN9rocsparseL19gebsrmvn_1xn_kernelILj128ELj6ELj32EfEEvi20rocsparse_direction_NS_24const_host_device_scalarIT2_EEPKiS6_PKS3_S8_S4_PS3_21rocsparse_index_base_b
; %bb.0:
	s_clause 0x2
	s_load_dwordx2 s[12:13], s[4:5], 0x40
	s_load_dwordx2 s[10:11], s[4:5], 0x8
	;; [unrolled: 1-line block ×3, first 2 shown]
	s_waitcnt lgkmcnt(0)
	s_bitcmp1_b32 s13, 0
	s_cselect_b32 s0, -1, 0
	s_and_b32 vcc_lo, exec_lo, s0
	s_xor_b32 s0, s0, -1
	s_cbranch_vccnz .LBB23_2
; %bb.1:
	s_load_dword s10, s[10:11], 0x0
.LBB23_2:
	s_andn2_b32 vcc_lo, exec_lo, s0
	s_cbranch_vccnz .LBB23_4
; %bb.3:
	s_load_dword s8, s[8:9], 0x0
.LBB23_4:
	s_waitcnt lgkmcnt(0)
	v_cmp_eq_f32_e64 s0, s10, 0
	v_cmp_eq_f32_e64 s1, s8, 1.0
	s_and_b32 s0, s0, s1
	s_and_b32 vcc_lo, exec_lo, s0
	s_cbranch_vccnz .LBB23_15
; %bb.5:
	s_load_dword s0, s[4:5], 0x0
	v_lshrrev_b32_e32 v1, 5, v0
	v_lshl_or_b32 v1, s6, 2, v1
	s_waitcnt lgkmcnt(0)
	v_cmp_gt_i32_e32 vcc_lo, s0, v1
	s_and_saveexec_b32 s0, vcc_lo
	s_cbranch_execz .LBB23_15
; %bb.6:
	s_clause 0x1
	s_load_dwordx2 s[0:1], s[4:5], 0x10
	s_load_dwordx2 s[6:7], s[4:5], 0x38
	v_ashrrev_i32_e32 v2, 31, v1
	v_and_b32_e32 v0, 31, v0
	v_mov_b32_e32 v9, 0
	s_mov_b32 s9, exec_lo
	v_lshlrev_b64 v[1:2], 2, v[1:2]
	v_subrev_nc_u32_e32 v5, s12, v0
	s_waitcnt lgkmcnt(0)
	v_add_co_u32 v3, vcc_lo, s0, v1
	v_add_co_ci_u32_e64 v4, null, s1, v2, vcc_lo
	global_load_dwordx2 v[3:4], v[3:4], off
	s_waitcnt vmcnt(0)
	v_subrev_nc_u32_e32 v10, s12, v4
	v_add_nc_u32_e32 v3, v3, v5
	v_cmpx_lt_i32_e64 v3, v10
	s_cbranch_execz .LBB23_10
; %bb.7:
	s_clause 0x1
	s_load_dwordx4 s[0:3], s[4:5], 0x18
	s_load_dwordx2 s[4:5], s[4:5], 0x28
	v_mad_u64_u32 v[5:6], null, v3, 6, 5
	v_mov_b32_e32 v8, 0
	v_mov_b32_e32 v9, 0
	s_mov_b32 s11, 0
.LBB23_8:                               ; =>This Inner Loop Header: Depth=1
	v_ashrrev_i32_e32 v4, 31, v3
	v_mov_b32_e32 v12, v8
	v_lshlrev_b64 v[6:7], 2, v[3:4]
	v_add_nc_u32_e32 v3, 32, v3
	s_waitcnt lgkmcnt(0)
	v_add_co_u32 v6, vcc_lo, s0, v6
	v_add_co_ci_u32_e64 v7, null, s1, v7, vcc_lo
	global_load_dword v4, v[6:7], off
	v_add_nc_u32_e32 v7, -5, v5
	v_mov_b32_e32 v6, v8
	v_lshlrev_b64 v[13:14], 2, v[7:8]
	v_add_nc_u32_e32 v7, -3, v5
	v_lshlrev_b64 v[15:16], 2, v[5:6]
	v_lshlrev_b64 v[6:7], 2, v[7:8]
	v_add_co_u32 v13, vcc_lo, s2, v13
	v_add_co_ci_u32_e64 v14, null, s3, v14, vcc_lo
	v_add_co_u32 v6, vcc_lo, s2, v6
	v_add_co_ci_u32_e64 v7, null, s3, v7, vcc_lo
	s_clause 0x1
	global_load_dwordx2 v[13:14], v[13:14], off
	global_load_dword v25, v[6:7], off
	s_waitcnt vmcnt(2)
	v_subrev_nc_u32_e32 v4, s12, v4
	v_mul_lo_u32 v11, v4, 6
	v_lshlrev_b64 v[17:18], 2, v[11:12]
	v_add_nc_u32_e32 v7, 2, v11
	v_lshlrev_b64 v[19:20], 2, v[7:8]
	v_add_nc_u32_e32 v7, -2, v5
	v_add_co_u32 v17, vcc_lo, s4, v17
	v_add_co_ci_u32_e64 v18, null, s5, v18, vcc_lo
	v_lshlrev_b64 v[21:22], 2, v[7:8]
	v_add_nc_u32_e32 v7, -1, v5
	v_add_co_u32 v19, vcc_lo, s4, v19
	global_load_dwordx2 v[17:18], v[17:18], off
	v_add_co_ci_u32_e64 v20, null, s5, v20, vcc_lo
	v_lshlrev_b64 v[23:24], 2, v[7:8]
	v_add_nc_u32_e32 v7, 4, v11
	v_add_co_u32 v11, vcc_lo, s2, v21
	v_add_co_ci_u32_e64 v12, null, s3, v22, vcc_lo
	v_lshlrev_b64 v[6:7], 2, v[7:8]
	global_load_dwordx2 v[19:20], v[19:20], off
	v_add_nc_u32_e32 v5, 0xc0, v5
	global_load_dword v4, v[11:12], off
	v_add_co_u32 v11, vcc_lo, s2, v23
	v_add_co_ci_u32_e64 v12, null, s3, v24, vcc_lo
	v_add_co_u32 v6, vcc_lo, s4, v6
	v_add_co_ci_u32_e64 v7, null, s5, v7, vcc_lo
	v_add_co_u32 v15, vcc_lo, s2, v15
	v_add_co_ci_u32_e64 v16, null, s3, v16, vcc_lo
	global_load_dword v11, v[11:12], off
	global_load_dwordx2 v[6:7], v[6:7], off
	global_load_dword v12, v[15:16], off
	v_cmp_ge_i32_e32 vcc_lo, v3, v10
	s_or_b32 s11, vcc_lo, s11
	s_waitcnt vmcnt(5)
	v_fmac_f32_e32 v9, v13, v17
	v_fmac_f32_e32 v9, v14, v18
	s_waitcnt vmcnt(4)
	v_fmac_f32_e32 v9, v25, v19
	s_waitcnt vmcnt(3)
	;; [unrolled: 2-line block ×4, first 2 shown]
	v_fmac_f32_e32 v9, v12, v7
	s_andn2_b32 exec_lo, exec_lo, s11
	s_cbranch_execnz .LBB23_8
; %bb.9:
	s_or_b32 exec_lo, exec_lo, s11
.LBB23_10:
	s_or_b32 exec_lo, exec_lo, s9
	v_mbcnt_lo_u32_b32 v3, -1, 0
	s_mov_b32 s0, -1
	v_xor_b32_e32 v4, 16, v3
	v_xor_b32_e32 v5, 8, v3
	;; [unrolled: 1-line block ×3, first 2 shown]
	v_cmp_gt_i32_e32 vcc_lo, 32, v4
	v_cndmask_b32_e32 v4, v3, v4, vcc_lo
	v_cmp_gt_i32_e32 vcc_lo, 32, v5
	v_lshlrev_b32_e32 v4, 2, v4
	v_cndmask_b32_e32 v5, v3, v5, vcc_lo
	v_cmp_gt_i32_e32 vcc_lo, 32, v6
	ds_bpermute_b32 v4, v4, v9
	v_lshlrev_b32_e32 v5, 2, v5
	v_cndmask_b32_e32 v6, v3, v6, vcc_lo
	v_lshlrev_b32_e32 v6, 2, v6
	s_waitcnt lgkmcnt(0)
	v_add_f32_e32 v4, v9, v4
	ds_bpermute_b32 v5, v5, v4
	s_waitcnt lgkmcnt(0)
	v_add_f32_e32 v4, v4, v5
	ds_bpermute_b32 v5, v6, v4
	v_xor_b32_e32 v6, 2, v3
	v_cmp_gt_i32_e32 vcc_lo, 32, v6
	v_cndmask_b32_e32 v6, v3, v6, vcc_lo
	v_lshlrev_b32_e32 v6, 2, v6
	s_waitcnt lgkmcnt(0)
	v_add_f32_e32 v4, v4, v5
	ds_bpermute_b32 v5, v6, v4
	v_xor_b32_e32 v6, 1, v3
	v_cmp_gt_i32_e32 vcc_lo, 32, v6
	v_cndmask_b32_e32 v6, v3, v6, vcc_lo
	v_cmp_eq_u32_e32 vcc_lo, 31, v0
	s_waitcnt lgkmcnt(0)
	v_add_f32_e32 v3, v4, v5
	v_lshlrev_b32_e32 v4, 2, v6
	ds_bpermute_b32 v4, v4, v3
	s_and_b32 exec_lo, exec_lo, vcc_lo
	s_cbranch_execz .LBB23_15
; %bb.11:
	s_waitcnt lgkmcnt(0)
	v_add_f32_e32 v0, v3, v4
	v_cmp_eq_f32_e64 s1, s8, 0
	v_mul_f32_e32 v0, s10, v0
	s_and_b32 vcc_lo, exec_lo, s1
	s_cbranch_vccz .LBB23_13
; %bb.12:
	v_add_co_u32 v3, vcc_lo, s6, v1
	v_add_co_ci_u32_e64 v4, null, s7, v2, vcc_lo
	s_mov_b32 s0, 0
	global_store_dword v[3:4], v0, off
.LBB23_13:
	s_andn2_b32 vcc_lo, exec_lo, s0
	s_cbranch_vccnz .LBB23_15
; %bb.14:
	v_add_co_u32 v1, vcc_lo, s6, v1
	v_add_co_ci_u32_e64 v2, null, s7, v2, vcc_lo
	global_load_dword v3, v[1:2], off
	s_waitcnt vmcnt(0)
	v_fmac_f32_e32 v0, s8, v3
	global_store_dword v[1:2], v0, off
.LBB23_15:
	s_endpgm
	.section	.rodata,"a",@progbits
	.p2align	6, 0x0
	.amdhsa_kernel _ZN9rocsparseL19gebsrmvn_1xn_kernelILj128ELj6ELj32EfEEvi20rocsparse_direction_NS_24const_host_device_scalarIT2_EEPKiS6_PKS3_S8_S4_PS3_21rocsparse_index_base_b
		.amdhsa_group_segment_fixed_size 0
		.amdhsa_private_segment_fixed_size 0
		.amdhsa_kernarg_size 72
		.amdhsa_user_sgpr_count 6
		.amdhsa_user_sgpr_private_segment_buffer 1
		.amdhsa_user_sgpr_dispatch_ptr 0
		.amdhsa_user_sgpr_queue_ptr 0
		.amdhsa_user_sgpr_kernarg_segment_ptr 1
		.amdhsa_user_sgpr_dispatch_id 0
		.amdhsa_user_sgpr_flat_scratch_init 0
		.amdhsa_user_sgpr_private_segment_size 0
		.amdhsa_wavefront_size32 1
		.amdhsa_uses_dynamic_stack 0
		.amdhsa_system_sgpr_private_segment_wavefront_offset 0
		.amdhsa_system_sgpr_workgroup_id_x 1
		.amdhsa_system_sgpr_workgroup_id_y 0
		.amdhsa_system_sgpr_workgroup_id_z 0
		.amdhsa_system_sgpr_workgroup_info 0
		.amdhsa_system_vgpr_workitem_id 0
		.amdhsa_next_free_vgpr 26
		.amdhsa_next_free_sgpr 14
		.amdhsa_reserve_vcc 1
		.amdhsa_reserve_flat_scratch 0
		.amdhsa_float_round_mode_32 0
		.amdhsa_float_round_mode_16_64 0
		.amdhsa_float_denorm_mode_32 3
		.amdhsa_float_denorm_mode_16_64 3
		.amdhsa_dx10_clamp 1
		.amdhsa_ieee_mode 1
		.amdhsa_fp16_overflow 0
		.amdhsa_workgroup_processor_mode 1
		.amdhsa_memory_ordered 1
		.amdhsa_forward_progress 1
		.amdhsa_shared_vgpr_count 0
		.amdhsa_exception_fp_ieee_invalid_op 0
		.amdhsa_exception_fp_denorm_src 0
		.amdhsa_exception_fp_ieee_div_zero 0
		.amdhsa_exception_fp_ieee_overflow 0
		.amdhsa_exception_fp_ieee_underflow 0
		.amdhsa_exception_fp_ieee_inexact 0
		.amdhsa_exception_int_div_zero 0
	.end_amdhsa_kernel
	.section	.text._ZN9rocsparseL19gebsrmvn_1xn_kernelILj128ELj6ELj32EfEEvi20rocsparse_direction_NS_24const_host_device_scalarIT2_EEPKiS6_PKS3_S8_S4_PS3_21rocsparse_index_base_b,"axG",@progbits,_ZN9rocsparseL19gebsrmvn_1xn_kernelILj128ELj6ELj32EfEEvi20rocsparse_direction_NS_24const_host_device_scalarIT2_EEPKiS6_PKS3_S8_S4_PS3_21rocsparse_index_base_b,comdat
.Lfunc_end23:
	.size	_ZN9rocsparseL19gebsrmvn_1xn_kernelILj128ELj6ELj32EfEEvi20rocsparse_direction_NS_24const_host_device_scalarIT2_EEPKiS6_PKS3_S8_S4_PS3_21rocsparse_index_base_b, .Lfunc_end23-_ZN9rocsparseL19gebsrmvn_1xn_kernelILj128ELj6ELj32EfEEvi20rocsparse_direction_NS_24const_host_device_scalarIT2_EEPKiS6_PKS3_S8_S4_PS3_21rocsparse_index_base_b
                                        ; -- End function
	.set _ZN9rocsparseL19gebsrmvn_1xn_kernelILj128ELj6ELj32EfEEvi20rocsparse_direction_NS_24const_host_device_scalarIT2_EEPKiS6_PKS3_S8_S4_PS3_21rocsparse_index_base_b.num_vgpr, 26
	.set _ZN9rocsparseL19gebsrmvn_1xn_kernelILj128ELj6ELj32EfEEvi20rocsparse_direction_NS_24const_host_device_scalarIT2_EEPKiS6_PKS3_S8_S4_PS3_21rocsparse_index_base_b.num_agpr, 0
	.set _ZN9rocsparseL19gebsrmvn_1xn_kernelILj128ELj6ELj32EfEEvi20rocsparse_direction_NS_24const_host_device_scalarIT2_EEPKiS6_PKS3_S8_S4_PS3_21rocsparse_index_base_b.numbered_sgpr, 14
	.set _ZN9rocsparseL19gebsrmvn_1xn_kernelILj128ELj6ELj32EfEEvi20rocsparse_direction_NS_24const_host_device_scalarIT2_EEPKiS6_PKS3_S8_S4_PS3_21rocsparse_index_base_b.num_named_barrier, 0
	.set _ZN9rocsparseL19gebsrmvn_1xn_kernelILj128ELj6ELj32EfEEvi20rocsparse_direction_NS_24const_host_device_scalarIT2_EEPKiS6_PKS3_S8_S4_PS3_21rocsparse_index_base_b.private_seg_size, 0
	.set _ZN9rocsparseL19gebsrmvn_1xn_kernelILj128ELj6ELj32EfEEvi20rocsparse_direction_NS_24const_host_device_scalarIT2_EEPKiS6_PKS3_S8_S4_PS3_21rocsparse_index_base_b.uses_vcc, 1
	.set _ZN9rocsparseL19gebsrmvn_1xn_kernelILj128ELj6ELj32EfEEvi20rocsparse_direction_NS_24const_host_device_scalarIT2_EEPKiS6_PKS3_S8_S4_PS3_21rocsparse_index_base_b.uses_flat_scratch, 0
	.set _ZN9rocsparseL19gebsrmvn_1xn_kernelILj128ELj6ELj32EfEEvi20rocsparse_direction_NS_24const_host_device_scalarIT2_EEPKiS6_PKS3_S8_S4_PS3_21rocsparse_index_base_b.has_dyn_sized_stack, 0
	.set _ZN9rocsparseL19gebsrmvn_1xn_kernelILj128ELj6ELj32EfEEvi20rocsparse_direction_NS_24const_host_device_scalarIT2_EEPKiS6_PKS3_S8_S4_PS3_21rocsparse_index_base_b.has_recursion, 0
	.set _ZN9rocsparseL19gebsrmvn_1xn_kernelILj128ELj6ELj32EfEEvi20rocsparse_direction_NS_24const_host_device_scalarIT2_EEPKiS6_PKS3_S8_S4_PS3_21rocsparse_index_base_b.has_indirect_call, 0
	.section	.AMDGPU.csdata,"",@progbits
; Kernel info:
; codeLenInByte = 996
; TotalNumSgprs: 16
; NumVgprs: 26
; ScratchSize: 0
; MemoryBound: 0
; FloatMode: 240
; IeeeMode: 1
; LDSByteSize: 0 bytes/workgroup (compile time only)
; SGPRBlocks: 0
; VGPRBlocks: 3
; NumSGPRsForWavesPerEU: 16
; NumVGPRsForWavesPerEU: 26
; Occupancy: 16
; WaveLimiterHint : 1
; COMPUTE_PGM_RSRC2:SCRATCH_EN: 0
; COMPUTE_PGM_RSRC2:USER_SGPR: 6
; COMPUTE_PGM_RSRC2:TRAP_HANDLER: 0
; COMPUTE_PGM_RSRC2:TGID_X_EN: 1
; COMPUTE_PGM_RSRC2:TGID_Y_EN: 0
; COMPUTE_PGM_RSRC2:TGID_Z_EN: 0
; COMPUTE_PGM_RSRC2:TIDIG_COMP_CNT: 0
	.section	.text._ZN9rocsparseL19gebsrmvn_1xn_kernelILj128ELj6ELj64EfEEvi20rocsparse_direction_NS_24const_host_device_scalarIT2_EEPKiS6_PKS3_S8_S4_PS3_21rocsparse_index_base_b,"axG",@progbits,_ZN9rocsparseL19gebsrmvn_1xn_kernelILj128ELj6ELj64EfEEvi20rocsparse_direction_NS_24const_host_device_scalarIT2_EEPKiS6_PKS3_S8_S4_PS3_21rocsparse_index_base_b,comdat
	.globl	_ZN9rocsparseL19gebsrmvn_1xn_kernelILj128ELj6ELj64EfEEvi20rocsparse_direction_NS_24const_host_device_scalarIT2_EEPKiS6_PKS3_S8_S4_PS3_21rocsparse_index_base_b ; -- Begin function _ZN9rocsparseL19gebsrmvn_1xn_kernelILj128ELj6ELj64EfEEvi20rocsparse_direction_NS_24const_host_device_scalarIT2_EEPKiS6_PKS3_S8_S4_PS3_21rocsparse_index_base_b
	.p2align	8
	.type	_ZN9rocsparseL19gebsrmvn_1xn_kernelILj128ELj6ELj64EfEEvi20rocsparse_direction_NS_24const_host_device_scalarIT2_EEPKiS6_PKS3_S8_S4_PS3_21rocsparse_index_base_b,@function
_ZN9rocsparseL19gebsrmvn_1xn_kernelILj128ELj6ELj64EfEEvi20rocsparse_direction_NS_24const_host_device_scalarIT2_EEPKiS6_PKS3_S8_S4_PS3_21rocsparse_index_base_b: ; @_ZN9rocsparseL19gebsrmvn_1xn_kernelILj128ELj6ELj64EfEEvi20rocsparse_direction_NS_24const_host_device_scalarIT2_EEPKiS6_PKS3_S8_S4_PS3_21rocsparse_index_base_b
; %bb.0:
	s_clause 0x2
	s_load_dwordx2 s[12:13], s[4:5], 0x40
	s_load_dwordx2 s[10:11], s[4:5], 0x8
	;; [unrolled: 1-line block ×3, first 2 shown]
	s_waitcnt lgkmcnt(0)
	s_bitcmp1_b32 s13, 0
	s_cselect_b32 s0, -1, 0
	s_and_b32 vcc_lo, exec_lo, s0
	s_xor_b32 s0, s0, -1
	s_cbranch_vccnz .LBB24_2
; %bb.1:
	s_load_dword s10, s[10:11], 0x0
.LBB24_2:
	s_andn2_b32 vcc_lo, exec_lo, s0
	s_cbranch_vccnz .LBB24_4
; %bb.3:
	s_load_dword s8, s[8:9], 0x0
.LBB24_4:
	s_waitcnt lgkmcnt(0)
	v_cmp_eq_f32_e64 s0, s10, 0
	v_cmp_eq_f32_e64 s1, s8, 1.0
	s_and_b32 s0, s0, s1
	s_and_b32 vcc_lo, exec_lo, s0
	s_cbranch_vccnz .LBB24_15
; %bb.5:
	s_load_dword s0, s[4:5], 0x0
	v_lshrrev_b32_e32 v1, 6, v0
	v_lshl_or_b32 v1, s6, 1, v1
	s_waitcnt lgkmcnt(0)
	v_cmp_gt_i32_e32 vcc_lo, s0, v1
	s_and_saveexec_b32 s0, vcc_lo
	s_cbranch_execz .LBB24_15
; %bb.6:
	s_clause 0x1
	s_load_dwordx2 s[0:1], s[4:5], 0x10
	s_load_dwordx2 s[6:7], s[4:5], 0x38
	v_ashrrev_i32_e32 v2, 31, v1
	v_and_b32_e32 v0, 63, v0
	v_mov_b32_e32 v9, 0
	s_mov_b32 s9, exec_lo
	v_lshlrev_b64 v[1:2], 2, v[1:2]
	v_subrev_nc_u32_e32 v5, s12, v0
	s_waitcnt lgkmcnt(0)
	v_add_co_u32 v3, vcc_lo, s0, v1
	v_add_co_ci_u32_e64 v4, null, s1, v2, vcc_lo
	global_load_dwordx2 v[3:4], v[3:4], off
	s_waitcnt vmcnt(0)
	v_subrev_nc_u32_e32 v10, s12, v4
	v_add_nc_u32_e32 v3, v3, v5
	v_cmpx_lt_i32_e64 v3, v10
	s_cbranch_execz .LBB24_10
; %bb.7:
	s_clause 0x1
	s_load_dwordx4 s[0:3], s[4:5], 0x18
	s_load_dwordx2 s[4:5], s[4:5], 0x28
	v_mad_u64_u32 v[5:6], null, v3, 6, 5
	v_mov_b32_e32 v8, 0
	v_mov_b32_e32 v9, 0
	s_mov_b32 s11, 0
.LBB24_8:                               ; =>This Inner Loop Header: Depth=1
	v_ashrrev_i32_e32 v4, 31, v3
	v_mov_b32_e32 v12, v8
	v_lshlrev_b64 v[6:7], 2, v[3:4]
	v_add_nc_u32_e32 v3, 64, v3
	s_waitcnt lgkmcnt(0)
	v_add_co_u32 v6, vcc_lo, s0, v6
	v_add_co_ci_u32_e64 v7, null, s1, v7, vcc_lo
	global_load_dword v4, v[6:7], off
	v_add_nc_u32_e32 v7, -5, v5
	v_mov_b32_e32 v6, v8
	v_lshlrev_b64 v[13:14], 2, v[7:8]
	v_add_nc_u32_e32 v7, -3, v5
	v_lshlrev_b64 v[15:16], 2, v[5:6]
	v_lshlrev_b64 v[6:7], 2, v[7:8]
	v_add_co_u32 v13, vcc_lo, s2, v13
	v_add_co_ci_u32_e64 v14, null, s3, v14, vcc_lo
	v_add_co_u32 v6, vcc_lo, s2, v6
	v_add_co_ci_u32_e64 v7, null, s3, v7, vcc_lo
	s_clause 0x1
	global_load_dwordx2 v[13:14], v[13:14], off
	global_load_dword v25, v[6:7], off
	s_waitcnt vmcnt(2)
	v_subrev_nc_u32_e32 v4, s12, v4
	v_mul_lo_u32 v11, v4, 6
	v_lshlrev_b64 v[17:18], 2, v[11:12]
	v_add_nc_u32_e32 v7, 2, v11
	v_lshlrev_b64 v[19:20], 2, v[7:8]
	v_add_nc_u32_e32 v7, -2, v5
	v_add_co_u32 v17, vcc_lo, s4, v17
	v_add_co_ci_u32_e64 v18, null, s5, v18, vcc_lo
	v_lshlrev_b64 v[21:22], 2, v[7:8]
	v_add_nc_u32_e32 v7, -1, v5
	v_add_co_u32 v19, vcc_lo, s4, v19
	global_load_dwordx2 v[17:18], v[17:18], off
	v_add_co_ci_u32_e64 v20, null, s5, v20, vcc_lo
	v_lshlrev_b64 v[23:24], 2, v[7:8]
	v_add_nc_u32_e32 v7, 4, v11
	v_add_co_u32 v11, vcc_lo, s2, v21
	v_add_co_ci_u32_e64 v12, null, s3, v22, vcc_lo
	v_lshlrev_b64 v[6:7], 2, v[7:8]
	global_load_dwordx2 v[19:20], v[19:20], off
	v_add_nc_u32_e32 v5, 0x180, v5
	global_load_dword v4, v[11:12], off
	v_add_co_u32 v11, vcc_lo, s2, v23
	v_add_co_ci_u32_e64 v12, null, s3, v24, vcc_lo
	v_add_co_u32 v6, vcc_lo, s4, v6
	v_add_co_ci_u32_e64 v7, null, s5, v7, vcc_lo
	;; [unrolled: 2-line block ×3, first 2 shown]
	global_load_dword v11, v[11:12], off
	global_load_dwordx2 v[6:7], v[6:7], off
	global_load_dword v12, v[15:16], off
	v_cmp_ge_i32_e32 vcc_lo, v3, v10
	s_or_b32 s11, vcc_lo, s11
	s_waitcnt vmcnt(5)
	v_fmac_f32_e32 v9, v13, v17
	v_fmac_f32_e32 v9, v14, v18
	s_waitcnt vmcnt(4)
	v_fmac_f32_e32 v9, v25, v19
	s_waitcnt vmcnt(3)
	;; [unrolled: 2-line block ×4, first 2 shown]
	v_fmac_f32_e32 v9, v12, v7
	s_andn2_b32 exec_lo, exec_lo, s11
	s_cbranch_execnz .LBB24_8
; %bb.9:
	s_or_b32 exec_lo, exec_lo, s11
.LBB24_10:
	s_or_b32 exec_lo, exec_lo, s9
	v_mbcnt_lo_u32_b32 v3, -1, 0
	s_mov_b32 s0, -1
	v_or_b32_e32 v4, 32, v3
	v_xor_b32_e32 v5, 16, v3
	v_xor_b32_e32 v6, 8, v3
	v_cmp_gt_i32_e32 vcc_lo, 32, v4
	v_cndmask_b32_e32 v4, v3, v4, vcc_lo
	v_cmp_gt_i32_e32 vcc_lo, 32, v5
	v_lshlrev_b32_e32 v4, 2, v4
	v_cndmask_b32_e32 v5, v3, v5, vcc_lo
	v_cmp_gt_i32_e32 vcc_lo, 32, v6
	ds_bpermute_b32 v4, v4, v9
	v_lshlrev_b32_e32 v5, 2, v5
	v_cndmask_b32_e32 v6, v3, v6, vcc_lo
	v_lshlrev_b32_e32 v6, 2, v6
	s_waitcnt lgkmcnt(0)
	v_add_f32_e32 v4, v9, v4
	ds_bpermute_b32 v5, v5, v4
	s_waitcnt lgkmcnt(0)
	v_add_f32_e32 v4, v4, v5
	ds_bpermute_b32 v5, v6, v4
	v_xor_b32_e32 v6, 4, v3
	v_cmp_gt_i32_e32 vcc_lo, 32, v6
	v_cndmask_b32_e32 v6, v3, v6, vcc_lo
	v_lshlrev_b32_e32 v6, 2, v6
	s_waitcnt lgkmcnt(0)
	v_add_f32_e32 v4, v4, v5
	ds_bpermute_b32 v5, v6, v4
	v_xor_b32_e32 v6, 2, v3
	v_cmp_gt_i32_e32 vcc_lo, 32, v6
	v_cndmask_b32_e32 v6, v3, v6, vcc_lo
	v_lshlrev_b32_e32 v6, 2, v6
	s_waitcnt lgkmcnt(0)
	v_add_f32_e32 v4, v4, v5
	ds_bpermute_b32 v5, v6, v4
	v_xor_b32_e32 v6, 1, v3
	v_cmp_gt_i32_e32 vcc_lo, 32, v6
	v_cndmask_b32_e32 v6, v3, v6, vcc_lo
	v_cmp_eq_u32_e32 vcc_lo, 63, v0
	s_waitcnt lgkmcnt(0)
	v_add_f32_e32 v3, v4, v5
	v_lshlrev_b32_e32 v4, 2, v6
	ds_bpermute_b32 v4, v4, v3
	s_and_b32 exec_lo, exec_lo, vcc_lo
	s_cbranch_execz .LBB24_15
; %bb.11:
	s_waitcnt lgkmcnt(0)
	v_add_f32_e32 v0, v3, v4
	v_cmp_eq_f32_e64 s1, s8, 0
	v_mul_f32_e32 v0, s10, v0
	s_and_b32 vcc_lo, exec_lo, s1
	s_cbranch_vccz .LBB24_13
; %bb.12:
	v_add_co_u32 v3, vcc_lo, s6, v1
	v_add_co_ci_u32_e64 v4, null, s7, v2, vcc_lo
	s_mov_b32 s0, 0
	global_store_dword v[3:4], v0, off
.LBB24_13:
	s_andn2_b32 vcc_lo, exec_lo, s0
	s_cbranch_vccnz .LBB24_15
; %bb.14:
	v_add_co_u32 v1, vcc_lo, s6, v1
	v_add_co_ci_u32_e64 v2, null, s7, v2, vcc_lo
	global_load_dword v3, v[1:2], off
	s_waitcnt vmcnt(0)
	v_fmac_f32_e32 v0, s8, v3
	global_store_dword v[1:2], v0, off
.LBB24_15:
	s_endpgm
	.section	.rodata,"a",@progbits
	.p2align	6, 0x0
	.amdhsa_kernel _ZN9rocsparseL19gebsrmvn_1xn_kernelILj128ELj6ELj64EfEEvi20rocsparse_direction_NS_24const_host_device_scalarIT2_EEPKiS6_PKS3_S8_S4_PS3_21rocsparse_index_base_b
		.amdhsa_group_segment_fixed_size 0
		.amdhsa_private_segment_fixed_size 0
		.amdhsa_kernarg_size 72
		.amdhsa_user_sgpr_count 6
		.amdhsa_user_sgpr_private_segment_buffer 1
		.amdhsa_user_sgpr_dispatch_ptr 0
		.amdhsa_user_sgpr_queue_ptr 0
		.amdhsa_user_sgpr_kernarg_segment_ptr 1
		.amdhsa_user_sgpr_dispatch_id 0
		.amdhsa_user_sgpr_flat_scratch_init 0
		.amdhsa_user_sgpr_private_segment_size 0
		.amdhsa_wavefront_size32 1
		.amdhsa_uses_dynamic_stack 0
		.amdhsa_system_sgpr_private_segment_wavefront_offset 0
		.amdhsa_system_sgpr_workgroup_id_x 1
		.amdhsa_system_sgpr_workgroup_id_y 0
		.amdhsa_system_sgpr_workgroup_id_z 0
		.amdhsa_system_sgpr_workgroup_info 0
		.amdhsa_system_vgpr_workitem_id 0
		.amdhsa_next_free_vgpr 26
		.amdhsa_next_free_sgpr 14
		.amdhsa_reserve_vcc 1
		.amdhsa_reserve_flat_scratch 0
		.amdhsa_float_round_mode_32 0
		.amdhsa_float_round_mode_16_64 0
		.amdhsa_float_denorm_mode_32 3
		.amdhsa_float_denorm_mode_16_64 3
		.amdhsa_dx10_clamp 1
		.amdhsa_ieee_mode 1
		.amdhsa_fp16_overflow 0
		.amdhsa_workgroup_processor_mode 1
		.amdhsa_memory_ordered 1
		.amdhsa_forward_progress 1
		.amdhsa_shared_vgpr_count 0
		.amdhsa_exception_fp_ieee_invalid_op 0
		.amdhsa_exception_fp_denorm_src 0
		.amdhsa_exception_fp_ieee_div_zero 0
		.amdhsa_exception_fp_ieee_overflow 0
		.amdhsa_exception_fp_ieee_underflow 0
		.amdhsa_exception_fp_ieee_inexact 0
		.amdhsa_exception_int_div_zero 0
	.end_amdhsa_kernel
	.section	.text._ZN9rocsparseL19gebsrmvn_1xn_kernelILj128ELj6ELj64EfEEvi20rocsparse_direction_NS_24const_host_device_scalarIT2_EEPKiS6_PKS3_S8_S4_PS3_21rocsparse_index_base_b,"axG",@progbits,_ZN9rocsparseL19gebsrmvn_1xn_kernelILj128ELj6ELj64EfEEvi20rocsparse_direction_NS_24const_host_device_scalarIT2_EEPKiS6_PKS3_S8_S4_PS3_21rocsparse_index_base_b,comdat
.Lfunc_end24:
	.size	_ZN9rocsparseL19gebsrmvn_1xn_kernelILj128ELj6ELj64EfEEvi20rocsparse_direction_NS_24const_host_device_scalarIT2_EEPKiS6_PKS3_S8_S4_PS3_21rocsparse_index_base_b, .Lfunc_end24-_ZN9rocsparseL19gebsrmvn_1xn_kernelILj128ELj6ELj64EfEEvi20rocsparse_direction_NS_24const_host_device_scalarIT2_EEPKiS6_PKS3_S8_S4_PS3_21rocsparse_index_base_b
                                        ; -- End function
	.set _ZN9rocsparseL19gebsrmvn_1xn_kernelILj128ELj6ELj64EfEEvi20rocsparse_direction_NS_24const_host_device_scalarIT2_EEPKiS6_PKS3_S8_S4_PS3_21rocsparse_index_base_b.num_vgpr, 26
	.set _ZN9rocsparseL19gebsrmvn_1xn_kernelILj128ELj6ELj64EfEEvi20rocsparse_direction_NS_24const_host_device_scalarIT2_EEPKiS6_PKS3_S8_S4_PS3_21rocsparse_index_base_b.num_agpr, 0
	.set _ZN9rocsparseL19gebsrmvn_1xn_kernelILj128ELj6ELj64EfEEvi20rocsparse_direction_NS_24const_host_device_scalarIT2_EEPKiS6_PKS3_S8_S4_PS3_21rocsparse_index_base_b.numbered_sgpr, 14
	.set _ZN9rocsparseL19gebsrmvn_1xn_kernelILj128ELj6ELj64EfEEvi20rocsparse_direction_NS_24const_host_device_scalarIT2_EEPKiS6_PKS3_S8_S4_PS3_21rocsparse_index_base_b.num_named_barrier, 0
	.set _ZN9rocsparseL19gebsrmvn_1xn_kernelILj128ELj6ELj64EfEEvi20rocsparse_direction_NS_24const_host_device_scalarIT2_EEPKiS6_PKS3_S8_S4_PS3_21rocsparse_index_base_b.private_seg_size, 0
	.set _ZN9rocsparseL19gebsrmvn_1xn_kernelILj128ELj6ELj64EfEEvi20rocsparse_direction_NS_24const_host_device_scalarIT2_EEPKiS6_PKS3_S8_S4_PS3_21rocsparse_index_base_b.uses_vcc, 1
	.set _ZN9rocsparseL19gebsrmvn_1xn_kernelILj128ELj6ELj64EfEEvi20rocsparse_direction_NS_24const_host_device_scalarIT2_EEPKiS6_PKS3_S8_S4_PS3_21rocsparse_index_base_b.uses_flat_scratch, 0
	.set _ZN9rocsparseL19gebsrmvn_1xn_kernelILj128ELj6ELj64EfEEvi20rocsparse_direction_NS_24const_host_device_scalarIT2_EEPKiS6_PKS3_S8_S4_PS3_21rocsparse_index_base_b.has_dyn_sized_stack, 0
	.set _ZN9rocsparseL19gebsrmvn_1xn_kernelILj128ELj6ELj64EfEEvi20rocsparse_direction_NS_24const_host_device_scalarIT2_EEPKiS6_PKS3_S8_S4_PS3_21rocsparse_index_base_b.has_recursion, 0
	.set _ZN9rocsparseL19gebsrmvn_1xn_kernelILj128ELj6ELj64EfEEvi20rocsparse_direction_NS_24const_host_device_scalarIT2_EEPKiS6_PKS3_S8_S4_PS3_21rocsparse_index_base_b.has_indirect_call, 0
	.section	.AMDGPU.csdata,"",@progbits
; Kernel info:
; codeLenInByte = 1028
; TotalNumSgprs: 16
; NumVgprs: 26
; ScratchSize: 0
; MemoryBound: 0
; FloatMode: 240
; IeeeMode: 1
; LDSByteSize: 0 bytes/workgroup (compile time only)
; SGPRBlocks: 0
; VGPRBlocks: 3
; NumSGPRsForWavesPerEU: 16
; NumVGPRsForWavesPerEU: 26
; Occupancy: 16
; WaveLimiterHint : 1
; COMPUTE_PGM_RSRC2:SCRATCH_EN: 0
; COMPUTE_PGM_RSRC2:USER_SGPR: 6
; COMPUTE_PGM_RSRC2:TRAP_HANDLER: 0
; COMPUTE_PGM_RSRC2:TGID_X_EN: 1
; COMPUTE_PGM_RSRC2:TGID_Y_EN: 0
; COMPUTE_PGM_RSRC2:TGID_Z_EN: 0
; COMPUTE_PGM_RSRC2:TIDIG_COMP_CNT: 0
	.section	.text._ZN9rocsparseL19gebsrmvn_1xn_kernelILj128ELj7ELj4EfEEvi20rocsparse_direction_NS_24const_host_device_scalarIT2_EEPKiS6_PKS3_S8_S4_PS3_21rocsparse_index_base_b,"axG",@progbits,_ZN9rocsparseL19gebsrmvn_1xn_kernelILj128ELj7ELj4EfEEvi20rocsparse_direction_NS_24const_host_device_scalarIT2_EEPKiS6_PKS3_S8_S4_PS3_21rocsparse_index_base_b,comdat
	.globl	_ZN9rocsparseL19gebsrmvn_1xn_kernelILj128ELj7ELj4EfEEvi20rocsparse_direction_NS_24const_host_device_scalarIT2_EEPKiS6_PKS3_S8_S4_PS3_21rocsparse_index_base_b ; -- Begin function _ZN9rocsparseL19gebsrmvn_1xn_kernelILj128ELj7ELj4EfEEvi20rocsparse_direction_NS_24const_host_device_scalarIT2_EEPKiS6_PKS3_S8_S4_PS3_21rocsparse_index_base_b
	.p2align	8
	.type	_ZN9rocsparseL19gebsrmvn_1xn_kernelILj128ELj7ELj4EfEEvi20rocsparse_direction_NS_24const_host_device_scalarIT2_EEPKiS6_PKS3_S8_S4_PS3_21rocsparse_index_base_b,@function
_ZN9rocsparseL19gebsrmvn_1xn_kernelILj128ELj7ELj4EfEEvi20rocsparse_direction_NS_24const_host_device_scalarIT2_EEPKiS6_PKS3_S8_S4_PS3_21rocsparse_index_base_b: ; @_ZN9rocsparseL19gebsrmvn_1xn_kernelILj128ELj7ELj4EfEEvi20rocsparse_direction_NS_24const_host_device_scalarIT2_EEPKiS6_PKS3_S8_S4_PS3_21rocsparse_index_base_b
; %bb.0:
	s_clause 0x2
	s_load_dwordx2 s[12:13], s[4:5], 0x40
	s_load_dwordx2 s[10:11], s[4:5], 0x8
	;; [unrolled: 1-line block ×3, first 2 shown]
	s_waitcnt lgkmcnt(0)
	s_bitcmp1_b32 s13, 0
	s_cselect_b32 s0, -1, 0
	s_and_b32 vcc_lo, exec_lo, s0
	s_xor_b32 s0, s0, -1
	s_cbranch_vccnz .LBB25_2
; %bb.1:
	s_load_dword s10, s[10:11], 0x0
.LBB25_2:
	s_andn2_b32 vcc_lo, exec_lo, s0
	s_cbranch_vccnz .LBB25_4
; %bb.3:
	s_load_dword s8, s[8:9], 0x0
.LBB25_4:
	s_waitcnt lgkmcnt(0)
	v_cmp_eq_f32_e64 s0, s10, 0
	v_cmp_eq_f32_e64 s1, s8, 1.0
	s_and_b32 s0, s0, s1
	s_and_b32 vcc_lo, exec_lo, s0
	s_cbranch_vccnz .LBB25_15
; %bb.5:
	s_load_dword s0, s[4:5], 0x0
	v_lshrrev_b32_e32 v1, 2, v0
	v_lshl_or_b32 v1, s6, 5, v1
	s_waitcnt lgkmcnt(0)
	v_cmp_gt_i32_e32 vcc_lo, s0, v1
	s_and_saveexec_b32 s0, vcc_lo
	s_cbranch_execz .LBB25_15
; %bb.6:
	s_clause 0x1
	s_load_dwordx2 s[0:1], s[4:5], 0x10
	s_load_dwordx2 s[6:7], s[4:5], 0x38
	v_ashrrev_i32_e32 v2, 31, v1
	v_and_b32_e32 v0, 3, v0
	v_mov_b32_e32 v9, 0
	s_mov_b32 s9, exec_lo
	v_lshlrev_b64 v[1:2], 2, v[1:2]
	v_subrev_nc_u32_e32 v5, s12, v0
	s_waitcnt lgkmcnt(0)
	v_add_co_u32 v3, vcc_lo, s0, v1
	v_add_co_ci_u32_e64 v4, null, s1, v2, vcc_lo
	global_load_dwordx2 v[3:4], v[3:4], off
	s_waitcnt vmcnt(0)
	v_subrev_nc_u32_e32 v10, s12, v4
	v_add_nc_u32_e32 v3, v3, v5
	v_cmpx_lt_i32_e64 v3, v10
	s_cbranch_execz .LBB25_10
; %bb.7:
	s_clause 0x1
	s_load_dwordx4 s[0:3], s[4:5], 0x18
	s_load_dwordx2 s[4:5], s[4:5], 0x28
	v_mad_u64_u32 v[5:6], null, v3, 7, 6
	v_mov_b32_e32 v8, 0
	v_mov_b32_e32 v9, 0
	s_mov_b32 s11, 0
.LBB25_8:                               ; =>This Inner Loop Header: Depth=1
	v_ashrrev_i32_e32 v4, 31, v3
	v_mov_b32_e32 v12, v8
	v_lshlrev_b64 v[6:7], 2, v[3:4]
	v_add_nc_u32_e32 v3, 4, v3
	s_waitcnt lgkmcnt(0)
	v_add_co_u32 v6, vcc_lo, s0, v6
	v_add_co_ci_u32_e64 v7, null, s1, v7, vcc_lo
	global_load_dword v4, v[6:7], off
	v_add_nc_u32_e32 v7, -6, v5
	v_mov_b32_e32 v6, v8
	v_lshlrev_b64 v[13:14], 2, v[7:8]
	v_add_nc_u32_e32 v7, -5, v5
	v_lshlrev_b64 v[15:16], 2, v[5:6]
	v_lshlrev_b64 v[6:7], 2, v[7:8]
	v_add_co_u32 v13, vcc_lo, s2, v13
	v_add_co_ci_u32_e64 v14, null, s3, v14, vcc_lo
	v_add_co_u32 v15, vcc_lo, s2, v15
	v_add_co_ci_u32_e64 v16, null, s3, v16, vcc_lo
	;; [unrolled: 2-line block ×3, first 2 shown]
	s_clause 0x1
	global_load_dword v21, v[13:14], off
	global_load_dword v22, v[6:7], off
	s_waitcnt vmcnt(2)
	v_subrev_nc_u32_e32 v4, s12, v4
	v_mul_lo_u32 v11, v4, 7
	v_add_nc_u32_e32 v7, 1, v11
	v_lshlrev_b64 v[12:13], 2, v[11:12]
	v_lshlrev_b64 v[17:18], 2, v[7:8]
	v_add_nc_u32_e32 v7, -4, v5
	v_add_co_u32 v12, vcc_lo, s4, v12
	v_add_co_ci_u32_e64 v13, null, s5, v13, vcc_lo
	v_add_co_u32 v17, vcc_lo, s4, v17
	v_lshlrev_b64 v[19:20], 2, v[7:8]
	v_add_nc_u32_e32 v7, 2, v11
	v_add_co_ci_u32_e64 v18, null, s5, v18, vcc_lo
	s_clause 0x1
	global_load_dword v4, v[12:13], off
	global_load_dword v23, v[17:18], off
	v_lshlrev_b64 v[12:13], 2, v[7:8]
	v_add_nc_u32_e32 v7, -3, v5
	v_add_co_u32 v17, vcc_lo, s2, v19
	v_add_co_ci_u32_e64 v18, null, s3, v20, vcc_lo
	v_add_co_u32 v12, vcc_lo, s4, v12
	v_lshlrev_b64 v[19:20], 2, v[7:8]
	v_add_co_ci_u32_e64 v13, null, s5, v13, vcc_lo
	v_add_nc_u32_e32 v7, 3, v11
	global_load_dword v24, v[17:18], off
	global_load_dword v25, v[12:13], off
	v_add_co_u32 v12, vcc_lo, s2, v19
	v_add_co_ci_u32_e64 v13, null, s3, v20, vcc_lo
	global_load_dword v26, v[12:13], off
	v_lshlrev_b64 v[17:18], 2, v[7:8]
	v_add_nc_u32_e32 v7, -2, v5
	v_lshlrev_b64 v[19:20], 2, v[7:8]
	v_add_nc_u32_e32 v7, 4, v11
	v_add_co_u32 v17, vcc_lo, s4, v17
	v_add_co_ci_u32_e64 v18, null, s5, v18, vcc_lo
	v_lshlrev_b64 v[12:13], 2, v[7:8]
	v_add_nc_u32_e32 v7, -1, v5
	v_add_nc_u32_e32 v5, 28, v5
	global_load_dword v27, v[17:18], off
	v_add_co_u32 v17, vcc_lo, s2, v19
	v_add_co_ci_u32_e64 v18, null, s3, v20, vcc_lo
	v_lshlrev_b64 v[19:20], 2, v[7:8]
	v_add_nc_u32_e32 v7, 5, v11
	v_add_co_u32 v12, vcc_lo, s4, v12
	global_load_dword v28, v[17:18], off
	v_add_co_ci_u32_e64 v13, null, s5, v13, vcc_lo
	v_lshlrev_b64 v[17:18], 2, v[7:8]
	v_add_nc_u32_e32 v7, 6, v11
	v_add_co_u32 v11, vcc_lo, s2, v19
	global_load_dword v29, v[12:13], off
	v_add_co_ci_u32_e64 v12, null, s3, v20, vcc_lo
	v_lshlrev_b64 v[6:7], 2, v[7:8]
	v_add_co_u32 v13, vcc_lo, s4, v17
	v_add_co_ci_u32_e64 v14, null, s5, v18, vcc_lo
	global_load_dword v11, v[11:12], off
	global_load_dword v12, v[13:14], off
	v_add_co_u32 v6, vcc_lo, s4, v6
	v_add_co_ci_u32_e64 v7, null, s5, v7, vcc_lo
	global_load_dword v13, v[15:16], off
	global_load_dword v6, v[6:7], off
	v_cmp_ge_i32_e32 vcc_lo, v3, v10
	s_or_b32 s11, vcc_lo, s11
	s_waitcnt vmcnt(11)
	v_fmac_f32_e32 v9, v21, v4
	s_waitcnt vmcnt(10)
	v_fmac_f32_e32 v9, v22, v23
	;; [unrolled: 2-line block ×7, first 2 shown]
	s_andn2_b32 exec_lo, exec_lo, s11
	s_cbranch_execnz .LBB25_8
; %bb.9:
	s_or_b32 exec_lo, exec_lo, s11
.LBB25_10:
	s_or_b32 exec_lo, exec_lo, s9
	v_mbcnt_lo_u32_b32 v3, -1, 0
	s_mov_b32 s0, -1
	v_xor_b32_e32 v4, 2, v3
	v_xor_b32_e32 v5, 1, v3
	v_cmp_gt_i32_e32 vcc_lo, 32, v4
	v_cndmask_b32_e32 v4, v3, v4, vcc_lo
	v_cmp_gt_i32_e32 vcc_lo, 32, v5
	v_lshlrev_b32_e32 v4, 2, v4
	v_cndmask_b32_e32 v5, v3, v5, vcc_lo
	v_cmp_eq_u32_e32 vcc_lo, 3, v0
	ds_bpermute_b32 v4, v4, v9
	s_waitcnt lgkmcnt(0)
	v_add_f32_e32 v3, v9, v4
	v_lshlrev_b32_e32 v4, 2, v5
	ds_bpermute_b32 v4, v4, v3
	s_and_b32 exec_lo, exec_lo, vcc_lo
	s_cbranch_execz .LBB25_15
; %bb.11:
	s_waitcnt lgkmcnt(0)
	v_add_f32_e32 v0, v3, v4
	v_cmp_eq_f32_e64 s1, s8, 0
	v_mul_f32_e32 v0, s10, v0
	s_and_b32 vcc_lo, exec_lo, s1
	s_cbranch_vccz .LBB25_13
; %bb.12:
	v_add_co_u32 v3, vcc_lo, s6, v1
	v_add_co_ci_u32_e64 v4, null, s7, v2, vcc_lo
	s_mov_b32 s0, 0
	global_store_dword v[3:4], v0, off
.LBB25_13:
	s_andn2_b32 vcc_lo, exec_lo, s0
	s_cbranch_vccnz .LBB25_15
; %bb.14:
	v_add_co_u32 v1, vcc_lo, s6, v1
	v_add_co_ci_u32_e64 v2, null, s7, v2, vcc_lo
	global_load_dword v3, v[1:2], off
	s_waitcnt vmcnt(0)
	v_fmac_f32_e32 v0, s8, v3
	global_store_dword v[1:2], v0, off
.LBB25_15:
	s_endpgm
	.section	.rodata,"a",@progbits
	.p2align	6, 0x0
	.amdhsa_kernel _ZN9rocsparseL19gebsrmvn_1xn_kernelILj128ELj7ELj4EfEEvi20rocsparse_direction_NS_24const_host_device_scalarIT2_EEPKiS6_PKS3_S8_S4_PS3_21rocsparse_index_base_b
		.amdhsa_group_segment_fixed_size 0
		.amdhsa_private_segment_fixed_size 0
		.amdhsa_kernarg_size 72
		.amdhsa_user_sgpr_count 6
		.amdhsa_user_sgpr_private_segment_buffer 1
		.amdhsa_user_sgpr_dispatch_ptr 0
		.amdhsa_user_sgpr_queue_ptr 0
		.amdhsa_user_sgpr_kernarg_segment_ptr 1
		.amdhsa_user_sgpr_dispatch_id 0
		.amdhsa_user_sgpr_flat_scratch_init 0
		.amdhsa_user_sgpr_private_segment_size 0
		.amdhsa_wavefront_size32 1
		.amdhsa_uses_dynamic_stack 0
		.amdhsa_system_sgpr_private_segment_wavefront_offset 0
		.amdhsa_system_sgpr_workgroup_id_x 1
		.amdhsa_system_sgpr_workgroup_id_y 0
		.amdhsa_system_sgpr_workgroup_id_z 0
		.amdhsa_system_sgpr_workgroup_info 0
		.amdhsa_system_vgpr_workitem_id 0
		.amdhsa_next_free_vgpr 30
		.amdhsa_next_free_sgpr 14
		.amdhsa_reserve_vcc 1
		.amdhsa_reserve_flat_scratch 0
		.amdhsa_float_round_mode_32 0
		.amdhsa_float_round_mode_16_64 0
		.amdhsa_float_denorm_mode_32 3
		.amdhsa_float_denorm_mode_16_64 3
		.amdhsa_dx10_clamp 1
		.amdhsa_ieee_mode 1
		.amdhsa_fp16_overflow 0
		.amdhsa_workgroup_processor_mode 1
		.amdhsa_memory_ordered 1
		.amdhsa_forward_progress 1
		.amdhsa_shared_vgpr_count 0
		.amdhsa_exception_fp_ieee_invalid_op 0
		.amdhsa_exception_fp_denorm_src 0
		.amdhsa_exception_fp_ieee_div_zero 0
		.amdhsa_exception_fp_ieee_overflow 0
		.amdhsa_exception_fp_ieee_underflow 0
		.amdhsa_exception_fp_ieee_inexact 0
		.amdhsa_exception_int_div_zero 0
	.end_amdhsa_kernel
	.section	.text._ZN9rocsparseL19gebsrmvn_1xn_kernelILj128ELj7ELj4EfEEvi20rocsparse_direction_NS_24const_host_device_scalarIT2_EEPKiS6_PKS3_S8_S4_PS3_21rocsparse_index_base_b,"axG",@progbits,_ZN9rocsparseL19gebsrmvn_1xn_kernelILj128ELj7ELj4EfEEvi20rocsparse_direction_NS_24const_host_device_scalarIT2_EEPKiS6_PKS3_S8_S4_PS3_21rocsparse_index_base_b,comdat
.Lfunc_end25:
	.size	_ZN9rocsparseL19gebsrmvn_1xn_kernelILj128ELj7ELj4EfEEvi20rocsparse_direction_NS_24const_host_device_scalarIT2_EEPKiS6_PKS3_S8_S4_PS3_21rocsparse_index_base_b, .Lfunc_end25-_ZN9rocsparseL19gebsrmvn_1xn_kernelILj128ELj7ELj4EfEEvi20rocsparse_direction_NS_24const_host_device_scalarIT2_EEPKiS6_PKS3_S8_S4_PS3_21rocsparse_index_base_b
                                        ; -- End function
	.set _ZN9rocsparseL19gebsrmvn_1xn_kernelILj128ELj7ELj4EfEEvi20rocsparse_direction_NS_24const_host_device_scalarIT2_EEPKiS6_PKS3_S8_S4_PS3_21rocsparse_index_base_b.num_vgpr, 30
	.set _ZN9rocsparseL19gebsrmvn_1xn_kernelILj128ELj7ELj4EfEEvi20rocsparse_direction_NS_24const_host_device_scalarIT2_EEPKiS6_PKS3_S8_S4_PS3_21rocsparse_index_base_b.num_agpr, 0
	.set _ZN9rocsparseL19gebsrmvn_1xn_kernelILj128ELj7ELj4EfEEvi20rocsparse_direction_NS_24const_host_device_scalarIT2_EEPKiS6_PKS3_S8_S4_PS3_21rocsparse_index_base_b.numbered_sgpr, 14
	.set _ZN9rocsparseL19gebsrmvn_1xn_kernelILj128ELj7ELj4EfEEvi20rocsparse_direction_NS_24const_host_device_scalarIT2_EEPKiS6_PKS3_S8_S4_PS3_21rocsparse_index_base_b.num_named_barrier, 0
	.set _ZN9rocsparseL19gebsrmvn_1xn_kernelILj128ELj7ELj4EfEEvi20rocsparse_direction_NS_24const_host_device_scalarIT2_EEPKiS6_PKS3_S8_S4_PS3_21rocsparse_index_base_b.private_seg_size, 0
	.set _ZN9rocsparseL19gebsrmvn_1xn_kernelILj128ELj7ELj4EfEEvi20rocsparse_direction_NS_24const_host_device_scalarIT2_EEPKiS6_PKS3_S8_S4_PS3_21rocsparse_index_base_b.uses_vcc, 1
	.set _ZN9rocsparseL19gebsrmvn_1xn_kernelILj128ELj7ELj4EfEEvi20rocsparse_direction_NS_24const_host_device_scalarIT2_EEPKiS6_PKS3_S8_S4_PS3_21rocsparse_index_base_b.uses_flat_scratch, 0
	.set _ZN9rocsparseL19gebsrmvn_1xn_kernelILj128ELj7ELj4EfEEvi20rocsparse_direction_NS_24const_host_device_scalarIT2_EEPKiS6_PKS3_S8_S4_PS3_21rocsparse_index_base_b.has_dyn_sized_stack, 0
	.set _ZN9rocsparseL19gebsrmvn_1xn_kernelILj128ELj7ELj4EfEEvi20rocsparse_direction_NS_24const_host_device_scalarIT2_EEPKiS6_PKS3_S8_S4_PS3_21rocsparse_index_base_b.has_recursion, 0
	.set _ZN9rocsparseL19gebsrmvn_1xn_kernelILj128ELj7ELj4EfEEvi20rocsparse_direction_NS_24const_host_device_scalarIT2_EEPKiS6_PKS3_S8_S4_PS3_21rocsparse_index_base_b.has_indirect_call, 0
	.section	.AMDGPU.csdata,"",@progbits
; Kernel info:
; codeLenInByte = 1128
; TotalNumSgprs: 16
; NumVgprs: 30
; ScratchSize: 0
; MemoryBound: 0
; FloatMode: 240
; IeeeMode: 1
; LDSByteSize: 0 bytes/workgroup (compile time only)
; SGPRBlocks: 0
; VGPRBlocks: 3
; NumSGPRsForWavesPerEU: 16
; NumVGPRsForWavesPerEU: 30
; Occupancy: 16
; WaveLimiterHint : 1
; COMPUTE_PGM_RSRC2:SCRATCH_EN: 0
; COMPUTE_PGM_RSRC2:USER_SGPR: 6
; COMPUTE_PGM_RSRC2:TRAP_HANDLER: 0
; COMPUTE_PGM_RSRC2:TGID_X_EN: 1
; COMPUTE_PGM_RSRC2:TGID_Y_EN: 0
; COMPUTE_PGM_RSRC2:TGID_Z_EN: 0
; COMPUTE_PGM_RSRC2:TIDIG_COMP_CNT: 0
	.section	.text._ZN9rocsparseL19gebsrmvn_1xn_kernelILj128ELj7ELj8EfEEvi20rocsparse_direction_NS_24const_host_device_scalarIT2_EEPKiS6_PKS3_S8_S4_PS3_21rocsparse_index_base_b,"axG",@progbits,_ZN9rocsparseL19gebsrmvn_1xn_kernelILj128ELj7ELj8EfEEvi20rocsparse_direction_NS_24const_host_device_scalarIT2_EEPKiS6_PKS3_S8_S4_PS3_21rocsparse_index_base_b,comdat
	.globl	_ZN9rocsparseL19gebsrmvn_1xn_kernelILj128ELj7ELj8EfEEvi20rocsparse_direction_NS_24const_host_device_scalarIT2_EEPKiS6_PKS3_S8_S4_PS3_21rocsparse_index_base_b ; -- Begin function _ZN9rocsparseL19gebsrmvn_1xn_kernelILj128ELj7ELj8EfEEvi20rocsparse_direction_NS_24const_host_device_scalarIT2_EEPKiS6_PKS3_S8_S4_PS3_21rocsparse_index_base_b
	.p2align	8
	.type	_ZN9rocsparseL19gebsrmvn_1xn_kernelILj128ELj7ELj8EfEEvi20rocsparse_direction_NS_24const_host_device_scalarIT2_EEPKiS6_PKS3_S8_S4_PS3_21rocsparse_index_base_b,@function
_ZN9rocsparseL19gebsrmvn_1xn_kernelILj128ELj7ELj8EfEEvi20rocsparse_direction_NS_24const_host_device_scalarIT2_EEPKiS6_PKS3_S8_S4_PS3_21rocsparse_index_base_b: ; @_ZN9rocsparseL19gebsrmvn_1xn_kernelILj128ELj7ELj8EfEEvi20rocsparse_direction_NS_24const_host_device_scalarIT2_EEPKiS6_PKS3_S8_S4_PS3_21rocsparse_index_base_b
; %bb.0:
	s_clause 0x2
	s_load_dwordx2 s[12:13], s[4:5], 0x40
	s_load_dwordx2 s[10:11], s[4:5], 0x8
	;; [unrolled: 1-line block ×3, first 2 shown]
	s_waitcnt lgkmcnt(0)
	s_bitcmp1_b32 s13, 0
	s_cselect_b32 s0, -1, 0
	s_and_b32 vcc_lo, exec_lo, s0
	s_xor_b32 s0, s0, -1
	s_cbranch_vccnz .LBB26_2
; %bb.1:
	s_load_dword s10, s[10:11], 0x0
.LBB26_2:
	s_andn2_b32 vcc_lo, exec_lo, s0
	s_cbranch_vccnz .LBB26_4
; %bb.3:
	s_load_dword s8, s[8:9], 0x0
.LBB26_4:
	s_waitcnt lgkmcnt(0)
	v_cmp_eq_f32_e64 s0, s10, 0
	v_cmp_eq_f32_e64 s1, s8, 1.0
	s_and_b32 s0, s0, s1
	s_and_b32 vcc_lo, exec_lo, s0
	s_cbranch_vccnz .LBB26_15
; %bb.5:
	s_load_dword s0, s[4:5], 0x0
	v_lshrrev_b32_e32 v1, 3, v0
	v_lshl_or_b32 v1, s6, 4, v1
	s_waitcnt lgkmcnt(0)
	v_cmp_gt_i32_e32 vcc_lo, s0, v1
	s_and_saveexec_b32 s0, vcc_lo
	s_cbranch_execz .LBB26_15
; %bb.6:
	s_clause 0x1
	s_load_dwordx2 s[0:1], s[4:5], 0x10
	s_load_dwordx2 s[6:7], s[4:5], 0x38
	v_ashrrev_i32_e32 v2, 31, v1
	v_and_b32_e32 v0, 7, v0
	v_mov_b32_e32 v9, 0
	s_mov_b32 s9, exec_lo
	v_lshlrev_b64 v[1:2], 2, v[1:2]
	v_subrev_nc_u32_e32 v5, s12, v0
	s_waitcnt lgkmcnt(0)
	v_add_co_u32 v3, vcc_lo, s0, v1
	v_add_co_ci_u32_e64 v4, null, s1, v2, vcc_lo
	global_load_dwordx2 v[3:4], v[3:4], off
	s_waitcnt vmcnt(0)
	v_subrev_nc_u32_e32 v10, s12, v4
	v_add_nc_u32_e32 v3, v3, v5
	v_cmpx_lt_i32_e64 v3, v10
	s_cbranch_execz .LBB26_10
; %bb.7:
	s_clause 0x1
	s_load_dwordx4 s[0:3], s[4:5], 0x18
	s_load_dwordx2 s[4:5], s[4:5], 0x28
	v_mad_u64_u32 v[5:6], null, v3, 7, 6
	v_mov_b32_e32 v8, 0
	v_mov_b32_e32 v9, 0
	s_mov_b32 s11, 0
.LBB26_8:                               ; =>This Inner Loop Header: Depth=1
	v_ashrrev_i32_e32 v4, 31, v3
	v_mov_b32_e32 v12, v8
	v_lshlrev_b64 v[6:7], 2, v[3:4]
	v_add_nc_u32_e32 v3, 8, v3
	s_waitcnt lgkmcnt(0)
	v_add_co_u32 v6, vcc_lo, s0, v6
	v_add_co_ci_u32_e64 v7, null, s1, v7, vcc_lo
	global_load_dword v4, v[6:7], off
	v_add_nc_u32_e32 v7, -6, v5
	v_mov_b32_e32 v6, v8
	v_lshlrev_b64 v[13:14], 2, v[7:8]
	v_add_nc_u32_e32 v7, -5, v5
	v_lshlrev_b64 v[15:16], 2, v[5:6]
	v_lshlrev_b64 v[6:7], 2, v[7:8]
	v_add_co_u32 v13, vcc_lo, s2, v13
	v_add_co_ci_u32_e64 v14, null, s3, v14, vcc_lo
	v_add_co_u32 v15, vcc_lo, s2, v15
	v_add_co_ci_u32_e64 v16, null, s3, v16, vcc_lo
	;; [unrolled: 2-line block ×3, first 2 shown]
	s_clause 0x1
	global_load_dword v21, v[13:14], off
	global_load_dword v22, v[6:7], off
	s_waitcnt vmcnt(2)
	v_subrev_nc_u32_e32 v4, s12, v4
	v_mul_lo_u32 v11, v4, 7
	v_add_nc_u32_e32 v7, 1, v11
	v_lshlrev_b64 v[12:13], 2, v[11:12]
	v_lshlrev_b64 v[17:18], 2, v[7:8]
	v_add_nc_u32_e32 v7, -4, v5
	v_add_co_u32 v12, vcc_lo, s4, v12
	v_add_co_ci_u32_e64 v13, null, s5, v13, vcc_lo
	v_add_co_u32 v17, vcc_lo, s4, v17
	v_lshlrev_b64 v[19:20], 2, v[7:8]
	v_add_nc_u32_e32 v7, 2, v11
	v_add_co_ci_u32_e64 v18, null, s5, v18, vcc_lo
	s_clause 0x1
	global_load_dword v4, v[12:13], off
	global_load_dword v23, v[17:18], off
	v_lshlrev_b64 v[12:13], 2, v[7:8]
	v_add_nc_u32_e32 v7, -3, v5
	v_add_co_u32 v17, vcc_lo, s2, v19
	v_add_co_ci_u32_e64 v18, null, s3, v20, vcc_lo
	v_add_co_u32 v12, vcc_lo, s4, v12
	v_lshlrev_b64 v[19:20], 2, v[7:8]
	v_add_co_ci_u32_e64 v13, null, s5, v13, vcc_lo
	v_add_nc_u32_e32 v7, 3, v11
	global_load_dword v24, v[17:18], off
	global_load_dword v25, v[12:13], off
	v_add_co_u32 v12, vcc_lo, s2, v19
	v_add_co_ci_u32_e64 v13, null, s3, v20, vcc_lo
	global_load_dword v26, v[12:13], off
	v_lshlrev_b64 v[17:18], 2, v[7:8]
	v_add_nc_u32_e32 v7, -2, v5
	v_lshlrev_b64 v[19:20], 2, v[7:8]
	v_add_nc_u32_e32 v7, 4, v11
	v_add_co_u32 v17, vcc_lo, s4, v17
	v_add_co_ci_u32_e64 v18, null, s5, v18, vcc_lo
	v_lshlrev_b64 v[12:13], 2, v[7:8]
	v_add_nc_u32_e32 v7, -1, v5
	v_add_nc_u32_e32 v5, 56, v5
	global_load_dword v27, v[17:18], off
	v_add_co_u32 v17, vcc_lo, s2, v19
	v_add_co_ci_u32_e64 v18, null, s3, v20, vcc_lo
	v_lshlrev_b64 v[19:20], 2, v[7:8]
	v_add_nc_u32_e32 v7, 5, v11
	v_add_co_u32 v12, vcc_lo, s4, v12
	global_load_dword v28, v[17:18], off
	v_add_co_ci_u32_e64 v13, null, s5, v13, vcc_lo
	v_lshlrev_b64 v[17:18], 2, v[7:8]
	v_add_nc_u32_e32 v7, 6, v11
	v_add_co_u32 v11, vcc_lo, s2, v19
	global_load_dword v29, v[12:13], off
	v_add_co_ci_u32_e64 v12, null, s3, v20, vcc_lo
	v_lshlrev_b64 v[6:7], 2, v[7:8]
	v_add_co_u32 v13, vcc_lo, s4, v17
	v_add_co_ci_u32_e64 v14, null, s5, v18, vcc_lo
	global_load_dword v11, v[11:12], off
	global_load_dword v12, v[13:14], off
	v_add_co_u32 v6, vcc_lo, s4, v6
	v_add_co_ci_u32_e64 v7, null, s5, v7, vcc_lo
	global_load_dword v13, v[15:16], off
	global_load_dword v6, v[6:7], off
	v_cmp_ge_i32_e32 vcc_lo, v3, v10
	s_or_b32 s11, vcc_lo, s11
	s_waitcnt vmcnt(11)
	v_fmac_f32_e32 v9, v21, v4
	s_waitcnt vmcnt(10)
	v_fmac_f32_e32 v9, v22, v23
	;; [unrolled: 2-line block ×7, first 2 shown]
	s_andn2_b32 exec_lo, exec_lo, s11
	s_cbranch_execnz .LBB26_8
; %bb.9:
	s_or_b32 exec_lo, exec_lo, s11
.LBB26_10:
	s_or_b32 exec_lo, exec_lo, s9
	v_mbcnt_lo_u32_b32 v3, -1, 0
	s_mov_b32 s0, -1
	v_xor_b32_e32 v4, 4, v3
	v_xor_b32_e32 v5, 2, v3
	;; [unrolled: 1-line block ×3, first 2 shown]
	v_cmp_gt_i32_e32 vcc_lo, 32, v4
	v_cndmask_b32_e32 v4, v3, v4, vcc_lo
	v_cmp_gt_i32_e32 vcc_lo, 32, v5
	v_lshlrev_b32_e32 v4, 2, v4
	v_cndmask_b32_e32 v5, v3, v5, vcc_lo
	v_cmp_gt_i32_e32 vcc_lo, 32, v6
	ds_bpermute_b32 v4, v4, v9
	v_lshlrev_b32_e32 v5, 2, v5
	v_cndmask_b32_e32 v6, v3, v6, vcc_lo
	v_cmp_eq_u32_e32 vcc_lo, 7, v0
	s_waitcnt lgkmcnt(0)
	v_add_f32_e32 v4, v9, v4
	ds_bpermute_b32 v5, v5, v4
	s_waitcnt lgkmcnt(0)
	v_add_f32_e32 v3, v4, v5
	v_lshlrev_b32_e32 v4, 2, v6
	ds_bpermute_b32 v4, v4, v3
	s_and_b32 exec_lo, exec_lo, vcc_lo
	s_cbranch_execz .LBB26_15
; %bb.11:
	s_waitcnt lgkmcnt(0)
	v_add_f32_e32 v0, v3, v4
	v_cmp_eq_f32_e64 s1, s8, 0
	v_mul_f32_e32 v0, s10, v0
	s_and_b32 vcc_lo, exec_lo, s1
	s_cbranch_vccz .LBB26_13
; %bb.12:
	v_add_co_u32 v3, vcc_lo, s6, v1
	v_add_co_ci_u32_e64 v4, null, s7, v2, vcc_lo
	s_mov_b32 s0, 0
	global_store_dword v[3:4], v0, off
.LBB26_13:
	s_andn2_b32 vcc_lo, exec_lo, s0
	s_cbranch_vccnz .LBB26_15
; %bb.14:
	v_add_co_u32 v1, vcc_lo, s6, v1
	v_add_co_ci_u32_e64 v2, null, s7, v2, vcc_lo
	global_load_dword v3, v[1:2], off
	s_waitcnt vmcnt(0)
	v_fmac_f32_e32 v0, s8, v3
	global_store_dword v[1:2], v0, off
.LBB26_15:
	s_endpgm
	.section	.rodata,"a",@progbits
	.p2align	6, 0x0
	.amdhsa_kernel _ZN9rocsparseL19gebsrmvn_1xn_kernelILj128ELj7ELj8EfEEvi20rocsparse_direction_NS_24const_host_device_scalarIT2_EEPKiS6_PKS3_S8_S4_PS3_21rocsparse_index_base_b
		.amdhsa_group_segment_fixed_size 0
		.amdhsa_private_segment_fixed_size 0
		.amdhsa_kernarg_size 72
		.amdhsa_user_sgpr_count 6
		.amdhsa_user_sgpr_private_segment_buffer 1
		.amdhsa_user_sgpr_dispatch_ptr 0
		.amdhsa_user_sgpr_queue_ptr 0
		.amdhsa_user_sgpr_kernarg_segment_ptr 1
		.amdhsa_user_sgpr_dispatch_id 0
		.amdhsa_user_sgpr_flat_scratch_init 0
		.amdhsa_user_sgpr_private_segment_size 0
		.amdhsa_wavefront_size32 1
		.amdhsa_uses_dynamic_stack 0
		.amdhsa_system_sgpr_private_segment_wavefront_offset 0
		.amdhsa_system_sgpr_workgroup_id_x 1
		.amdhsa_system_sgpr_workgroup_id_y 0
		.amdhsa_system_sgpr_workgroup_id_z 0
		.amdhsa_system_sgpr_workgroup_info 0
		.amdhsa_system_vgpr_workitem_id 0
		.amdhsa_next_free_vgpr 30
		.amdhsa_next_free_sgpr 14
		.amdhsa_reserve_vcc 1
		.amdhsa_reserve_flat_scratch 0
		.amdhsa_float_round_mode_32 0
		.amdhsa_float_round_mode_16_64 0
		.amdhsa_float_denorm_mode_32 3
		.amdhsa_float_denorm_mode_16_64 3
		.amdhsa_dx10_clamp 1
		.amdhsa_ieee_mode 1
		.amdhsa_fp16_overflow 0
		.amdhsa_workgroup_processor_mode 1
		.amdhsa_memory_ordered 1
		.amdhsa_forward_progress 1
		.amdhsa_shared_vgpr_count 0
		.amdhsa_exception_fp_ieee_invalid_op 0
		.amdhsa_exception_fp_denorm_src 0
		.amdhsa_exception_fp_ieee_div_zero 0
		.amdhsa_exception_fp_ieee_overflow 0
		.amdhsa_exception_fp_ieee_underflow 0
		.amdhsa_exception_fp_ieee_inexact 0
		.amdhsa_exception_int_div_zero 0
	.end_amdhsa_kernel
	.section	.text._ZN9rocsparseL19gebsrmvn_1xn_kernelILj128ELj7ELj8EfEEvi20rocsparse_direction_NS_24const_host_device_scalarIT2_EEPKiS6_PKS3_S8_S4_PS3_21rocsparse_index_base_b,"axG",@progbits,_ZN9rocsparseL19gebsrmvn_1xn_kernelILj128ELj7ELj8EfEEvi20rocsparse_direction_NS_24const_host_device_scalarIT2_EEPKiS6_PKS3_S8_S4_PS3_21rocsparse_index_base_b,comdat
.Lfunc_end26:
	.size	_ZN9rocsparseL19gebsrmvn_1xn_kernelILj128ELj7ELj8EfEEvi20rocsparse_direction_NS_24const_host_device_scalarIT2_EEPKiS6_PKS3_S8_S4_PS3_21rocsparse_index_base_b, .Lfunc_end26-_ZN9rocsparseL19gebsrmvn_1xn_kernelILj128ELj7ELj8EfEEvi20rocsparse_direction_NS_24const_host_device_scalarIT2_EEPKiS6_PKS3_S8_S4_PS3_21rocsparse_index_base_b
                                        ; -- End function
	.set _ZN9rocsparseL19gebsrmvn_1xn_kernelILj128ELj7ELj8EfEEvi20rocsparse_direction_NS_24const_host_device_scalarIT2_EEPKiS6_PKS3_S8_S4_PS3_21rocsparse_index_base_b.num_vgpr, 30
	.set _ZN9rocsparseL19gebsrmvn_1xn_kernelILj128ELj7ELj8EfEEvi20rocsparse_direction_NS_24const_host_device_scalarIT2_EEPKiS6_PKS3_S8_S4_PS3_21rocsparse_index_base_b.num_agpr, 0
	.set _ZN9rocsparseL19gebsrmvn_1xn_kernelILj128ELj7ELj8EfEEvi20rocsparse_direction_NS_24const_host_device_scalarIT2_EEPKiS6_PKS3_S8_S4_PS3_21rocsparse_index_base_b.numbered_sgpr, 14
	.set _ZN9rocsparseL19gebsrmvn_1xn_kernelILj128ELj7ELj8EfEEvi20rocsparse_direction_NS_24const_host_device_scalarIT2_EEPKiS6_PKS3_S8_S4_PS3_21rocsparse_index_base_b.num_named_barrier, 0
	.set _ZN9rocsparseL19gebsrmvn_1xn_kernelILj128ELj7ELj8EfEEvi20rocsparse_direction_NS_24const_host_device_scalarIT2_EEPKiS6_PKS3_S8_S4_PS3_21rocsparse_index_base_b.private_seg_size, 0
	.set _ZN9rocsparseL19gebsrmvn_1xn_kernelILj128ELj7ELj8EfEEvi20rocsparse_direction_NS_24const_host_device_scalarIT2_EEPKiS6_PKS3_S8_S4_PS3_21rocsparse_index_base_b.uses_vcc, 1
	.set _ZN9rocsparseL19gebsrmvn_1xn_kernelILj128ELj7ELj8EfEEvi20rocsparse_direction_NS_24const_host_device_scalarIT2_EEPKiS6_PKS3_S8_S4_PS3_21rocsparse_index_base_b.uses_flat_scratch, 0
	.set _ZN9rocsparseL19gebsrmvn_1xn_kernelILj128ELj7ELj8EfEEvi20rocsparse_direction_NS_24const_host_device_scalarIT2_EEPKiS6_PKS3_S8_S4_PS3_21rocsparse_index_base_b.has_dyn_sized_stack, 0
	.set _ZN9rocsparseL19gebsrmvn_1xn_kernelILj128ELj7ELj8EfEEvi20rocsparse_direction_NS_24const_host_device_scalarIT2_EEPKiS6_PKS3_S8_S4_PS3_21rocsparse_index_base_b.has_recursion, 0
	.set _ZN9rocsparseL19gebsrmvn_1xn_kernelILj128ELj7ELj8EfEEvi20rocsparse_direction_NS_24const_host_device_scalarIT2_EEPKiS6_PKS3_S8_S4_PS3_21rocsparse_index_base_b.has_indirect_call, 0
	.section	.AMDGPU.csdata,"",@progbits
; Kernel info:
; codeLenInByte = 1160
; TotalNumSgprs: 16
; NumVgprs: 30
; ScratchSize: 0
; MemoryBound: 0
; FloatMode: 240
; IeeeMode: 1
; LDSByteSize: 0 bytes/workgroup (compile time only)
; SGPRBlocks: 0
; VGPRBlocks: 3
; NumSGPRsForWavesPerEU: 16
; NumVGPRsForWavesPerEU: 30
; Occupancy: 16
; WaveLimiterHint : 1
; COMPUTE_PGM_RSRC2:SCRATCH_EN: 0
; COMPUTE_PGM_RSRC2:USER_SGPR: 6
; COMPUTE_PGM_RSRC2:TRAP_HANDLER: 0
; COMPUTE_PGM_RSRC2:TGID_X_EN: 1
; COMPUTE_PGM_RSRC2:TGID_Y_EN: 0
; COMPUTE_PGM_RSRC2:TGID_Z_EN: 0
; COMPUTE_PGM_RSRC2:TIDIG_COMP_CNT: 0
	.section	.text._ZN9rocsparseL19gebsrmvn_1xn_kernelILj128ELj7ELj16EfEEvi20rocsparse_direction_NS_24const_host_device_scalarIT2_EEPKiS6_PKS3_S8_S4_PS3_21rocsparse_index_base_b,"axG",@progbits,_ZN9rocsparseL19gebsrmvn_1xn_kernelILj128ELj7ELj16EfEEvi20rocsparse_direction_NS_24const_host_device_scalarIT2_EEPKiS6_PKS3_S8_S4_PS3_21rocsparse_index_base_b,comdat
	.globl	_ZN9rocsparseL19gebsrmvn_1xn_kernelILj128ELj7ELj16EfEEvi20rocsparse_direction_NS_24const_host_device_scalarIT2_EEPKiS6_PKS3_S8_S4_PS3_21rocsparse_index_base_b ; -- Begin function _ZN9rocsparseL19gebsrmvn_1xn_kernelILj128ELj7ELj16EfEEvi20rocsparse_direction_NS_24const_host_device_scalarIT2_EEPKiS6_PKS3_S8_S4_PS3_21rocsparse_index_base_b
	.p2align	8
	.type	_ZN9rocsparseL19gebsrmvn_1xn_kernelILj128ELj7ELj16EfEEvi20rocsparse_direction_NS_24const_host_device_scalarIT2_EEPKiS6_PKS3_S8_S4_PS3_21rocsparse_index_base_b,@function
_ZN9rocsparseL19gebsrmvn_1xn_kernelILj128ELj7ELj16EfEEvi20rocsparse_direction_NS_24const_host_device_scalarIT2_EEPKiS6_PKS3_S8_S4_PS3_21rocsparse_index_base_b: ; @_ZN9rocsparseL19gebsrmvn_1xn_kernelILj128ELj7ELj16EfEEvi20rocsparse_direction_NS_24const_host_device_scalarIT2_EEPKiS6_PKS3_S8_S4_PS3_21rocsparse_index_base_b
; %bb.0:
	s_clause 0x2
	s_load_dwordx2 s[12:13], s[4:5], 0x40
	s_load_dwordx2 s[10:11], s[4:5], 0x8
	s_load_dwordx2 s[8:9], s[4:5], 0x30
	s_waitcnt lgkmcnt(0)
	s_bitcmp1_b32 s13, 0
	s_cselect_b32 s0, -1, 0
	s_and_b32 vcc_lo, exec_lo, s0
	s_xor_b32 s0, s0, -1
	s_cbranch_vccnz .LBB27_2
; %bb.1:
	s_load_dword s10, s[10:11], 0x0
.LBB27_2:
	s_andn2_b32 vcc_lo, exec_lo, s0
	s_cbranch_vccnz .LBB27_4
; %bb.3:
	s_load_dword s8, s[8:9], 0x0
.LBB27_4:
	s_waitcnt lgkmcnt(0)
	v_cmp_eq_f32_e64 s0, s10, 0
	v_cmp_eq_f32_e64 s1, s8, 1.0
	s_and_b32 s0, s0, s1
	s_and_b32 vcc_lo, exec_lo, s0
	s_cbranch_vccnz .LBB27_15
; %bb.5:
	s_load_dword s0, s[4:5], 0x0
	v_lshrrev_b32_e32 v1, 4, v0
	v_lshl_or_b32 v1, s6, 3, v1
	s_waitcnt lgkmcnt(0)
	v_cmp_gt_i32_e32 vcc_lo, s0, v1
	s_and_saveexec_b32 s0, vcc_lo
	s_cbranch_execz .LBB27_15
; %bb.6:
	s_clause 0x1
	s_load_dwordx2 s[0:1], s[4:5], 0x10
	s_load_dwordx2 s[6:7], s[4:5], 0x38
	v_ashrrev_i32_e32 v2, 31, v1
	v_and_b32_e32 v0, 15, v0
	v_mov_b32_e32 v9, 0
	s_mov_b32 s9, exec_lo
	v_lshlrev_b64 v[1:2], 2, v[1:2]
	v_subrev_nc_u32_e32 v5, s12, v0
	s_waitcnt lgkmcnt(0)
	v_add_co_u32 v3, vcc_lo, s0, v1
	v_add_co_ci_u32_e64 v4, null, s1, v2, vcc_lo
	global_load_dwordx2 v[3:4], v[3:4], off
	s_waitcnt vmcnt(0)
	v_subrev_nc_u32_e32 v10, s12, v4
	v_add_nc_u32_e32 v3, v3, v5
	v_cmpx_lt_i32_e64 v3, v10
	s_cbranch_execz .LBB27_10
; %bb.7:
	s_clause 0x1
	s_load_dwordx4 s[0:3], s[4:5], 0x18
	s_load_dwordx2 s[4:5], s[4:5], 0x28
	v_mad_u64_u32 v[5:6], null, v3, 7, 6
	v_mov_b32_e32 v8, 0
	v_mov_b32_e32 v9, 0
	s_mov_b32 s11, 0
.LBB27_8:                               ; =>This Inner Loop Header: Depth=1
	v_ashrrev_i32_e32 v4, 31, v3
	v_mov_b32_e32 v12, v8
	v_lshlrev_b64 v[6:7], 2, v[3:4]
	v_add_nc_u32_e32 v3, 16, v3
	s_waitcnt lgkmcnt(0)
	v_add_co_u32 v6, vcc_lo, s0, v6
	v_add_co_ci_u32_e64 v7, null, s1, v7, vcc_lo
	global_load_dword v4, v[6:7], off
	v_add_nc_u32_e32 v7, -6, v5
	v_mov_b32_e32 v6, v8
	v_lshlrev_b64 v[13:14], 2, v[7:8]
	v_add_nc_u32_e32 v7, -5, v5
	v_lshlrev_b64 v[15:16], 2, v[5:6]
	v_lshlrev_b64 v[6:7], 2, v[7:8]
	v_add_co_u32 v13, vcc_lo, s2, v13
	v_add_co_ci_u32_e64 v14, null, s3, v14, vcc_lo
	v_add_co_u32 v15, vcc_lo, s2, v15
	v_add_co_ci_u32_e64 v16, null, s3, v16, vcc_lo
	v_add_co_u32 v6, vcc_lo, s2, v6
	v_add_co_ci_u32_e64 v7, null, s3, v7, vcc_lo
	s_clause 0x1
	global_load_dword v21, v[13:14], off
	global_load_dword v22, v[6:7], off
	s_waitcnt vmcnt(2)
	v_subrev_nc_u32_e32 v4, s12, v4
	v_mul_lo_u32 v11, v4, 7
	v_add_nc_u32_e32 v7, 1, v11
	v_lshlrev_b64 v[12:13], 2, v[11:12]
	v_lshlrev_b64 v[17:18], 2, v[7:8]
	v_add_nc_u32_e32 v7, -4, v5
	v_add_co_u32 v12, vcc_lo, s4, v12
	v_add_co_ci_u32_e64 v13, null, s5, v13, vcc_lo
	v_add_co_u32 v17, vcc_lo, s4, v17
	v_lshlrev_b64 v[19:20], 2, v[7:8]
	v_add_nc_u32_e32 v7, 2, v11
	v_add_co_ci_u32_e64 v18, null, s5, v18, vcc_lo
	s_clause 0x1
	global_load_dword v4, v[12:13], off
	global_load_dword v23, v[17:18], off
	v_lshlrev_b64 v[12:13], 2, v[7:8]
	v_add_nc_u32_e32 v7, -3, v5
	v_add_co_u32 v17, vcc_lo, s2, v19
	v_add_co_ci_u32_e64 v18, null, s3, v20, vcc_lo
	v_add_co_u32 v12, vcc_lo, s4, v12
	v_lshlrev_b64 v[19:20], 2, v[7:8]
	v_add_co_ci_u32_e64 v13, null, s5, v13, vcc_lo
	v_add_nc_u32_e32 v7, 3, v11
	global_load_dword v24, v[17:18], off
	global_load_dword v25, v[12:13], off
	v_add_co_u32 v12, vcc_lo, s2, v19
	v_add_co_ci_u32_e64 v13, null, s3, v20, vcc_lo
	global_load_dword v26, v[12:13], off
	v_lshlrev_b64 v[17:18], 2, v[7:8]
	v_add_nc_u32_e32 v7, -2, v5
	v_lshlrev_b64 v[19:20], 2, v[7:8]
	v_add_nc_u32_e32 v7, 4, v11
	v_add_co_u32 v17, vcc_lo, s4, v17
	v_add_co_ci_u32_e64 v18, null, s5, v18, vcc_lo
	v_lshlrev_b64 v[12:13], 2, v[7:8]
	v_add_nc_u32_e32 v7, -1, v5
	v_add_nc_u32_e32 v5, 0x70, v5
	global_load_dword v27, v[17:18], off
	v_add_co_u32 v17, vcc_lo, s2, v19
	v_add_co_ci_u32_e64 v18, null, s3, v20, vcc_lo
	v_lshlrev_b64 v[19:20], 2, v[7:8]
	v_add_nc_u32_e32 v7, 5, v11
	v_add_co_u32 v12, vcc_lo, s4, v12
	global_load_dword v28, v[17:18], off
	v_add_co_ci_u32_e64 v13, null, s5, v13, vcc_lo
	v_lshlrev_b64 v[17:18], 2, v[7:8]
	v_add_nc_u32_e32 v7, 6, v11
	v_add_co_u32 v11, vcc_lo, s2, v19
	global_load_dword v29, v[12:13], off
	v_add_co_ci_u32_e64 v12, null, s3, v20, vcc_lo
	v_lshlrev_b64 v[6:7], 2, v[7:8]
	v_add_co_u32 v13, vcc_lo, s4, v17
	v_add_co_ci_u32_e64 v14, null, s5, v18, vcc_lo
	global_load_dword v11, v[11:12], off
	global_load_dword v12, v[13:14], off
	v_add_co_u32 v6, vcc_lo, s4, v6
	v_add_co_ci_u32_e64 v7, null, s5, v7, vcc_lo
	global_load_dword v13, v[15:16], off
	global_load_dword v6, v[6:7], off
	v_cmp_ge_i32_e32 vcc_lo, v3, v10
	s_or_b32 s11, vcc_lo, s11
	s_waitcnt vmcnt(11)
	v_fmac_f32_e32 v9, v21, v4
	s_waitcnt vmcnt(10)
	v_fmac_f32_e32 v9, v22, v23
	;; [unrolled: 2-line block ×7, first 2 shown]
	s_andn2_b32 exec_lo, exec_lo, s11
	s_cbranch_execnz .LBB27_8
; %bb.9:
	s_or_b32 exec_lo, exec_lo, s11
.LBB27_10:
	s_or_b32 exec_lo, exec_lo, s9
	v_mbcnt_lo_u32_b32 v3, -1, 0
	s_mov_b32 s0, -1
	v_xor_b32_e32 v4, 8, v3
	v_xor_b32_e32 v5, 4, v3
	;; [unrolled: 1-line block ×3, first 2 shown]
	v_cmp_gt_i32_e32 vcc_lo, 32, v4
	v_cndmask_b32_e32 v4, v3, v4, vcc_lo
	v_cmp_gt_i32_e32 vcc_lo, 32, v5
	v_lshlrev_b32_e32 v4, 2, v4
	v_cndmask_b32_e32 v5, v3, v5, vcc_lo
	v_cmp_gt_i32_e32 vcc_lo, 32, v6
	ds_bpermute_b32 v4, v4, v9
	v_lshlrev_b32_e32 v5, 2, v5
	v_cndmask_b32_e32 v6, v3, v6, vcc_lo
	v_lshlrev_b32_e32 v6, 2, v6
	s_waitcnt lgkmcnt(0)
	v_add_f32_e32 v4, v9, v4
	ds_bpermute_b32 v5, v5, v4
	s_waitcnt lgkmcnt(0)
	v_add_f32_e32 v4, v4, v5
	ds_bpermute_b32 v5, v6, v4
	v_xor_b32_e32 v6, 1, v3
	v_cmp_gt_i32_e32 vcc_lo, 32, v6
	v_cndmask_b32_e32 v6, v3, v6, vcc_lo
	v_cmp_eq_u32_e32 vcc_lo, 15, v0
	s_waitcnt lgkmcnt(0)
	v_add_f32_e32 v3, v4, v5
	v_lshlrev_b32_e32 v4, 2, v6
	ds_bpermute_b32 v4, v4, v3
	s_and_b32 exec_lo, exec_lo, vcc_lo
	s_cbranch_execz .LBB27_15
; %bb.11:
	s_waitcnt lgkmcnt(0)
	v_add_f32_e32 v0, v3, v4
	v_cmp_eq_f32_e64 s1, s8, 0
	v_mul_f32_e32 v0, s10, v0
	s_and_b32 vcc_lo, exec_lo, s1
	s_cbranch_vccz .LBB27_13
; %bb.12:
	v_add_co_u32 v3, vcc_lo, s6, v1
	v_add_co_ci_u32_e64 v4, null, s7, v2, vcc_lo
	s_mov_b32 s0, 0
	global_store_dword v[3:4], v0, off
.LBB27_13:
	s_andn2_b32 vcc_lo, exec_lo, s0
	s_cbranch_vccnz .LBB27_15
; %bb.14:
	v_add_co_u32 v1, vcc_lo, s6, v1
	v_add_co_ci_u32_e64 v2, null, s7, v2, vcc_lo
	global_load_dword v3, v[1:2], off
	s_waitcnt vmcnt(0)
	v_fmac_f32_e32 v0, s8, v3
	global_store_dword v[1:2], v0, off
.LBB27_15:
	s_endpgm
	.section	.rodata,"a",@progbits
	.p2align	6, 0x0
	.amdhsa_kernel _ZN9rocsparseL19gebsrmvn_1xn_kernelILj128ELj7ELj16EfEEvi20rocsparse_direction_NS_24const_host_device_scalarIT2_EEPKiS6_PKS3_S8_S4_PS3_21rocsparse_index_base_b
		.amdhsa_group_segment_fixed_size 0
		.amdhsa_private_segment_fixed_size 0
		.amdhsa_kernarg_size 72
		.amdhsa_user_sgpr_count 6
		.amdhsa_user_sgpr_private_segment_buffer 1
		.amdhsa_user_sgpr_dispatch_ptr 0
		.amdhsa_user_sgpr_queue_ptr 0
		.amdhsa_user_sgpr_kernarg_segment_ptr 1
		.amdhsa_user_sgpr_dispatch_id 0
		.amdhsa_user_sgpr_flat_scratch_init 0
		.amdhsa_user_sgpr_private_segment_size 0
		.amdhsa_wavefront_size32 1
		.amdhsa_uses_dynamic_stack 0
		.amdhsa_system_sgpr_private_segment_wavefront_offset 0
		.amdhsa_system_sgpr_workgroup_id_x 1
		.amdhsa_system_sgpr_workgroup_id_y 0
		.amdhsa_system_sgpr_workgroup_id_z 0
		.amdhsa_system_sgpr_workgroup_info 0
		.amdhsa_system_vgpr_workitem_id 0
		.amdhsa_next_free_vgpr 30
		.amdhsa_next_free_sgpr 14
		.amdhsa_reserve_vcc 1
		.amdhsa_reserve_flat_scratch 0
		.amdhsa_float_round_mode_32 0
		.amdhsa_float_round_mode_16_64 0
		.amdhsa_float_denorm_mode_32 3
		.amdhsa_float_denorm_mode_16_64 3
		.amdhsa_dx10_clamp 1
		.amdhsa_ieee_mode 1
		.amdhsa_fp16_overflow 0
		.amdhsa_workgroup_processor_mode 1
		.amdhsa_memory_ordered 1
		.amdhsa_forward_progress 1
		.amdhsa_shared_vgpr_count 0
		.amdhsa_exception_fp_ieee_invalid_op 0
		.amdhsa_exception_fp_denorm_src 0
		.amdhsa_exception_fp_ieee_div_zero 0
		.amdhsa_exception_fp_ieee_overflow 0
		.amdhsa_exception_fp_ieee_underflow 0
		.amdhsa_exception_fp_ieee_inexact 0
		.amdhsa_exception_int_div_zero 0
	.end_amdhsa_kernel
	.section	.text._ZN9rocsparseL19gebsrmvn_1xn_kernelILj128ELj7ELj16EfEEvi20rocsparse_direction_NS_24const_host_device_scalarIT2_EEPKiS6_PKS3_S8_S4_PS3_21rocsparse_index_base_b,"axG",@progbits,_ZN9rocsparseL19gebsrmvn_1xn_kernelILj128ELj7ELj16EfEEvi20rocsparse_direction_NS_24const_host_device_scalarIT2_EEPKiS6_PKS3_S8_S4_PS3_21rocsparse_index_base_b,comdat
.Lfunc_end27:
	.size	_ZN9rocsparseL19gebsrmvn_1xn_kernelILj128ELj7ELj16EfEEvi20rocsparse_direction_NS_24const_host_device_scalarIT2_EEPKiS6_PKS3_S8_S4_PS3_21rocsparse_index_base_b, .Lfunc_end27-_ZN9rocsparseL19gebsrmvn_1xn_kernelILj128ELj7ELj16EfEEvi20rocsparse_direction_NS_24const_host_device_scalarIT2_EEPKiS6_PKS3_S8_S4_PS3_21rocsparse_index_base_b
                                        ; -- End function
	.set _ZN9rocsparseL19gebsrmvn_1xn_kernelILj128ELj7ELj16EfEEvi20rocsparse_direction_NS_24const_host_device_scalarIT2_EEPKiS6_PKS3_S8_S4_PS3_21rocsparse_index_base_b.num_vgpr, 30
	.set _ZN9rocsparseL19gebsrmvn_1xn_kernelILj128ELj7ELj16EfEEvi20rocsparse_direction_NS_24const_host_device_scalarIT2_EEPKiS6_PKS3_S8_S4_PS3_21rocsparse_index_base_b.num_agpr, 0
	.set _ZN9rocsparseL19gebsrmvn_1xn_kernelILj128ELj7ELj16EfEEvi20rocsparse_direction_NS_24const_host_device_scalarIT2_EEPKiS6_PKS3_S8_S4_PS3_21rocsparse_index_base_b.numbered_sgpr, 14
	.set _ZN9rocsparseL19gebsrmvn_1xn_kernelILj128ELj7ELj16EfEEvi20rocsparse_direction_NS_24const_host_device_scalarIT2_EEPKiS6_PKS3_S8_S4_PS3_21rocsparse_index_base_b.num_named_barrier, 0
	.set _ZN9rocsparseL19gebsrmvn_1xn_kernelILj128ELj7ELj16EfEEvi20rocsparse_direction_NS_24const_host_device_scalarIT2_EEPKiS6_PKS3_S8_S4_PS3_21rocsparse_index_base_b.private_seg_size, 0
	.set _ZN9rocsparseL19gebsrmvn_1xn_kernelILj128ELj7ELj16EfEEvi20rocsparse_direction_NS_24const_host_device_scalarIT2_EEPKiS6_PKS3_S8_S4_PS3_21rocsparse_index_base_b.uses_vcc, 1
	.set _ZN9rocsparseL19gebsrmvn_1xn_kernelILj128ELj7ELj16EfEEvi20rocsparse_direction_NS_24const_host_device_scalarIT2_EEPKiS6_PKS3_S8_S4_PS3_21rocsparse_index_base_b.uses_flat_scratch, 0
	.set _ZN9rocsparseL19gebsrmvn_1xn_kernelILj128ELj7ELj16EfEEvi20rocsparse_direction_NS_24const_host_device_scalarIT2_EEPKiS6_PKS3_S8_S4_PS3_21rocsparse_index_base_b.has_dyn_sized_stack, 0
	.set _ZN9rocsparseL19gebsrmvn_1xn_kernelILj128ELj7ELj16EfEEvi20rocsparse_direction_NS_24const_host_device_scalarIT2_EEPKiS6_PKS3_S8_S4_PS3_21rocsparse_index_base_b.has_recursion, 0
	.set _ZN9rocsparseL19gebsrmvn_1xn_kernelILj128ELj7ELj16EfEEvi20rocsparse_direction_NS_24const_host_device_scalarIT2_EEPKiS6_PKS3_S8_S4_PS3_21rocsparse_index_base_b.has_indirect_call, 0
	.section	.AMDGPU.csdata,"",@progbits
; Kernel info:
; codeLenInByte = 1196
; TotalNumSgprs: 16
; NumVgprs: 30
; ScratchSize: 0
; MemoryBound: 0
; FloatMode: 240
; IeeeMode: 1
; LDSByteSize: 0 bytes/workgroup (compile time only)
; SGPRBlocks: 0
; VGPRBlocks: 3
; NumSGPRsForWavesPerEU: 16
; NumVGPRsForWavesPerEU: 30
; Occupancy: 16
; WaveLimiterHint : 1
; COMPUTE_PGM_RSRC2:SCRATCH_EN: 0
; COMPUTE_PGM_RSRC2:USER_SGPR: 6
; COMPUTE_PGM_RSRC2:TRAP_HANDLER: 0
; COMPUTE_PGM_RSRC2:TGID_X_EN: 1
; COMPUTE_PGM_RSRC2:TGID_Y_EN: 0
; COMPUTE_PGM_RSRC2:TGID_Z_EN: 0
; COMPUTE_PGM_RSRC2:TIDIG_COMP_CNT: 0
	.section	.text._ZN9rocsparseL19gebsrmvn_1xn_kernelILj128ELj7ELj32EfEEvi20rocsparse_direction_NS_24const_host_device_scalarIT2_EEPKiS6_PKS3_S8_S4_PS3_21rocsparse_index_base_b,"axG",@progbits,_ZN9rocsparseL19gebsrmvn_1xn_kernelILj128ELj7ELj32EfEEvi20rocsparse_direction_NS_24const_host_device_scalarIT2_EEPKiS6_PKS3_S8_S4_PS3_21rocsparse_index_base_b,comdat
	.globl	_ZN9rocsparseL19gebsrmvn_1xn_kernelILj128ELj7ELj32EfEEvi20rocsparse_direction_NS_24const_host_device_scalarIT2_EEPKiS6_PKS3_S8_S4_PS3_21rocsparse_index_base_b ; -- Begin function _ZN9rocsparseL19gebsrmvn_1xn_kernelILj128ELj7ELj32EfEEvi20rocsparse_direction_NS_24const_host_device_scalarIT2_EEPKiS6_PKS3_S8_S4_PS3_21rocsparse_index_base_b
	.p2align	8
	.type	_ZN9rocsparseL19gebsrmvn_1xn_kernelILj128ELj7ELj32EfEEvi20rocsparse_direction_NS_24const_host_device_scalarIT2_EEPKiS6_PKS3_S8_S4_PS3_21rocsparse_index_base_b,@function
_ZN9rocsparseL19gebsrmvn_1xn_kernelILj128ELj7ELj32EfEEvi20rocsparse_direction_NS_24const_host_device_scalarIT2_EEPKiS6_PKS3_S8_S4_PS3_21rocsparse_index_base_b: ; @_ZN9rocsparseL19gebsrmvn_1xn_kernelILj128ELj7ELj32EfEEvi20rocsparse_direction_NS_24const_host_device_scalarIT2_EEPKiS6_PKS3_S8_S4_PS3_21rocsparse_index_base_b
; %bb.0:
	s_clause 0x2
	s_load_dwordx2 s[12:13], s[4:5], 0x40
	s_load_dwordx2 s[10:11], s[4:5], 0x8
	;; [unrolled: 1-line block ×3, first 2 shown]
	s_waitcnt lgkmcnt(0)
	s_bitcmp1_b32 s13, 0
	s_cselect_b32 s0, -1, 0
	s_and_b32 vcc_lo, exec_lo, s0
	s_xor_b32 s0, s0, -1
	s_cbranch_vccnz .LBB28_2
; %bb.1:
	s_load_dword s10, s[10:11], 0x0
.LBB28_2:
	s_andn2_b32 vcc_lo, exec_lo, s0
	s_cbranch_vccnz .LBB28_4
; %bb.3:
	s_load_dword s8, s[8:9], 0x0
.LBB28_4:
	s_waitcnt lgkmcnt(0)
	v_cmp_eq_f32_e64 s0, s10, 0
	v_cmp_eq_f32_e64 s1, s8, 1.0
	s_and_b32 s0, s0, s1
	s_and_b32 vcc_lo, exec_lo, s0
	s_cbranch_vccnz .LBB28_15
; %bb.5:
	s_load_dword s0, s[4:5], 0x0
	v_lshrrev_b32_e32 v1, 5, v0
	v_lshl_or_b32 v1, s6, 2, v1
	s_waitcnt lgkmcnt(0)
	v_cmp_gt_i32_e32 vcc_lo, s0, v1
	s_and_saveexec_b32 s0, vcc_lo
	s_cbranch_execz .LBB28_15
; %bb.6:
	s_clause 0x1
	s_load_dwordx2 s[0:1], s[4:5], 0x10
	s_load_dwordx2 s[6:7], s[4:5], 0x38
	v_ashrrev_i32_e32 v2, 31, v1
	v_and_b32_e32 v0, 31, v0
	v_mov_b32_e32 v9, 0
	s_mov_b32 s9, exec_lo
	v_lshlrev_b64 v[1:2], 2, v[1:2]
	v_subrev_nc_u32_e32 v5, s12, v0
	s_waitcnt lgkmcnt(0)
	v_add_co_u32 v3, vcc_lo, s0, v1
	v_add_co_ci_u32_e64 v4, null, s1, v2, vcc_lo
	global_load_dwordx2 v[3:4], v[3:4], off
	s_waitcnt vmcnt(0)
	v_subrev_nc_u32_e32 v10, s12, v4
	v_add_nc_u32_e32 v3, v3, v5
	v_cmpx_lt_i32_e64 v3, v10
	s_cbranch_execz .LBB28_10
; %bb.7:
	s_clause 0x1
	s_load_dwordx4 s[0:3], s[4:5], 0x18
	s_load_dwordx2 s[4:5], s[4:5], 0x28
	v_mad_u64_u32 v[5:6], null, v3, 7, 6
	v_mov_b32_e32 v8, 0
	v_mov_b32_e32 v9, 0
	s_mov_b32 s11, 0
.LBB28_8:                               ; =>This Inner Loop Header: Depth=1
	v_ashrrev_i32_e32 v4, 31, v3
	v_mov_b32_e32 v12, v8
	v_lshlrev_b64 v[6:7], 2, v[3:4]
	v_add_nc_u32_e32 v3, 32, v3
	s_waitcnt lgkmcnt(0)
	v_add_co_u32 v6, vcc_lo, s0, v6
	v_add_co_ci_u32_e64 v7, null, s1, v7, vcc_lo
	global_load_dword v4, v[6:7], off
	v_add_nc_u32_e32 v7, -6, v5
	v_mov_b32_e32 v6, v8
	v_lshlrev_b64 v[13:14], 2, v[7:8]
	v_add_nc_u32_e32 v7, -5, v5
	v_lshlrev_b64 v[15:16], 2, v[5:6]
	v_lshlrev_b64 v[6:7], 2, v[7:8]
	v_add_co_u32 v13, vcc_lo, s2, v13
	v_add_co_ci_u32_e64 v14, null, s3, v14, vcc_lo
	v_add_co_u32 v15, vcc_lo, s2, v15
	v_add_co_ci_u32_e64 v16, null, s3, v16, vcc_lo
	;; [unrolled: 2-line block ×3, first 2 shown]
	s_clause 0x1
	global_load_dword v21, v[13:14], off
	global_load_dword v22, v[6:7], off
	s_waitcnt vmcnt(2)
	v_subrev_nc_u32_e32 v4, s12, v4
	v_mul_lo_u32 v11, v4, 7
	v_add_nc_u32_e32 v7, 1, v11
	v_lshlrev_b64 v[12:13], 2, v[11:12]
	v_lshlrev_b64 v[17:18], 2, v[7:8]
	v_add_nc_u32_e32 v7, -4, v5
	v_add_co_u32 v12, vcc_lo, s4, v12
	v_add_co_ci_u32_e64 v13, null, s5, v13, vcc_lo
	v_add_co_u32 v17, vcc_lo, s4, v17
	v_lshlrev_b64 v[19:20], 2, v[7:8]
	v_add_nc_u32_e32 v7, 2, v11
	v_add_co_ci_u32_e64 v18, null, s5, v18, vcc_lo
	s_clause 0x1
	global_load_dword v4, v[12:13], off
	global_load_dword v23, v[17:18], off
	v_lshlrev_b64 v[12:13], 2, v[7:8]
	v_add_nc_u32_e32 v7, -3, v5
	v_add_co_u32 v17, vcc_lo, s2, v19
	v_add_co_ci_u32_e64 v18, null, s3, v20, vcc_lo
	v_add_co_u32 v12, vcc_lo, s4, v12
	v_lshlrev_b64 v[19:20], 2, v[7:8]
	v_add_co_ci_u32_e64 v13, null, s5, v13, vcc_lo
	v_add_nc_u32_e32 v7, 3, v11
	global_load_dword v24, v[17:18], off
	global_load_dword v25, v[12:13], off
	v_add_co_u32 v12, vcc_lo, s2, v19
	v_add_co_ci_u32_e64 v13, null, s3, v20, vcc_lo
	global_load_dword v26, v[12:13], off
	v_lshlrev_b64 v[17:18], 2, v[7:8]
	v_add_nc_u32_e32 v7, -2, v5
	v_lshlrev_b64 v[19:20], 2, v[7:8]
	v_add_nc_u32_e32 v7, 4, v11
	v_add_co_u32 v17, vcc_lo, s4, v17
	v_add_co_ci_u32_e64 v18, null, s5, v18, vcc_lo
	v_lshlrev_b64 v[12:13], 2, v[7:8]
	v_add_nc_u32_e32 v7, -1, v5
	v_add_nc_u32_e32 v5, 0xe0, v5
	global_load_dword v27, v[17:18], off
	v_add_co_u32 v17, vcc_lo, s2, v19
	v_add_co_ci_u32_e64 v18, null, s3, v20, vcc_lo
	v_lshlrev_b64 v[19:20], 2, v[7:8]
	v_add_nc_u32_e32 v7, 5, v11
	v_add_co_u32 v12, vcc_lo, s4, v12
	global_load_dword v28, v[17:18], off
	v_add_co_ci_u32_e64 v13, null, s5, v13, vcc_lo
	v_lshlrev_b64 v[17:18], 2, v[7:8]
	v_add_nc_u32_e32 v7, 6, v11
	v_add_co_u32 v11, vcc_lo, s2, v19
	global_load_dword v29, v[12:13], off
	v_add_co_ci_u32_e64 v12, null, s3, v20, vcc_lo
	v_lshlrev_b64 v[6:7], 2, v[7:8]
	v_add_co_u32 v13, vcc_lo, s4, v17
	v_add_co_ci_u32_e64 v14, null, s5, v18, vcc_lo
	global_load_dword v11, v[11:12], off
	global_load_dword v12, v[13:14], off
	v_add_co_u32 v6, vcc_lo, s4, v6
	v_add_co_ci_u32_e64 v7, null, s5, v7, vcc_lo
	global_load_dword v13, v[15:16], off
	global_load_dword v6, v[6:7], off
	v_cmp_ge_i32_e32 vcc_lo, v3, v10
	s_or_b32 s11, vcc_lo, s11
	s_waitcnt vmcnt(11)
	v_fmac_f32_e32 v9, v21, v4
	s_waitcnt vmcnt(10)
	v_fmac_f32_e32 v9, v22, v23
	;; [unrolled: 2-line block ×7, first 2 shown]
	s_andn2_b32 exec_lo, exec_lo, s11
	s_cbranch_execnz .LBB28_8
; %bb.9:
	s_or_b32 exec_lo, exec_lo, s11
.LBB28_10:
	s_or_b32 exec_lo, exec_lo, s9
	v_mbcnt_lo_u32_b32 v3, -1, 0
	s_mov_b32 s0, -1
	v_xor_b32_e32 v4, 16, v3
	v_xor_b32_e32 v5, 8, v3
	v_xor_b32_e32 v6, 4, v3
	v_cmp_gt_i32_e32 vcc_lo, 32, v4
	v_cndmask_b32_e32 v4, v3, v4, vcc_lo
	v_cmp_gt_i32_e32 vcc_lo, 32, v5
	v_lshlrev_b32_e32 v4, 2, v4
	v_cndmask_b32_e32 v5, v3, v5, vcc_lo
	v_cmp_gt_i32_e32 vcc_lo, 32, v6
	ds_bpermute_b32 v4, v4, v9
	v_lshlrev_b32_e32 v5, 2, v5
	v_cndmask_b32_e32 v6, v3, v6, vcc_lo
	v_lshlrev_b32_e32 v6, 2, v6
	s_waitcnt lgkmcnt(0)
	v_add_f32_e32 v4, v9, v4
	ds_bpermute_b32 v5, v5, v4
	s_waitcnt lgkmcnt(0)
	v_add_f32_e32 v4, v4, v5
	ds_bpermute_b32 v5, v6, v4
	v_xor_b32_e32 v6, 2, v3
	v_cmp_gt_i32_e32 vcc_lo, 32, v6
	v_cndmask_b32_e32 v6, v3, v6, vcc_lo
	v_lshlrev_b32_e32 v6, 2, v6
	s_waitcnt lgkmcnt(0)
	v_add_f32_e32 v4, v4, v5
	ds_bpermute_b32 v5, v6, v4
	v_xor_b32_e32 v6, 1, v3
	v_cmp_gt_i32_e32 vcc_lo, 32, v6
	v_cndmask_b32_e32 v6, v3, v6, vcc_lo
	v_cmp_eq_u32_e32 vcc_lo, 31, v0
	s_waitcnt lgkmcnt(0)
	v_add_f32_e32 v3, v4, v5
	v_lshlrev_b32_e32 v4, 2, v6
	ds_bpermute_b32 v4, v4, v3
	s_and_b32 exec_lo, exec_lo, vcc_lo
	s_cbranch_execz .LBB28_15
; %bb.11:
	s_waitcnt lgkmcnt(0)
	v_add_f32_e32 v0, v3, v4
	v_cmp_eq_f32_e64 s1, s8, 0
	v_mul_f32_e32 v0, s10, v0
	s_and_b32 vcc_lo, exec_lo, s1
	s_cbranch_vccz .LBB28_13
; %bb.12:
	v_add_co_u32 v3, vcc_lo, s6, v1
	v_add_co_ci_u32_e64 v4, null, s7, v2, vcc_lo
	s_mov_b32 s0, 0
	global_store_dword v[3:4], v0, off
.LBB28_13:
	s_andn2_b32 vcc_lo, exec_lo, s0
	s_cbranch_vccnz .LBB28_15
; %bb.14:
	v_add_co_u32 v1, vcc_lo, s6, v1
	v_add_co_ci_u32_e64 v2, null, s7, v2, vcc_lo
	global_load_dword v3, v[1:2], off
	s_waitcnt vmcnt(0)
	v_fmac_f32_e32 v0, s8, v3
	global_store_dword v[1:2], v0, off
.LBB28_15:
	s_endpgm
	.section	.rodata,"a",@progbits
	.p2align	6, 0x0
	.amdhsa_kernel _ZN9rocsparseL19gebsrmvn_1xn_kernelILj128ELj7ELj32EfEEvi20rocsparse_direction_NS_24const_host_device_scalarIT2_EEPKiS6_PKS3_S8_S4_PS3_21rocsparse_index_base_b
		.amdhsa_group_segment_fixed_size 0
		.amdhsa_private_segment_fixed_size 0
		.amdhsa_kernarg_size 72
		.amdhsa_user_sgpr_count 6
		.amdhsa_user_sgpr_private_segment_buffer 1
		.amdhsa_user_sgpr_dispatch_ptr 0
		.amdhsa_user_sgpr_queue_ptr 0
		.amdhsa_user_sgpr_kernarg_segment_ptr 1
		.amdhsa_user_sgpr_dispatch_id 0
		.amdhsa_user_sgpr_flat_scratch_init 0
		.amdhsa_user_sgpr_private_segment_size 0
		.amdhsa_wavefront_size32 1
		.amdhsa_uses_dynamic_stack 0
		.amdhsa_system_sgpr_private_segment_wavefront_offset 0
		.amdhsa_system_sgpr_workgroup_id_x 1
		.amdhsa_system_sgpr_workgroup_id_y 0
		.amdhsa_system_sgpr_workgroup_id_z 0
		.amdhsa_system_sgpr_workgroup_info 0
		.amdhsa_system_vgpr_workitem_id 0
		.amdhsa_next_free_vgpr 30
		.amdhsa_next_free_sgpr 14
		.amdhsa_reserve_vcc 1
		.amdhsa_reserve_flat_scratch 0
		.amdhsa_float_round_mode_32 0
		.amdhsa_float_round_mode_16_64 0
		.amdhsa_float_denorm_mode_32 3
		.amdhsa_float_denorm_mode_16_64 3
		.amdhsa_dx10_clamp 1
		.amdhsa_ieee_mode 1
		.amdhsa_fp16_overflow 0
		.amdhsa_workgroup_processor_mode 1
		.amdhsa_memory_ordered 1
		.amdhsa_forward_progress 1
		.amdhsa_shared_vgpr_count 0
		.amdhsa_exception_fp_ieee_invalid_op 0
		.amdhsa_exception_fp_denorm_src 0
		.amdhsa_exception_fp_ieee_div_zero 0
		.amdhsa_exception_fp_ieee_overflow 0
		.amdhsa_exception_fp_ieee_underflow 0
		.amdhsa_exception_fp_ieee_inexact 0
		.amdhsa_exception_int_div_zero 0
	.end_amdhsa_kernel
	.section	.text._ZN9rocsparseL19gebsrmvn_1xn_kernelILj128ELj7ELj32EfEEvi20rocsparse_direction_NS_24const_host_device_scalarIT2_EEPKiS6_PKS3_S8_S4_PS3_21rocsparse_index_base_b,"axG",@progbits,_ZN9rocsparseL19gebsrmvn_1xn_kernelILj128ELj7ELj32EfEEvi20rocsparse_direction_NS_24const_host_device_scalarIT2_EEPKiS6_PKS3_S8_S4_PS3_21rocsparse_index_base_b,comdat
.Lfunc_end28:
	.size	_ZN9rocsparseL19gebsrmvn_1xn_kernelILj128ELj7ELj32EfEEvi20rocsparse_direction_NS_24const_host_device_scalarIT2_EEPKiS6_PKS3_S8_S4_PS3_21rocsparse_index_base_b, .Lfunc_end28-_ZN9rocsparseL19gebsrmvn_1xn_kernelILj128ELj7ELj32EfEEvi20rocsparse_direction_NS_24const_host_device_scalarIT2_EEPKiS6_PKS3_S8_S4_PS3_21rocsparse_index_base_b
                                        ; -- End function
	.set _ZN9rocsparseL19gebsrmvn_1xn_kernelILj128ELj7ELj32EfEEvi20rocsparse_direction_NS_24const_host_device_scalarIT2_EEPKiS6_PKS3_S8_S4_PS3_21rocsparse_index_base_b.num_vgpr, 30
	.set _ZN9rocsparseL19gebsrmvn_1xn_kernelILj128ELj7ELj32EfEEvi20rocsparse_direction_NS_24const_host_device_scalarIT2_EEPKiS6_PKS3_S8_S4_PS3_21rocsparse_index_base_b.num_agpr, 0
	.set _ZN9rocsparseL19gebsrmvn_1xn_kernelILj128ELj7ELj32EfEEvi20rocsparse_direction_NS_24const_host_device_scalarIT2_EEPKiS6_PKS3_S8_S4_PS3_21rocsparse_index_base_b.numbered_sgpr, 14
	.set _ZN9rocsparseL19gebsrmvn_1xn_kernelILj128ELj7ELj32EfEEvi20rocsparse_direction_NS_24const_host_device_scalarIT2_EEPKiS6_PKS3_S8_S4_PS3_21rocsparse_index_base_b.num_named_barrier, 0
	.set _ZN9rocsparseL19gebsrmvn_1xn_kernelILj128ELj7ELj32EfEEvi20rocsparse_direction_NS_24const_host_device_scalarIT2_EEPKiS6_PKS3_S8_S4_PS3_21rocsparse_index_base_b.private_seg_size, 0
	.set _ZN9rocsparseL19gebsrmvn_1xn_kernelILj128ELj7ELj32EfEEvi20rocsparse_direction_NS_24const_host_device_scalarIT2_EEPKiS6_PKS3_S8_S4_PS3_21rocsparse_index_base_b.uses_vcc, 1
	.set _ZN9rocsparseL19gebsrmvn_1xn_kernelILj128ELj7ELj32EfEEvi20rocsparse_direction_NS_24const_host_device_scalarIT2_EEPKiS6_PKS3_S8_S4_PS3_21rocsparse_index_base_b.uses_flat_scratch, 0
	.set _ZN9rocsparseL19gebsrmvn_1xn_kernelILj128ELj7ELj32EfEEvi20rocsparse_direction_NS_24const_host_device_scalarIT2_EEPKiS6_PKS3_S8_S4_PS3_21rocsparse_index_base_b.has_dyn_sized_stack, 0
	.set _ZN9rocsparseL19gebsrmvn_1xn_kernelILj128ELj7ELj32EfEEvi20rocsparse_direction_NS_24const_host_device_scalarIT2_EEPKiS6_PKS3_S8_S4_PS3_21rocsparse_index_base_b.has_recursion, 0
	.set _ZN9rocsparseL19gebsrmvn_1xn_kernelILj128ELj7ELj32EfEEvi20rocsparse_direction_NS_24const_host_device_scalarIT2_EEPKiS6_PKS3_S8_S4_PS3_21rocsparse_index_base_b.has_indirect_call, 0
	.section	.AMDGPU.csdata,"",@progbits
; Kernel info:
; codeLenInByte = 1228
; TotalNumSgprs: 16
; NumVgprs: 30
; ScratchSize: 0
; MemoryBound: 0
; FloatMode: 240
; IeeeMode: 1
; LDSByteSize: 0 bytes/workgroup (compile time only)
; SGPRBlocks: 0
; VGPRBlocks: 3
; NumSGPRsForWavesPerEU: 16
; NumVGPRsForWavesPerEU: 30
; Occupancy: 16
; WaveLimiterHint : 1
; COMPUTE_PGM_RSRC2:SCRATCH_EN: 0
; COMPUTE_PGM_RSRC2:USER_SGPR: 6
; COMPUTE_PGM_RSRC2:TRAP_HANDLER: 0
; COMPUTE_PGM_RSRC2:TGID_X_EN: 1
; COMPUTE_PGM_RSRC2:TGID_Y_EN: 0
; COMPUTE_PGM_RSRC2:TGID_Z_EN: 0
; COMPUTE_PGM_RSRC2:TIDIG_COMP_CNT: 0
	.section	.text._ZN9rocsparseL19gebsrmvn_1xn_kernelILj128ELj7ELj64EfEEvi20rocsparse_direction_NS_24const_host_device_scalarIT2_EEPKiS6_PKS3_S8_S4_PS3_21rocsparse_index_base_b,"axG",@progbits,_ZN9rocsparseL19gebsrmvn_1xn_kernelILj128ELj7ELj64EfEEvi20rocsparse_direction_NS_24const_host_device_scalarIT2_EEPKiS6_PKS3_S8_S4_PS3_21rocsparse_index_base_b,comdat
	.globl	_ZN9rocsparseL19gebsrmvn_1xn_kernelILj128ELj7ELj64EfEEvi20rocsparse_direction_NS_24const_host_device_scalarIT2_EEPKiS6_PKS3_S8_S4_PS3_21rocsparse_index_base_b ; -- Begin function _ZN9rocsparseL19gebsrmvn_1xn_kernelILj128ELj7ELj64EfEEvi20rocsparse_direction_NS_24const_host_device_scalarIT2_EEPKiS6_PKS3_S8_S4_PS3_21rocsparse_index_base_b
	.p2align	8
	.type	_ZN9rocsparseL19gebsrmvn_1xn_kernelILj128ELj7ELj64EfEEvi20rocsparse_direction_NS_24const_host_device_scalarIT2_EEPKiS6_PKS3_S8_S4_PS3_21rocsparse_index_base_b,@function
_ZN9rocsparseL19gebsrmvn_1xn_kernelILj128ELj7ELj64EfEEvi20rocsparse_direction_NS_24const_host_device_scalarIT2_EEPKiS6_PKS3_S8_S4_PS3_21rocsparse_index_base_b: ; @_ZN9rocsparseL19gebsrmvn_1xn_kernelILj128ELj7ELj64EfEEvi20rocsparse_direction_NS_24const_host_device_scalarIT2_EEPKiS6_PKS3_S8_S4_PS3_21rocsparse_index_base_b
; %bb.0:
	s_clause 0x2
	s_load_dwordx2 s[12:13], s[4:5], 0x40
	s_load_dwordx2 s[10:11], s[4:5], 0x8
	;; [unrolled: 1-line block ×3, first 2 shown]
	s_waitcnt lgkmcnt(0)
	s_bitcmp1_b32 s13, 0
	s_cselect_b32 s0, -1, 0
	s_and_b32 vcc_lo, exec_lo, s0
	s_xor_b32 s0, s0, -1
	s_cbranch_vccnz .LBB29_2
; %bb.1:
	s_load_dword s10, s[10:11], 0x0
.LBB29_2:
	s_andn2_b32 vcc_lo, exec_lo, s0
	s_cbranch_vccnz .LBB29_4
; %bb.3:
	s_load_dword s8, s[8:9], 0x0
.LBB29_4:
	s_waitcnt lgkmcnt(0)
	v_cmp_eq_f32_e64 s0, s10, 0
	v_cmp_eq_f32_e64 s1, s8, 1.0
	s_and_b32 s0, s0, s1
	s_and_b32 vcc_lo, exec_lo, s0
	s_cbranch_vccnz .LBB29_15
; %bb.5:
	s_load_dword s0, s[4:5], 0x0
	v_lshrrev_b32_e32 v1, 6, v0
	v_lshl_or_b32 v1, s6, 1, v1
	s_waitcnt lgkmcnt(0)
	v_cmp_gt_i32_e32 vcc_lo, s0, v1
	s_and_saveexec_b32 s0, vcc_lo
	s_cbranch_execz .LBB29_15
; %bb.6:
	s_clause 0x1
	s_load_dwordx2 s[0:1], s[4:5], 0x10
	s_load_dwordx2 s[6:7], s[4:5], 0x38
	v_ashrrev_i32_e32 v2, 31, v1
	v_and_b32_e32 v0, 63, v0
	v_mov_b32_e32 v9, 0
	s_mov_b32 s9, exec_lo
	v_lshlrev_b64 v[1:2], 2, v[1:2]
	v_subrev_nc_u32_e32 v5, s12, v0
	s_waitcnt lgkmcnt(0)
	v_add_co_u32 v3, vcc_lo, s0, v1
	v_add_co_ci_u32_e64 v4, null, s1, v2, vcc_lo
	global_load_dwordx2 v[3:4], v[3:4], off
	s_waitcnt vmcnt(0)
	v_subrev_nc_u32_e32 v10, s12, v4
	v_add_nc_u32_e32 v3, v3, v5
	v_cmpx_lt_i32_e64 v3, v10
	s_cbranch_execz .LBB29_10
; %bb.7:
	s_clause 0x1
	s_load_dwordx4 s[0:3], s[4:5], 0x18
	s_load_dwordx2 s[4:5], s[4:5], 0x28
	v_mad_u64_u32 v[5:6], null, v3, 7, 6
	v_mov_b32_e32 v8, 0
	v_mov_b32_e32 v9, 0
	s_mov_b32 s11, 0
.LBB29_8:                               ; =>This Inner Loop Header: Depth=1
	v_ashrrev_i32_e32 v4, 31, v3
	v_mov_b32_e32 v12, v8
	v_lshlrev_b64 v[6:7], 2, v[3:4]
	v_add_nc_u32_e32 v3, 64, v3
	s_waitcnt lgkmcnt(0)
	v_add_co_u32 v6, vcc_lo, s0, v6
	v_add_co_ci_u32_e64 v7, null, s1, v7, vcc_lo
	global_load_dword v4, v[6:7], off
	v_add_nc_u32_e32 v7, -6, v5
	v_mov_b32_e32 v6, v8
	v_lshlrev_b64 v[13:14], 2, v[7:8]
	v_add_nc_u32_e32 v7, -5, v5
	v_lshlrev_b64 v[15:16], 2, v[5:6]
	v_lshlrev_b64 v[6:7], 2, v[7:8]
	v_add_co_u32 v13, vcc_lo, s2, v13
	v_add_co_ci_u32_e64 v14, null, s3, v14, vcc_lo
	v_add_co_u32 v15, vcc_lo, s2, v15
	v_add_co_ci_u32_e64 v16, null, s3, v16, vcc_lo
	;; [unrolled: 2-line block ×3, first 2 shown]
	s_clause 0x1
	global_load_dword v21, v[13:14], off
	global_load_dword v22, v[6:7], off
	s_waitcnt vmcnt(2)
	v_subrev_nc_u32_e32 v4, s12, v4
	v_mul_lo_u32 v11, v4, 7
	v_add_nc_u32_e32 v7, 1, v11
	v_lshlrev_b64 v[12:13], 2, v[11:12]
	v_lshlrev_b64 v[17:18], 2, v[7:8]
	v_add_nc_u32_e32 v7, -4, v5
	v_add_co_u32 v12, vcc_lo, s4, v12
	v_add_co_ci_u32_e64 v13, null, s5, v13, vcc_lo
	v_add_co_u32 v17, vcc_lo, s4, v17
	v_lshlrev_b64 v[19:20], 2, v[7:8]
	v_add_nc_u32_e32 v7, 2, v11
	v_add_co_ci_u32_e64 v18, null, s5, v18, vcc_lo
	s_clause 0x1
	global_load_dword v4, v[12:13], off
	global_load_dword v23, v[17:18], off
	v_lshlrev_b64 v[12:13], 2, v[7:8]
	v_add_nc_u32_e32 v7, -3, v5
	v_add_co_u32 v17, vcc_lo, s2, v19
	v_add_co_ci_u32_e64 v18, null, s3, v20, vcc_lo
	v_add_co_u32 v12, vcc_lo, s4, v12
	v_lshlrev_b64 v[19:20], 2, v[7:8]
	v_add_co_ci_u32_e64 v13, null, s5, v13, vcc_lo
	v_add_nc_u32_e32 v7, 3, v11
	global_load_dword v24, v[17:18], off
	global_load_dword v25, v[12:13], off
	v_add_co_u32 v12, vcc_lo, s2, v19
	v_add_co_ci_u32_e64 v13, null, s3, v20, vcc_lo
	global_load_dword v26, v[12:13], off
	v_lshlrev_b64 v[17:18], 2, v[7:8]
	v_add_nc_u32_e32 v7, -2, v5
	v_lshlrev_b64 v[19:20], 2, v[7:8]
	v_add_nc_u32_e32 v7, 4, v11
	v_add_co_u32 v17, vcc_lo, s4, v17
	v_add_co_ci_u32_e64 v18, null, s5, v18, vcc_lo
	v_lshlrev_b64 v[12:13], 2, v[7:8]
	v_add_nc_u32_e32 v7, -1, v5
	v_add_nc_u32_e32 v5, 0x1c0, v5
	global_load_dword v27, v[17:18], off
	v_add_co_u32 v17, vcc_lo, s2, v19
	v_add_co_ci_u32_e64 v18, null, s3, v20, vcc_lo
	v_lshlrev_b64 v[19:20], 2, v[7:8]
	v_add_nc_u32_e32 v7, 5, v11
	v_add_co_u32 v12, vcc_lo, s4, v12
	global_load_dword v28, v[17:18], off
	v_add_co_ci_u32_e64 v13, null, s5, v13, vcc_lo
	v_lshlrev_b64 v[17:18], 2, v[7:8]
	v_add_nc_u32_e32 v7, 6, v11
	v_add_co_u32 v11, vcc_lo, s2, v19
	global_load_dword v29, v[12:13], off
	v_add_co_ci_u32_e64 v12, null, s3, v20, vcc_lo
	v_lshlrev_b64 v[6:7], 2, v[7:8]
	v_add_co_u32 v13, vcc_lo, s4, v17
	v_add_co_ci_u32_e64 v14, null, s5, v18, vcc_lo
	global_load_dword v11, v[11:12], off
	global_load_dword v12, v[13:14], off
	v_add_co_u32 v6, vcc_lo, s4, v6
	v_add_co_ci_u32_e64 v7, null, s5, v7, vcc_lo
	global_load_dword v13, v[15:16], off
	global_load_dword v6, v[6:7], off
	v_cmp_ge_i32_e32 vcc_lo, v3, v10
	s_or_b32 s11, vcc_lo, s11
	s_waitcnt vmcnt(11)
	v_fmac_f32_e32 v9, v21, v4
	s_waitcnt vmcnt(10)
	v_fmac_f32_e32 v9, v22, v23
	;; [unrolled: 2-line block ×7, first 2 shown]
	s_andn2_b32 exec_lo, exec_lo, s11
	s_cbranch_execnz .LBB29_8
; %bb.9:
	s_or_b32 exec_lo, exec_lo, s11
.LBB29_10:
	s_or_b32 exec_lo, exec_lo, s9
	v_mbcnt_lo_u32_b32 v3, -1, 0
	s_mov_b32 s0, -1
	v_or_b32_e32 v4, 32, v3
	v_xor_b32_e32 v5, 16, v3
	v_xor_b32_e32 v6, 8, v3
	v_cmp_gt_i32_e32 vcc_lo, 32, v4
	v_cndmask_b32_e32 v4, v3, v4, vcc_lo
	v_cmp_gt_i32_e32 vcc_lo, 32, v5
	v_lshlrev_b32_e32 v4, 2, v4
	v_cndmask_b32_e32 v5, v3, v5, vcc_lo
	v_cmp_gt_i32_e32 vcc_lo, 32, v6
	ds_bpermute_b32 v4, v4, v9
	v_lshlrev_b32_e32 v5, 2, v5
	v_cndmask_b32_e32 v6, v3, v6, vcc_lo
	v_lshlrev_b32_e32 v6, 2, v6
	s_waitcnt lgkmcnt(0)
	v_add_f32_e32 v4, v9, v4
	ds_bpermute_b32 v5, v5, v4
	s_waitcnt lgkmcnt(0)
	v_add_f32_e32 v4, v4, v5
	ds_bpermute_b32 v5, v6, v4
	v_xor_b32_e32 v6, 4, v3
	v_cmp_gt_i32_e32 vcc_lo, 32, v6
	v_cndmask_b32_e32 v6, v3, v6, vcc_lo
	v_lshlrev_b32_e32 v6, 2, v6
	s_waitcnt lgkmcnt(0)
	v_add_f32_e32 v4, v4, v5
	ds_bpermute_b32 v5, v6, v4
	v_xor_b32_e32 v6, 2, v3
	v_cmp_gt_i32_e32 vcc_lo, 32, v6
	v_cndmask_b32_e32 v6, v3, v6, vcc_lo
	v_lshlrev_b32_e32 v6, 2, v6
	s_waitcnt lgkmcnt(0)
	v_add_f32_e32 v4, v4, v5
	ds_bpermute_b32 v5, v6, v4
	v_xor_b32_e32 v6, 1, v3
	v_cmp_gt_i32_e32 vcc_lo, 32, v6
	v_cndmask_b32_e32 v6, v3, v6, vcc_lo
	v_cmp_eq_u32_e32 vcc_lo, 63, v0
	s_waitcnt lgkmcnt(0)
	v_add_f32_e32 v3, v4, v5
	v_lshlrev_b32_e32 v4, 2, v6
	ds_bpermute_b32 v4, v4, v3
	s_and_b32 exec_lo, exec_lo, vcc_lo
	s_cbranch_execz .LBB29_15
; %bb.11:
	s_waitcnt lgkmcnt(0)
	v_add_f32_e32 v0, v3, v4
	v_cmp_eq_f32_e64 s1, s8, 0
	v_mul_f32_e32 v0, s10, v0
	s_and_b32 vcc_lo, exec_lo, s1
	s_cbranch_vccz .LBB29_13
; %bb.12:
	v_add_co_u32 v3, vcc_lo, s6, v1
	v_add_co_ci_u32_e64 v4, null, s7, v2, vcc_lo
	s_mov_b32 s0, 0
	global_store_dword v[3:4], v0, off
.LBB29_13:
	s_andn2_b32 vcc_lo, exec_lo, s0
	s_cbranch_vccnz .LBB29_15
; %bb.14:
	v_add_co_u32 v1, vcc_lo, s6, v1
	v_add_co_ci_u32_e64 v2, null, s7, v2, vcc_lo
	global_load_dword v3, v[1:2], off
	s_waitcnt vmcnt(0)
	v_fmac_f32_e32 v0, s8, v3
	global_store_dword v[1:2], v0, off
.LBB29_15:
	s_endpgm
	.section	.rodata,"a",@progbits
	.p2align	6, 0x0
	.amdhsa_kernel _ZN9rocsparseL19gebsrmvn_1xn_kernelILj128ELj7ELj64EfEEvi20rocsparse_direction_NS_24const_host_device_scalarIT2_EEPKiS6_PKS3_S8_S4_PS3_21rocsparse_index_base_b
		.amdhsa_group_segment_fixed_size 0
		.amdhsa_private_segment_fixed_size 0
		.amdhsa_kernarg_size 72
		.amdhsa_user_sgpr_count 6
		.amdhsa_user_sgpr_private_segment_buffer 1
		.amdhsa_user_sgpr_dispatch_ptr 0
		.amdhsa_user_sgpr_queue_ptr 0
		.amdhsa_user_sgpr_kernarg_segment_ptr 1
		.amdhsa_user_sgpr_dispatch_id 0
		.amdhsa_user_sgpr_flat_scratch_init 0
		.amdhsa_user_sgpr_private_segment_size 0
		.amdhsa_wavefront_size32 1
		.amdhsa_uses_dynamic_stack 0
		.amdhsa_system_sgpr_private_segment_wavefront_offset 0
		.amdhsa_system_sgpr_workgroup_id_x 1
		.amdhsa_system_sgpr_workgroup_id_y 0
		.amdhsa_system_sgpr_workgroup_id_z 0
		.amdhsa_system_sgpr_workgroup_info 0
		.amdhsa_system_vgpr_workitem_id 0
		.amdhsa_next_free_vgpr 30
		.amdhsa_next_free_sgpr 14
		.amdhsa_reserve_vcc 1
		.amdhsa_reserve_flat_scratch 0
		.amdhsa_float_round_mode_32 0
		.amdhsa_float_round_mode_16_64 0
		.amdhsa_float_denorm_mode_32 3
		.amdhsa_float_denorm_mode_16_64 3
		.amdhsa_dx10_clamp 1
		.amdhsa_ieee_mode 1
		.amdhsa_fp16_overflow 0
		.amdhsa_workgroup_processor_mode 1
		.amdhsa_memory_ordered 1
		.amdhsa_forward_progress 1
		.amdhsa_shared_vgpr_count 0
		.amdhsa_exception_fp_ieee_invalid_op 0
		.amdhsa_exception_fp_denorm_src 0
		.amdhsa_exception_fp_ieee_div_zero 0
		.amdhsa_exception_fp_ieee_overflow 0
		.amdhsa_exception_fp_ieee_underflow 0
		.amdhsa_exception_fp_ieee_inexact 0
		.amdhsa_exception_int_div_zero 0
	.end_amdhsa_kernel
	.section	.text._ZN9rocsparseL19gebsrmvn_1xn_kernelILj128ELj7ELj64EfEEvi20rocsparse_direction_NS_24const_host_device_scalarIT2_EEPKiS6_PKS3_S8_S4_PS3_21rocsparse_index_base_b,"axG",@progbits,_ZN9rocsparseL19gebsrmvn_1xn_kernelILj128ELj7ELj64EfEEvi20rocsparse_direction_NS_24const_host_device_scalarIT2_EEPKiS6_PKS3_S8_S4_PS3_21rocsparse_index_base_b,comdat
.Lfunc_end29:
	.size	_ZN9rocsparseL19gebsrmvn_1xn_kernelILj128ELj7ELj64EfEEvi20rocsparse_direction_NS_24const_host_device_scalarIT2_EEPKiS6_PKS3_S8_S4_PS3_21rocsparse_index_base_b, .Lfunc_end29-_ZN9rocsparseL19gebsrmvn_1xn_kernelILj128ELj7ELj64EfEEvi20rocsparse_direction_NS_24const_host_device_scalarIT2_EEPKiS6_PKS3_S8_S4_PS3_21rocsparse_index_base_b
                                        ; -- End function
	.set _ZN9rocsparseL19gebsrmvn_1xn_kernelILj128ELj7ELj64EfEEvi20rocsparse_direction_NS_24const_host_device_scalarIT2_EEPKiS6_PKS3_S8_S4_PS3_21rocsparse_index_base_b.num_vgpr, 30
	.set _ZN9rocsparseL19gebsrmvn_1xn_kernelILj128ELj7ELj64EfEEvi20rocsparse_direction_NS_24const_host_device_scalarIT2_EEPKiS6_PKS3_S8_S4_PS3_21rocsparse_index_base_b.num_agpr, 0
	.set _ZN9rocsparseL19gebsrmvn_1xn_kernelILj128ELj7ELj64EfEEvi20rocsparse_direction_NS_24const_host_device_scalarIT2_EEPKiS6_PKS3_S8_S4_PS3_21rocsparse_index_base_b.numbered_sgpr, 14
	.set _ZN9rocsparseL19gebsrmvn_1xn_kernelILj128ELj7ELj64EfEEvi20rocsparse_direction_NS_24const_host_device_scalarIT2_EEPKiS6_PKS3_S8_S4_PS3_21rocsparse_index_base_b.num_named_barrier, 0
	.set _ZN9rocsparseL19gebsrmvn_1xn_kernelILj128ELj7ELj64EfEEvi20rocsparse_direction_NS_24const_host_device_scalarIT2_EEPKiS6_PKS3_S8_S4_PS3_21rocsparse_index_base_b.private_seg_size, 0
	.set _ZN9rocsparseL19gebsrmvn_1xn_kernelILj128ELj7ELj64EfEEvi20rocsparse_direction_NS_24const_host_device_scalarIT2_EEPKiS6_PKS3_S8_S4_PS3_21rocsparse_index_base_b.uses_vcc, 1
	.set _ZN9rocsparseL19gebsrmvn_1xn_kernelILj128ELj7ELj64EfEEvi20rocsparse_direction_NS_24const_host_device_scalarIT2_EEPKiS6_PKS3_S8_S4_PS3_21rocsparse_index_base_b.uses_flat_scratch, 0
	.set _ZN9rocsparseL19gebsrmvn_1xn_kernelILj128ELj7ELj64EfEEvi20rocsparse_direction_NS_24const_host_device_scalarIT2_EEPKiS6_PKS3_S8_S4_PS3_21rocsparse_index_base_b.has_dyn_sized_stack, 0
	.set _ZN9rocsparseL19gebsrmvn_1xn_kernelILj128ELj7ELj64EfEEvi20rocsparse_direction_NS_24const_host_device_scalarIT2_EEPKiS6_PKS3_S8_S4_PS3_21rocsparse_index_base_b.has_recursion, 0
	.set _ZN9rocsparseL19gebsrmvn_1xn_kernelILj128ELj7ELj64EfEEvi20rocsparse_direction_NS_24const_host_device_scalarIT2_EEPKiS6_PKS3_S8_S4_PS3_21rocsparse_index_base_b.has_indirect_call, 0
	.section	.AMDGPU.csdata,"",@progbits
; Kernel info:
; codeLenInByte = 1260
; TotalNumSgprs: 16
; NumVgprs: 30
; ScratchSize: 0
; MemoryBound: 0
; FloatMode: 240
; IeeeMode: 1
; LDSByteSize: 0 bytes/workgroup (compile time only)
; SGPRBlocks: 0
; VGPRBlocks: 3
; NumSGPRsForWavesPerEU: 16
; NumVGPRsForWavesPerEU: 30
; Occupancy: 16
; WaveLimiterHint : 1
; COMPUTE_PGM_RSRC2:SCRATCH_EN: 0
; COMPUTE_PGM_RSRC2:USER_SGPR: 6
; COMPUTE_PGM_RSRC2:TRAP_HANDLER: 0
; COMPUTE_PGM_RSRC2:TGID_X_EN: 1
; COMPUTE_PGM_RSRC2:TGID_Y_EN: 0
; COMPUTE_PGM_RSRC2:TGID_Z_EN: 0
; COMPUTE_PGM_RSRC2:TIDIG_COMP_CNT: 0
	.section	.text._ZN9rocsparseL19gebsrmvn_1xn_kernelILj128ELj8ELj4EfEEvi20rocsparse_direction_NS_24const_host_device_scalarIT2_EEPKiS6_PKS3_S8_S4_PS3_21rocsparse_index_base_b,"axG",@progbits,_ZN9rocsparseL19gebsrmvn_1xn_kernelILj128ELj8ELj4EfEEvi20rocsparse_direction_NS_24const_host_device_scalarIT2_EEPKiS6_PKS3_S8_S4_PS3_21rocsparse_index_base_b,comdat
	.globl	_ZN9rocsparseL19gebsrmvn_1xn_kernelILj128ELj8ELj4EfEEvi20rocsparse_direction_NS_24const_host_device_scalarIT2_EEPKiS6_PKS3_S8_S4_PS3_21rocsparse_index_base_b ; -- Begin function _ZN9rocsparseL19gebsrmvn_1xn_kernelILj128ELj8ELj4EfEEvi20rocsparse_direction_NS_24const_host_device_scalarIT2_EEPKiS6_PKS3_S8_S4_PS3_21rocsparse_index_base_b
	.p2align	8
	.type	_ZN9rocsparseL19gebsrmvn_1xn_kernelILj128ELj8ELj4EfEEvi20rocsparse_direction_NS_24const_host_device_scalarIT2_EEPKiS6_PKS3_S8_S4_PS3_21rocsparse_index_base_b,@function
_ZN9rocsparseL19gebsrmvn_1xn_kernelILj128ELj8ELj4EfEEvi20rocsparse_direction_NS_24const_host_device_scalarIT2_EEPKiS6_PKS3_S8_S4_PS3_21rocsparse_index_base_b: ; @_ZN9rocsparseL19gebsrmvn_1xn_kernelILj128ELj8ELj4EfEEvi20rocsparse_direction_NS_24const_host_device_scalarIT2_EEPKiS6_PKS3_S8_S4_PS3_21rocsparse_index_base_b
; %bb.0:
	s_clause 0x2
	s_load_dwordx2 s[12:13], s[4:5], 0x40
	s_load_dwordx2 s[10:11], s[4:5], 0x8
	;; [unrolled: 1-line block ×3, first 2 shown]
	s_waitcnt lgkmcnt(0)
	s_bitcmp1_b32 s13, 0
	s_cselect_b32 s0, -1, 0
	s_and_b32 vcc_lo, exec_lo, s0
	s_xor_b32 s0, s0, -1
	s_cbranch_vccnz .LBB30_2
; %bb.1:
	s_load_dword s10, s[10:11], 0x0
.LBB30_2:
	s_andn2_b32 vcc_lo, exec_lo, s0
	s_cbranch_vccnz .LBB30_4
; %bb.3:
	s_load_dword s8, s[8:9], 0x0
.LBB30_4:
	s_waitcnt lgkmcnt(0)
	v_cmp_eq_f32_e64 s0, s10, 0
	v_cmp_eq_f32_e64 s1, s8, 1.0
	s_and_b32 s0, s0, s1
	s_and_b32 vcc_lo, exec_lo, s0
	s_cbranch_vccnz .LBB30_15
; %bb.5:
	s_load_dword s0, s[4:5], 0x0
	v_lshrrev_b32_e32 v1, 2, v0
	v_lshl_or_b32 v1, s6, 5, v1
	s_waitcnt lgkmcnt(0)
	v_cmp_gt_i32_e32 vcc_lo, s0, v1
	s_and_saveexec_b32 s0, vcc_lo
	s_cbranch_execz .LBB30_15
; %bb.6:
	s_clause 0x1
	s_load_dwordx2 s[0:1], s[4:5], 0x10
	s_load_dwordx2 s[6:7], s[4:5], 0x38
	v_ashrrev_i32_e32 v2, 31, v1
	v_and_b32_e32 v0, 3, v0
	v_mov_b32_e32 v7, 0
	s_mov_b32 s9, exec_lo
	v_lshlrev_b64 v[1:2], 2, v[1:2]
	v_subrev_nc_u32_e32 v5, s12, v0
	s_waitcnt lgkmcnt(0)
	v_add_co_u32 v3, vcc_lo, s0, v1
	v_add_co_ci_u32_e64 v4, null, s1, v2, vcc_lo
	global_load_dwordx2 v[3:4], v[3:4], off
	s_waitcnt vmcnt(0)
	v_subrev_nc_u32_e32 v8, s12, v4
	v_add_nc_u32_e32 v3, v3, v5
	v_cmpx_lt_i32_e64 v3, v8
	s_cbranch_execz .LBB30_10
; %bb.7:
	s_clause 0x1
	s_load_dwordx4 s[0:3], s[4:5], 0x18
	s_load_dwordx2 s[4:5], s[4:5], 0x28
	v_mov_b32_e32 v6, 0
	v_lshlrev_b32_e32 v5, 3, v3
	s_mov_b32 s11, 0
	v_mov_b32_e32 v7, v6
	s_inst_prefetch 0x1
	.p2align	6
.LBB30_8:                               ; =>This Inner Loop Header: Depth=1
	v_ashrrev_i32_e32 v4, 31, v3
	v_mov_b32_e32 v12, v6
	v_lshlrev_b64 v[9:10], 2, v[3:4]
	v_add_nc_u32_e32 v3, 4, v3
	s_waitcnt lgkmcnt(0)
	v_add_co_u32 v9, vcc_lo, s0, v9
	v_add_co_ci_u32_e64 v10, null, s1, v10, vcc_lo
	global_load_dword v4, v[9:10], off
	v_lshlrev_b64 v[9:10], 2, v[5:6]
	v_add_nc_u32_e32 v5, 32, v5
	v_add_co_u32 v13, vcc_lo, s2, v9
	v_add_co_ci_u32_e64 v14, null, s3, v10, vcc_lo
	s_waitcnt vmcnt(0)
	v_subrev_nc_u32_e32 v4, s12, v4
	v_lshlrev_b32_e32 v11, 3, v4
	v_lshlrev_b64 v[11:12], 2, v[11:12]
	v_add_co_u32 v21, vcc_lo, s4, v11
	v_add_co_ci_u32_e64 v22, null, s5, v12, vcc_lo
	v_cmp_ge_i32_e32 vcc_lo, v3, v8
	s_clause 0x1
	global_load_dwordx4 v[9:12], v[13:14], off offset:16
	global_load_dwordx4 v[13:16], v[13:14], off
	s_clause 0x1
	global_load_dwordx4 v[17:20], v[21:22], off
	global_load_dwordx4 v[21:24], v[21:22], off offset:16
	s_or_b32 s11, vcc_lo, s11
	s_waitcnt vmcnt(1)
	v_fmac_f32_e32 v7, v13, v17
	v_fmac_f32_e32 v7, v14, v18
	;; [unrolled: 1-line block ×4, first 2 shown]
	s_waitcnt vmcnt(0)
	v_fmac_f32_e32 v7, v9, v21
	v_fmac_f32_e32 v7, v10, v22
	v_fmac_f32_e32 v7, v11, v23
	v_fmac_f32_e32 v7, v12, v24
	s_andn2_b32 exec_lo, exec_lo, s11
	s_cbranch_execnz .LBB30_8
; %bb.9:
	s_inst_prefetch 0x2
	s_or_b32 exec_lo, exec_lo, s11
.LBB30_10:
	s_or_b32 exec_lo, exec_lo, s9
	v_mbcnt_lo_u32_b32 v3, -1, 0
	s_mov_b32 s0, -1
	v_xor_b32_e32 v4, 2, v3
	v_xor_b32_e32 v5, 1, v3
	v_cmp_gt_i32_e32 vcc_lo, 32, v4
	v_cndmask_b32_e32 v4, v3, v4, vcc_lo
	v_cmp_gt_i32_e32 vcc_lo, 32, v5
	v_lshlrev_b32_e32 v4, 2, v4
	v_cndmask_b32_e32 v5, v3, v5, vcc_lo
	v_cmp_eq_u32_e32 vcc_lo, 3, v0
	ds_bpermute_b32 v4, v4, v7
	s_waitcnt lgkmcnt(0)
	v_add_f32_e32 v3, v7, v4
	v_lshlrev_b32_e32 v4, 2, v5
	ds_bpermute_b32 v4, v4, v3
	s_and_b32 exec_lo, exec_lo, vcc_lo
	s_cbranch_execz .LBB30_15
; %bb.11:
	s_waitcnt lgkmcnt(0)
	v_add_f32_e32 v0, v3, v4
	v_cmp_eq_f32_e64 s1, s8, 0
	v_mul_f32_e32 v0, s10, v0
	s_and_b32 vcc_lo, exec_lo, s1
	s_cbranch_vccz .LBB30_13
; %bb.12:
	v_add_co_u32 v3, vcc_lo, s6, v1
	v_add_co_ci_u32_e64 v4, null, s7, v2, vcc_lo
	s_mov_b32 s0, 0
	global_store_dword v[3:4], v0, off
.LBB30_13:
	s_andn2_b32 vcc_lo, exec_lo, s0
	s_cbranch_vccnz .LBB30_15
; %bb.14:
	v_add_co_u32 v1, vcc_lo, s6, v1
	v_add_co_ci_u32_e64 v2, null, s7, v2, vcc_lo
	global_load_dword v3, v[1:2], off
	s_waitcnt vmcnt(0)
	v_fmac_f32_e32 v0, s8, v3
	global_store_dword v[1:2], v0, off
.LBB30_15:
	s_endpgm
	.section	.rodata,"a",@progbits
	.p2align	6, 0x0
	.amdhsa_kernel _ZN9rocsparseL19gebsrmvn_1xn_kernelILj128ELj8ELj4EfEEvi20rocsparse_direction_NS_24const_host_device_scalarIT2_EEPKiS6_PKS3_S8_S4_PS3_21rocsparse_index_base_b
		.amdhsa_group_segment_fixed_size 0
		.amdhsa_private_segment_fixed_size 0
		.amdhsa_kernarg_size 72
		.amdhsa_user_sgpr_count 6
		.amdhsa_user_sgpr_private_segment_buffer 1
		.amdhsa_user_sgpr_dispatch_ptr 0
		.amdhsa_user_sgpr_queue_ptr 0
		.amdhsa_user_sgpr_kernarg_segment_ptr 1
		.amdhsa_user_sgpr_dispatch_id 0
		.amdhsa_user_sgpr_flat_scratch_init 0
		.amdhsa_user_sgpr_private_segment_size 0
		.amdhsa_wavefront_size32 1
		.amdhsa_uses_dynamic_stack 0
		.amdhsa_system_sgpr_private_segment_wavefront_offset 0
		.amdhsa_system_sgpr_workgroup_id_x 1
		.amdhsa_system_sgpr_workgroup_id_y 0
		.amdhsa_system_sgpr_workgroup_id_z 0
		.amdhsa_system_sgpr_workgroup_info 0
		.amdhsa_system_vgpr_workitem_id 0
		.amdhsa_next_free_vgpr 25
		.amdhsa_next_free_sgpr 14
		.amdhsa_reserve_vcc 1
		.amdhsa_reserve_flat_scratch 0
		.amdhsa_float_round_mode_32 0
		.amdhsa_float_round_mode_16_64 0
		.amdhsa_float_denorm_mode_32 3
		.amdhsa_float_denorm_mode_16_64 3
		.amdhsa_dx10_clamp 1
		.amdhsa_ieee_mode 1
		.amdhsa_fp16_overflow 0
		.amdhsa_workgroup_processor_mode 1
		.amdhsa_memory_ordered 1
		.amdhsa_forward_progress 1
		.amdhsa_shared_vgpr_count 0
		.amdhsa_exception_fp_ieee_invalid_op 0
		.amdhsa_exception_fp_denorm_src 0
		.amdhsa_exception_fp_ieee_div_zero 0
		.amdhsa_exception_fp_ieee_overflow 0
		.amdhsa_exception_fp_ieee_underflow 0
		.amdhsa_exception_fp_ieee_inexact 0
		.amdhsa_exception_int_div_zero 0
	.end_amdhsa_kernel
	.section	.text._ZN9rocsparseL19gebsrmvn_1xn_kernelILj128ELj8ELj4EfEEvi20rocsparse_direction_NS_24const_host_device_scalarIT2_EEPKiS6_PKS3_S8_S4_PS3_21rocsparse_index_base_b,"axG",@progbits,_ZN9rocsparseL19gebsrmvn_1xn_kernelILj128ELj8ELj4EfEEvi20rocsparse_direction_NS_24const_host_device_scalarIT2_EEPKiS6_PKS3_S8_S4_PS3_21rocsparse_index_base_b,comdat
.Lfunc_end30:
	.size	_ZN9rocsparseL19gebsrmvn_1xn_kernelILj128ELj8ELj4EfEEvi20rocsparse_direction_NS_24const_host_device_scalarIT2_EEPKiS6_PKS3_S8_S4_PS3_21rocsparse_index_base_b, .Lfunc_end30-_ZN9rocsparseL19gebsrmvn_1xn_kernelILj128ELj8ELj4EfEEvi20rocsparse_direction_NS_24const_host_device_scalarIT2_EEPKiS6_PKS3_S8_S4_PS3_21rocsparse_index_base_b
                                        ; -- End function
	.set _ZN9rocsparseL19gebsrmvn_1xn_kernelILj128ELj8ELj4EfEEvi20rocsparse_direction_NS_24const_host_device_scalarIT2_EEPKiS6_PKS3_S8_S4_PS3_21rocsparse_index_base_b.num_vgpr, 25
	.set _ZN9rocsparseL19gebsrmvn_1xn_kernelILj128ELj8ELj4EfEEvi20rocsparse_direction_NS_24const_host_device_scalarIT2_EEPKiS6_PKS3_S8_S4_PS3_21rocsparse_index_base_b.num_agpr, 0
	.set _ZN9rocsparseL19gebsrmvn_1xn_kernelILj128ELj8ELj4EfEEvi20rocsparse_direction_NS_24const_host_device_scalarIT2_EEPKiS6_PKS3_S8_S4_PS3_21rocsparse_index_base_b.numbered_sgpr, 14
	.set _ZN9rocsparseL19gebsrmvn_1xn_kernelILj128ELj8ELj4EfEEvi20rocsparse_direction_NS_24const_host_device_scalarIT2_EEPKiS6_PKS3_S8_S4_PS3_21rocsparse_index_base_b.num_named_barrier, 0
	.set _ZN9rocsparseL19gebsrmvn_1xn_kernelILj128ELj8ELj4EfEEvi20rocsparse_direction_NS_24const_host_device_scalarIT2_EEPKiS6_PKS3_S8_S4_PS3_21rocsparse_index_base_b.private_seg_size, 0
	.set _ZN9rocsparseL19gebsrmvn_1xn_kernelILj128ELj8ELj4EfEEvi20rocsparse_direction_NS_24const_host_device_scalarIT2_EEPKiS6_PKS3_S8_S4_PS3_21rocsparse_index_base_b.uses_vcc, 1
	.set _ZN9rocsparseL19gebsrmvn_1xn_kernelILj128ELj8ELj4EfEEvi20rocsparse_direction_NS_24const_host_device_scalarIT2_EEPKiS6_PKS3_S8_S4_PS3_21rocsparse_index_base_b.uses_flat_scratch, 0
	.set _ZN9rocsparseL19gebsrmvn_1xn_kernelILj128ELj8ELj4EfEEvi20rocsparse_direction_NS_24const_host_device_scalarIT2_EEPKiS6_PKS3_S8_S4_PS3_21rocsparse_index_base_b.has_dyn_sized_stack, 0
	.set _ZN9rocsparseL19gebsrmvn_1xn_kernelILj128ELj8ELj4EfEEvi20rocsparse_direction_NS_24const_host_device_scalarIT2_EEPKiS6_PKS3_S8_S4_PS3_21rocsparse_index_base_b.has_recursion, 0
	.set _ZN9rocsparseL19gebsrmvn_1xn_kernelILj128ELj8ELj4EfEEvi20rocsparse_direction_NS_24const_host_device_scalarIT2_EEPKiS6_PKS3_S8_S4_PS3_21rocsparse_index_base_b.has_indirect_call, 0
	.section	.AMDGPU.csdata,"",@progbits
; Kernel info:
; codeLenInByte = 728
; TotalNumSgprs: 16
; NumVgprs: 25
; ScratchSize: 0
; MemoryBound: 0
; FloatMode: 240
; IeeeMode: 1
; LDSByteSize: 0 bytes/workgroup (compile time only)
; SGPRBlocks: 0
; VGPRBlocks: 3
; NumSGPRsForWavesPerEU: 16
; NumVGPRsForWavesPerEU: 25
; Occupancy: 16
; WaveLimiterHint : 1
; COMPUTE_PGM_RSRC2:SCRATCH_EN: 0
; COMPUTE_PGM_RSRC2:USER_SGPR: 6
; COMPUTE_PGM_RSRC2:TRAP_HANDLER: 0
; COMPUTE_PGM_RSRC2:TGID_X_EN: 1
; COMPUTE_PGM_RSRC2:TGID_Y_EN: 0
; COMPUTE_PGM_RSRC2:TGID_Z_EN: 0
; COMPUTE_PGM_RSRC2:TIDIG_COMP_CNT: 0
	.section	.text._ZN9rocsparseL19gebsrmvn_1xn_kernelILj128ELj8ELj8EfEEvi20rocsparse_direction_NS_24const_host_device_scalarIT2_EEPKiS6_PKS3_S8_S4_PS3_21rocsparse_index_base_b,"axG",@progbits,_ZN9rocsparseL19gebsrmvn_1xn_kernelILj128ELj8ELj8EfEEvi20rocsparse_direction_NS_24const_host_device_scalarIT2_EEPKiS6_PKS3_S8_S4_PS3_21rocsparse_index_base_b,comdat
	.globl	_ZN9rocsparseL19gebsrmvn_1xn_kernelILj128ELj8ELj8EfEEvi20rocsparse_direction_NS_24const_host_device_scalarIT2_EEPKiS6_PKS3_S8_S4_PS3_21rocsparse_index_base_b ; -- Begin function _ZN9rocsparseL19gebsrmvn_1xn_kernelILj128ELj8ELj8EfEEvi20rocsparse_direction_NS_24const_host_device_scalarIT2_EEPKiS6_PKS3_S8_S4_PS3_21rocsparse_index_base_b
	.p2align	8
	.type	_ZN9rocsparseL19gebsrmvn_1xn_kernelILj128ELj8ELj8EfEEvi20rocsparse_direction_NS_24const_host_device_scalarIT2_EEPKiS6_PKS3_S8_S4_PS3_21rocsparse_index_base_b,@function
_ZN9rocsparseL19gebsrmvn_1xn_kernelILj128ELj8ELj8EfEEvi20rocsparse_direction_NS_24const_host_device_scalarIT2_EEPKiS6_PKS3_S8_S4_PS3_21rocsparse_index_base_b: ; @_ZN9rocsparseL19gebsrmvn_1xn_kernelILj128ELj8ELj8EfEEvi20rocsparse_direction_NS_24const_host_device_scalarIT2_EEPKiS6_PKS3_S8_S4_PS3_21rocsparse_index_base_b
; %bb.0:
	s_clause 0x2
	s_load_dwordx2 s[12:13], s[4:5], 0x40
	s_load_dwordx2 s[10:11], s[4:5], 0x8
	;; [unrolled: 1-line block ×3, first 2 shown]
	s_waitcnt lgkmcnt(0)
	s_bitcmp1_b32 s13, 0
	s_cselect_b32 s0, -1, 0
	s_and_b32 vcc_lo, exec_lo, s0
	s_xor_b32 s0, s0, -1
	s_cbranch_vccnz .LBB31_2
; %bb.1:
	s_load_dword s10, s[10:11], 0x0
.LBB31_2:
	s_andn2_b32 vcc_lo, exec_lo, s0
	s_cbranch_vccnz .LBB31_4
; %bb.3:
	s_load_dword s8, s[8:9], 0x0
.LBB31_4:
	s_waitcnt lgkmcnt(0)
	v_cmp_eq_f32_e64 s0, s10, 0
	v_cmp_eq_f32_e64 s1, s8, 1.0
	s_and_b32 s0, s0, s1
	s_and_b32 vcc_lo, exec_lo, s0
	s_cbranch_vccnz .LBB31_15
; %bb.5:
	s_load_dword s0, s[4:5], 0x0
	v_lshrrev_b32_e32 v1, 3, v0
	v_lshl_or_b32 v1, s6, 4, v1
	s_waitcnt lgkmcnt(0)
	v_cmp_gt_i32_e32 vcc_lo, s0, v1
	s_and_saveexec_b32 s0, vcc_lo
	s_cbranch_execz .LBB31_15
; %bb.6:
	s_clause 0x1
	s_load_dwordx2 s[0:1], s[4:5], 0x10
	s_load_dwordx2 s[6:7], s[4:5], 0x38
	v_ashrrev_i32_e32 v2, 31, v1
	v_and_b32_e32 v0, 7, v0
	v_mov_b32_e32 v7, 0
	s_mov_b32 s9, exec_lo
	v_lshlrev_b64 v[1:2], 2, v[1:2]
	v_subrev_nc_u32_e32 v5, s12, v0
	s_waitcnt lgkmcnt(0)
	v_add_co_u32 v3, vcc_lo, s0, v1
	v_add_co_ci_u32_e64 v4, null, s1, v2, vcc_lo
	global_load_dwordx2 v[3:4], v[3:4], off
	s_waitcnt vmcnt(0)
	v_subrev_nc_u32_e32 v8, s12, v4
	v_add_nc_u32_e32 v3, v3, v5
	v_cmpx_lt_i32_e64 v3, v8
	s_cbranch_execz .LBB31_10
; %bb.7:
	s_clause 0x1
	s_load_dwordx4 s[0:3], s[4:5], 0x18
	s_load_dwordx2 s[4:5], s[4:5], 0x28
	v_mov_b32_e32 v6, 0
	v_lshlrev_b32_e32 v5, 3, v3
	s_mov_b32 s11, 0
	v_mov_b32_e32 v7, v6
	s_inst_prefetch 0x1
	.p2align	6
.LBB31_8:                               ; =>This Inner Loop Header: Depth=1
	v_ashrrev_i32_e32 v4, 31, v3
	v_mov_b32_e32 v12, v6
	v_lshlrev_b64 v[9:10], 2, v[3:4]
	v_add_nc_u32_e32 v3, 8, v3
	s_waitcnt lgkmcnt(0)
	v_add_co_u32 v9, vcc_lo, s0, v9
	v_add_co_ci_u32_e64 v10, null, s1, v10, vcc_lo
	global_load_dword v4, v[9:10], off
	v_lshlrev_b64 v[9:10], 2, v[5:6]
	v_add_nc_u32_e32 v5, 64, v5
	v_add_co_u32 v13, vcc_lo, s2, v9
	v_add_co_ci_u32_e64 v14, null, s3, v10, vcc_lo
	s_waitcnt vmcnt(0)
	v_subrev_nc_u32_e32 v4, s12, v4
	v_lshlrev_b32_e32 v11, 3, v4
	v_lshlrev_b64 v[11:12], 2, v[11:12]
	v_add_co_u32 v21, vcc_lo, s4, v11
	v_add_co_ci_u32_e64 v22, null, s5, v12, vcc_lo
	v_cmp_ge_i32_e32 vcc_lo, v3, v8
	s_clause 0x1
	global_load_dwordx4 v[9:12], v[13:14], off offset:16
	global_load_dwordx4 v[13:16], v[13:14], off
	s_clause 0x1
	global_load_dwordx4 v[17:20], v[21:22], off
	global_load_dwordx4 v[21:24], v[21:22], off offset:16
	s_or_b32 s11, vcc_lo, s11
	s_waitcnt vmcnt(1)
	v_fmac_f32_e32 v7, v13, v17
	v_fmac_f32_e32 v7, v14, v18
	v_fmac_f32_e32 v7, v15, v19
	v_fmac_f32_e32 v7, v16, v20
	s_waitcnt vmcnt(0)
	v_fmac_f32_e32 v7, v9, v21
	v_fmac_f32_e32 v7, v10, v22
	;; [unrolled: 1-line block ×4, first 2 shown]
	s_andn2_b32 exec_lo, exec_lo, s11
	s_cbranch_execnz .LBB31_8
; %bb.9:
	s_inst_prefetch 0x2
	s_or_b32 exec_lo, exec_lo, s11
.LBB31_10:
	s_or_b32 exec_lo, exec_lo, s9
	v_mbcnt_lo_u32_b32 v3, -1, 0
	s_mov_b32 s0, -1
	v_xor_b32_e32 v4, 4, v3
	v_xor_b32_e32 v5, 2, v3
	;; [unrolled: 1-line block ×3, first 2 shown]
	v_cmp_gt_i32_e32 vcc_lo, 32, v4
	v_cndmask_b32_e32 v4, v3, v4, vcc_lo
	v_cmp_gt_i32_e32 vcc_lo, 32, v5
	v_lshlrev_b32_e32 v4, 2, v4
	v_cndmask_b32_e32 v5, v3, v5, vcc_lo
	v_cmp_gt_i32_e32 vcc_lo, 32, v6
	ds_bpermute_b32 v4, v4, v7
	v_lshlrev_b32_e32 v5, 2, v5
	v_cndmask_b32_e32 v6, v3, v6, vcc_lo
	v_cmp_eq_u32_e32 vcc_lo, 7, v0
	s_waitcnt lgkmcnt(0)
	v_add_f32_e32 v4, v7, v4
	ds_bpermute_b32 v5, v5, v4
	s_waitcnt lgkmcnt(0)
	v_add_f32_e32 v3, v4, v5
	v_lshlrev_b32_e32 v4, 2, v6
	ds_bpermute_b32 v4, v4, v3
	s_and_b32 exec_lo, exec_lo, vcc_lo
	s_cbranch_execz .LBB31_15
; %bb.11:
	s_waitcnt lgkmcnt(0)
	v_add_f32_e32 v0, v3, v4
	v_cmp_eq_f32_e64 s1, s8, 0
	v_mul_f32_e32 v0, s10, v0
	s_and_b32 vcc_lo, exec_lo, s1
	s_cbranch_vccz .LBB31_13
; %bb.12:
	v_add_co_u32 v3, vcc_lo, s6, v1
	v_add_co_ci_u32_e64 v4, null, s7, v2, vcc_lo
	s_mov_b32 s0, 0
	global_store_dword v[3:4], v0, off
.LBB31_13:
	s_andn2_b32 vcc_lo, exec_lo, s0
	s_cbranch_vccnz .LBB31_15
; %bb.14:
	v_add_co_u32 v1, vcc_lo, s6, v1
	v_add_co_ci_u32_e64 v2, null, s7, v2, vcc_lo
	global_load_dword v3, v[1:2], off
	s_waitcnt vmcnt(0)
	v_fmac_f32_e32 v0, s8, v3
	global_store_dword v[1:2], v0, off
.LBB31_15:
	s_endpgm
	.section	.rodata,"a",@progbits
	.p2align	6, 0x0
	.amdhsa_kernel _ZN9rocsparseL19gebsrmvn_1xn_kernelILj128ELj8ELj8EfEEvi20rocsparse_direction_NS_24const_host_device_scalarIT2_EEPKiS6_PKS3_S8_S4_PS3_21rocsparse_index_base_b
		.amdhsa_group_segment_fixed_size 0
		.amdhsa_private_segment_fixed_size 0
		.amdhsa_kernarg_size 72
		.amdhsa_user_sgpr_count 6
		.amdhsa_user_sgpr_private_segment_buffer 1
		.amdhsa_user_sgpr_dispatch_ptr 0
		.amdhsa_user_sgpr_queue_ptr 0
		.amdhsa_user_sgpr_kernarg_segment_ptr 1
		.amdhsa_user_sgpr_dispatch_id 0
		.amdhsa_user_sgpr_flat_scratch_init 0
		.amdhsa_user_sgpr_private_segment_size 0
		.amdhsa_wavefront_size32 1
		.amdhsa_uses_dynamic_stack 0
		.amdhsa_system_sgpr_private_segment_wavefront_offset 0
		.amdhsa_system_sgpr_workgroup_id_x 1
		.amdhsa_system_sgpr_workgroup_id_y 0
		.amdhsa_system_sgpr_workgroup_id_z 0
		.amdhsa_system_sgpr_workgroup_info 0
		.amdhsa_system_vgpr_workitem_id 0
		.amdhsa_next_free_vgpr 25
		.amdhsa_next_free_sgpr 14
		.amdhsa_reserve_vcc 1
		.amdhsa_reserve_flat_scratch 0
		.amdhsa_float_round_mode_32 0
		.amdhsa_float_round_mode_16_64 0
		.amdhsa_float_denorm_mode_32 3
		.amdhsa_float_denorm_mode_16_64 3
		.amdhsa_dx10_clamp 1
		.amdhsa_ieee_mode 1
		.amdhsa_fp16_overflow 0
		.amdhsa_workgroup_processor_mode 1
		.amdhsa_memory_ordered 1
		.amdhsa_forward_progress 1
		.amdhsa_shared_vgpr_count 0
		.amdhsa_exception_fp_ieee_invalid_op 0
		.amdhsa_exception_fp_denorm_src 0
		.amdhsa_exception_fp_ieee_div_zero 0
		.amdhsa_exception_fp_ieee_overflow 0
		.amdhsa_exception_fp_ieee_underflow 0
		.amdhsa_exception_fp_ieee_inexact 0
		.amdhsa_exception_int_div_zero 0
	.end_amdhsa_kernel
	.section	.text._ZN9rocsparseL19gebsrmvn_1xn_kernelILj128ELj8ELj8EfEEvi20rocsparse_direction_NS_24const_host_device_scalarIT2_EEPKiS6_PKS3_S8_S4_PS3_21rocsparse_index_base_b,"axG",@progbits,_ZN9rocsparseL19gebsrmvn_1xn_kernelILj128ELj8ELj8EfEEvi20rocsparse_direction_NS_24const_host_device_scalarIT2_EEPKiS6_PKS3_S8_S4_PS3_21rocsparse_index_base_b,comdat
.Lfunc_end31:
	.size	_ZN9rocsparseL19gebsrmvn_1xn_kernelILj128ELj8ELj8EfEEvi20rocsparse_direction_NS_24const_host_device_scalarIT2_EEPKiS6_PKS3_S8_S4_PS3_21rocsparse_index_base_b, .Lfunc_end31-_ZN9rocsparseL19gebsrmvn_1xn_kernelILj128ELj8ELj8EfEEvi20rocsparse_direction_NS_24const_host_device_scalarIT2_EEPKiS6_PKS3_S8_S4_PS3_21rocsparse_index_base_b
                                        ; -- End function
	.set _ZN9rocsparseL19gebsrmvn_1xn_kernelILj128ELj8ELj8EfEEvi20rocsparse_direction_NS_24const_host_device_scalarIT2_EEPKiS6_PKS3_S8_S4_PS3_21rocsparse_index_base_b.num_vgpr, 25
	.set _ZN9rocsparseL19gebsrmvn_1xn_kernelILj128ELj8ELj8EfEEvi20rocsparse_direction_NS_24const_host_device_scalarIT2_EEPKiS6_PKS3_S8_S4_PS3_21rocsparse_index_base_b.num_agpr, 0
	.set _ZN9rocsparseL19gebsrmvn_1xn_kernelILj128ELj8ELj8EfEEvi20rocsparse_direction_NS_24const_host_device_scalarIT2_EEPKiS6_PKS3_S8_S4_PS3_21rocsparse_index_base_b.numbered_sgpr, 14
	.set _ZN9rocsparseL19gebsrmvn_1xn_kernelILj128ELj8ELj8EfEEvi20rocsparse_direction_NS_24const_host_device_scalarIT2_EEPKiS6_PKS3_S8_S4_PS3_21rocsparse_index_base_b.num_named_barrier, 0
	.set _ZN9rocsparseL19gebsrmvn_1xn_kernelILj128ELj8ELj8EfEEvi20rocsparse_direction_NS_24const_host_device_scalarIT2_EEPKiS6_PKS3_S8_S4_PS3_21rocsparse_index_base_b.private_seg_size, 0
	.set _ZN9rocsparseL19gebsrmvn_1xn_kernelILj128ELj8ELj8EfEEvi20rocsparse_direction_NS_24const_host_device_scalarIT2_EEPKiS6_PKS3_S8_S4_PS3_21rocsparse_index_base_b.uses_vcc, 1
	.set _ZN9rocsparseL19gebsrmvn_1xn_kernelILj128ELj8ELj8EfEEvi20rocsparse_direction_NS_24const_host_device_scalarIT2_EEPKiS6_PKS3_S8_S4_PS3_21rocsparse_index_base_b.uses_flat_scratch, 0
	.set _ZN9rocsparseL19gebsrmvn_1xn_kernelILj128ELj8ELj8EfEEvi20rocsparse_direction_NS_24const_host_device_scalarIT2_EEPKiS6_PKS3_S8_S4_PS3_21rocsparse_index_base_b.has_dyn_sized_stack, 0
	.set _ZN9rocsparseL19gebsrmvn_1xn_kernelILj128ELj8ELj8EfEEvi20rocsparse_direction_NS_24const_host_device_scalarIT2_EEPKiS6_PKS3_S8_S4_PS3_21rocsparse_index_base_b.has_recursion, 0
	.set _ZN9rocsparseL19gebsrmvn_1xn_kernelILj128ELj8ELj8EfEEvi20rocsparse_direction_NS_24const_host_device_scalarIT2_EEPKiS6_PKS3_S8_S4_PS3_21rocsparse_index_base_b.has_indirect_call, 0
	.section	.AMDGPU.csdata,"",@progbits
; Kernel info:
; codeLenInByte = 760
; TotalNumSgprs: 16
; NumVgprs: 25
; ScratchSize: 0
; MemoryBound: 0
; FloatMode: 240
; IeeeMode: 1
; LDSByteSize: 0 bytes/workgroup (compile time only)
; SGPRBlocks: 0
; VGPRBlocks: 3
; NumSGPRsForWavesPerEU: 16
; NumVGPRsForWavesPerEU: 25
; Occupancy: 16
; WaveLimiterHint : 1
; COMPUTE_PGM_RSRC2:SCRATCH_EN: 0
; COMPUTE_PGM_RSRC2:USER_SGPR: 6
; COMPUTE_PGM_RSRC2:TRAP_HANDLER: 0
; COMPUTE_PGM_RSRC2:TGID_X_EN: 1
; COMPUTE_PGM_RSRC2:TGID_Y_EN: 0
; COMPUTE_PGM_RSRC2:TGID_Z_EN: 0
; COMPUTE_PGM_RSRC2:TIDIG_COMP_CNT: 0
	.section	.text._ZN9rocsparseL19gebsrmvn_1xn_kernelILj128ELj8ELj16EfEEvi20rocsparse_direction_NS_24const_host_device_scalarIT2_EEPKiS6_PKS3_S8_S4_PS3_21rocsparse_index_base_b,"axG",@progbits,_ZN9rocsparseL19gebsrmvn_1xn_kernelILj128ELj8ELj16EfEEvi20rocsparse_direction_NS_24const_host_device_scalarIT2_EEPKiS6_PKS3_S8_S4_PS3_21rocsparse_index_base_b,comdat
	.globl	_ZN9rocsparseL19gebsrmvn_1xn_kernelILj128ELj8ELj16EfEEvi20rocsparse_direction_NS_24const_host_device_scalarIT2_EEPKiS6_PKS3_S8_S4_PS3_21rocsparse_index_base_b ; -- Begin function _ZN9rocsparseL19gebsrmvn_1xn_kernelILj128ELj8ELj16EfEEvi20rocsparse_direction_NS_24const_host_device_scalarIT2_EEPKiS6_PKS3_S8_S4_PS3_21rocsparse_index_base_b
	.p2align	8
	.type	_ZN9rocsparseL19gebsrmvn_1xn_kernelILj128ELj8ELj16EfEEvi20rocsparse_direction_NS_24const_host_device_scalarIT2_EEPKiS6_PKS3_S8_S4_PS3_21rocsparse_index_base_b,@function
_ZN9rocsparseL19gebsrmvn_1xn_kernelILj128ELj8ELj16EfEEvi20rocsparse_direction_NS_24const_host_device_scalarIT2_EEPKiS6_PKS3_S8_S4_PS3_21rocsparse_index_base_b: ; @_ZN9rocsparseL19gebsrmvn_1xn_kernelILj128ELj8ELj16EfEEvi20rocsparse_direction_NS_24const_host_device_scalarIT2_EEPKiS6_PKS3_S8_S4_PS3_21rocsparse_index_base_b
; %bb.0:
	s_clause 0x2
	s_load_dwordx2 s[12:13], s[4:5], 0x40
	s_load_dwordx2 s[10:11], s[4:5], 0x8
	;; [unrolled: 1-line block ×3, first 2 shown]
	s_waitcnt lgkmcnt(0)
	s_bitcmp1_b32 s13, 0
	s_cselect_b32 s0, -1, 0
	s_and_b32 vcc_lo, exec_lo, s0
	s_xor_b32 s0, s0, -1
	s_cbranch_vccnz .LBB32_2
; %bb.1:
	s_load_dword s10, s[10:11], 0x0
.LBB32_2:
	s_andn2_b32 vcc_lo, exec_lo, s0
	s_cbranch_vccnz .LBB32_4
; %bb.3:
	s_load_dword s8, s[8:9], 0x0
.LBB32_4:
	s_waitcnt lgkmcnt(0)
	v_cmp_eq_f32_e64 s0, s10, 0
	v_cmp_eq_f32_e64 s1, s8, 1.0
	s_and_b32 s0, s0, s1
	s_and_b32 vcc_lo, exec_lo, s0
	s_cbranch_vccnz .LBB32_15
; %bb.5:
	s_load_dword s0, s[4:5], 0x0
	v_lshrrev_b32_e32 v1, 4, v0
	v_lshl_or_b32 v1, s6, 3, v1
	s_waitcnt lgkmcnt(0)
	v_cmp_gt_i32_e32 vcc_lo, s0, v1
	s_and_saveexec_b32 s0, vcc_lo
	s_cbranch_execz .LBB32_15
; %bb.6:
	s_clause 0x1
	s_load_dwordx2 s[0:1], s[4:5], 0x10
	s_load_dwordx2 s[6:7], s[4:5], 0x38
	v_ashrrev_i32_e32 v2, 31, v1
	v_and_b32_e32 v0, 15, v0
	v_mov_b32_e32 v7, 0
	s_mov_b32 s9, exec_lo
	v_lshlrev_b64 v[1:2], 2, v[1:2]
	v_subrev_nc_u32_e32 v5, s12, v0
	s_waitcnt lgkmcnt(0)
	v_add_co_u32 v3, vcc_lo, s0, v1
	v_add_co_ci_u32_e64 v4, null, s1, v2, vcc_lo
	global_load_dwordx2 v[3:4], v[3:4], off
	s_waitcnt vmcnt(0)
	v_subrev_nc_u32_e32 v8, s12, v4
	v_add_nc_u32_e32 v3, v3, v5
	v_cmpx_lt_i32_e64 v3, v8
	s_cbranch_execz .LBB32_10
; %bb.7:
	s_clause 0x1
	s_load_dwordx4 s[0:3], s[4:5], 0x18
	s_load_dwordx2 s[4:5], s[4:5], 0x28
	v_mov_b32_e32 v6, 0
	v_lshlrev_b32_e32 v5, 3, v3
	s_mov_b32 s11, 0
	v_mov_b32_e32 v7, v6
	s_inst_prefetch 0x1
	.p2align	6
.LBB32_8:                               ; =>This Inner Loop Header: Depth=1
	v_ashrrev_i32_e32 v4, 31, v3
	v_mov_b32_e32 v12, v6
	v_lshlrev_b64 v[9:10], 2, v[3:4]
	v_add_nc_u32_e32 v3, 16, v3
	s_waitcnt lgkmcnt(0)
	v_add_co_u32 v9, vcc_lo, s0, v9
	v_add_co_ci_u32_e64 v10, null, s1, v10, vcc_lo
	global_load_dword v4, v[9:10], off
	v_lshlrev_b64 v[9:10], 2, v[5:6]
	v_add_nc_u32_e32 v5, 0x80, v5
	v_add_co_u32 v13, vcc_lo, s2, v9
	v_add_co_ci_u32_e64 v14, null, s3, v10, vcc_lo
	s_waitcnt vmcnt(0)
	v_subrev_nc_u32_e32 v4, s12, v4
	v_lshlrev_b32_e32 v11, 3, v4
	v_lshlrev_b64 v[11:12], 2, v[11:12]
	v_add_co_u32 v21, vcc_lo, s4, v11
	v_add_co_ci_u32_e64 v22, null, s5, v12, vcc_lo
	v_cmp_ge_i32_e32 vcc_lo, v3, v8
	s_clause 0x1
	global_load_dwordx4 v[9:12], v[13:14], off offset:16
	global_load_dwordx4 v[13:16], v[13:14], off
	s_clause 0x1
	global_load_dwordx4 v[17:20], v[21:22], off
	global_load_dwordx4 v[21:24], v[21:22], off offset:16
	s_or_b32 s11, vcc_lo, s11
	s_waitcnt vmcnt(1)
	v_fmac_f32_e32 v7, v13, v17
	v_fmac_f32_e32 v7, v14, v18
	;; [unrolled: 1-line block ×4, first 2 shown]
	s_waitcnt vmcnt(0)
	v_fmac_f32_e32 v7, v9, v21
	v_fmac_f32_e32 v7, v10, v22
	;; [unrolled: 1-line block ×4, first 2 shown]
	s_andn2_b32 exec_lo, exec_lo, s11
	s_cbranch_execnz .LBB32_8
; %bb.9:
	s_inst_prefetch 0x2
	s_or_b32 exec_lo, exec_lo, s11
.LBB32_10:
	s_or_b32 exec_lo, exec_lo, s9
	v_mbcnt_lo_u32_b32 v3, -1, 0
	s_mov_b32 s0, -1
	v_xor_b32_e32 v4, 8, v3
	v_xor_b32_e32 v5, 4, v3
	;; [unrolled: 1-line block ×3, first 2 shown]
	v_cmp_gt_i32_e32 vcc_lo, 32, v4
	v_cndmask_b32_e32 v4, v3, v4, vcc_lo
	v_cmp_gt_i32_e32 vcc_lo, 32, v5
	v_lshlrev_b32_e32 v4, 2, v4
	v_cndmask_b32_e32 v5, v3, v5, vcc_lo
	v_cmp_gt_i32_e32 vcc_lo, 32, v6
	ds_bpermute_b32 v4, v4, v7
	v_lshlrev_b32_e32 v5, 2, v5
	v_cndmask_b32_e32 v6, v3, v6, vcc_lo
	v_lshlrev_b32_e32 v6, 2, v6
	s_waitcnt lgkmcnt(0)
	v_add_f32_e32 v4, v7, v4
	ds_bpermute_b32 v5, v5, v4
	s_waitcnt lgkmcnt(0)
	v_add_f32_e32 v4, v4, v5
	ds_bpermute_b32 v5, v6, v4
	v_xor_b32_e32 v6, 1, v3
	v_cmp_gt_i32_e32 vcc_lo, 32, v6
	v_cndmask_b32_e32 v6, v3, v6, vcc_lo
	v_cmp_eq_u32_e32 vcc_lo, 15, v0
	s_waitcnt lgkmcnt(0)
	v_add_f32_e32 v3, v4, v5
	v_lshlrev_b32_e32 v4, 2, v6
	ds_bpermute_b32 v4, v4, v3
	s_and_b32 exec_lo, exec_lo, vcc_lo
	s_cbranch_execz .LBB32_15
; %bb.11:
	s_waitcnt lgkmcnt(0)
	v_add_f32_e32 v0, v3, v4
	v_cmp_eq_f32_e64 s1, s8, 0
	v_mul_f32_e32 v0, s10, v0
	s_and_b32 vcc_lo, exec_lo, s1
	s_cbranch_vccz .LBB32_13
; %bb.12:
	v_add_co_u32 v3, vcc_lo, s6, v1
	v_add_co_ci_u32_e64 v4, null, s7, v2, vcc_lo
	s_mov_b32 s0, 0
	global_store_dword v[3:4], v0, off
.LBB32_13:
	s_andn2_b32 vcc_lo, exec_lo, s0
	s_cbranch_vccnz .LBB32_15
; %bb.14:
	v_add_co_u32 v1, vcc_lo, s6, v1
	v_add_co_ci_u32_e64 v2, null, s7, v2, vcc_lo
	global_load_dword v3, v[1:2], off
	s_waitcnt vmcnt(0)
	v_fmac_f32_e32 v0, s8, v3
	global_store_dword v[1:2], v0, off
.LBB32_15:
	s_endpgm
	.section	.rodata,"a",@progbits
	.p2align	6, 0x0
	.amdhsa_kernel _ZN9rocsparseL19gebsrmvn_1xn_kernelILj128ELj8ELj16EfEEvi20rocsparse_direction_NS_24const_host_device_scalarIT2_EEPKiS6_PKS3_S8_S4_PS3_21rocsparse_index_base_b
		.amdhsa_group_segment_fixed_size 0
		.amdhsa_private_segment_fixed_size 0
		.amdhsa_kernarg_size 72
		.amdhsa_user_sgpr_count 6
		.amdhsa_user_sgpr_private_segment_buffer 1
		.amdhsa_user_sgpr_dispatch_ptr 0
		.amdhsa_user_sgpr_queue_ptr 0
		.amdhsa_user_sgpr_kernarg_segment_ptr 1
		.amdhsa_user_sgpr_dispatch_id 0
		.amdhsa_user_sgpr_flat_scratch_init 0
		.amdhsa_user_sgpr_private_segment_size 0
		.amdhsa_wavefront_size32 1
		.amdhsa_uses_dynamic_stack 0
		.amdhsa_system_sgpr_private_segment_wavefront_offset 0
		.amdhsa_system_sgpr_workgroup_id_x 1
		.amdhsa_system_sgpr_workgroup_id_y 0
		.amdhsa_system_sgpr_workgroup_id_z 0
		.amdhsa_system_sgpr_workgroup_info 0
		.amdhsa_system_vgpr_workitem_id 0
		.amdhsa_next_free_vgpr 25
		.amdhsa_next_free_sgpr 14
		.amdhsa_reserve_vcc 1
		.amdhsa_reserve_flat_scratch 0
		.amdhsa_float_round_mode_32 0
		.amdhsa_float_round_mode_16_64 0
		.amdhsa_float_denorm_mode_32 3
		.amdhsa_float_denorm_mode_16_64 3
		.amdhsa_dx10_clamp 1
		.amdhsa_ieee_mode 1
		.amdhsa_fp16_overflow 0
		.amdhsa_workgroup_processor_mode 1
		.amdhsa_memory_ordered 1
		.amdhsa_forward_progress 1
		.amdhsa_shared_vgpr_count 0
		.amdhsa_exception_fp_ieee_invalid_op 0
		.amdhsa_exception_fp_denorm_src 0
		.amdhsa_exception_fp_ieee_div_zero 0
		.amdhsa_exception_fp_ieee_overflow 0
		.amdhsa_exception_fp_ieee_underflow 0
		.amdhsa_exception_fp_ieee_inexact 0
		.amdhsa_exception_int_div_zero 0
	.end_amdhsa_kernel
	.section	.text._ZN9rocsparseL19gebsrmvn_1xn_kernelILj128ELj8ELj16EfEEvi20rocsparse_direction_NS_24const_host_device_scalarIT2_EEPKiS6_PKS3_S8_S4_PS3_21rocsparse_index_base_b,"axG",@progbits,_ZN9rocsparseL19gebsrmvn_1xn_kernelILj128ELj8ELj16EfEEvi20rocsparse_direction_NS_24const_host_device_scalarIT2_EEPKiS6_PKS3_S8_S4_PS3_21rocsparse_index_base_b,comdat
.Lfunc_end32:
	.size	_ZN9rocsparseL19gebsrmvn_1xn_kernelILj128ELj8ELj16EfEEvi20rocsparse_direction_NS_24const_host_device_scalarIT2_EEPKiS6_PKS3_S8_S4_PS3_21rocsparse_index_base_b, .Lfunc_end32-_ZN9rocsparseL19gebsrmvn_1xn_kernelILj128ELj8ELj16EfEEvi20rocsparse_direction_NS_24const_host_device_scalarIT2_EEPKiS6_PKS3_S8_S4_PS3_21rocsparse_index_base_b
                                        ; -- End function
	.set _ZN9rocsparseL19gebsrmvn_1xn_kernelILj128ELj8ELj16EfEEvi20rocsparse_direction_NS_24const_host_device_scalarIT2_EEPKiS6_PKS3_S8_S4_PS3_21rocsparse_index_base_b.num_vgpr, 25
	.set _ZN9rocsparseL19gebsrmvn_1xn_kernelILj128ELj8ELj16EfEEvi20rocsparse_direction_NS_24const_host_device_scalarIT2_EEPKiS6_PKS3_S8_S4_PS3_21rocsparse_index_base_b.num_agpr, 0
	.set _ZN9rocsparseL19gebsrmvn_1xn_kernelILj128ELj8ELj16EfEEvi20rocsparse_direction_NS_24const_host_device_scalarIT2_EEPKiS6_PKS3_S8_S4_PS3_21rocsparse_index_base_b.numbered_sgpr, 14
	.set _ZN9rocsparseL19gebsrmvn_1xn_kernelILj128ELj8ELj16EfEEvi20rocsparse_direction_NS_24const_host_device_scalarIT2_EEPKiS6_PKS3_S8_S4_PS3_21rocsparse_index_base_b.num_named_barrier, 0
	.set _ZN9rocsparseL19gebsrmvn_1xn_kernelILj128ELj8ELj16EfEEvi20rocsparse_direction_NS_24const_host_device_scalarIT2_EEPKiS6_PKS3_S8_S4_PS3_21rocsparse_index_base_b.private_seg_size, 0
	.set _ZN9rocsparseL19gebsrmvn_1xn_kernelILj128ELj8ELj16EfEEvi20rocsparse_direction_NS_24const_host_device_scalarIT2_EEPKiS6_PKS3_S8_S4_PS3_21rocsparse_index_base_b.uses_vcc, 1
	.set _ZN9rocsparseL19gebsrmvn_1xn_kernelILj128ELj8ELj16EfEEvi20rocsparse_direction_NS_24const_host_device_scalarIT2_EEPKiS6_PKS3_S8_S4_PS3_21rocsparse_index_base_b.uses_flat_scratch, 0
	.set _ZN9rocsparseL19gebsrmvn_1xn_kernelILj128ELj8ELj16EfEEvi20rocsparse_direction_NS_24const_host_device_scalarIT2_EEPKiS6_PKS3_S8_S4_PS3_21rocsparse_index_base_b.has_dyn_sized_stack, 0
	.set _ZN9rocsparseL19gebsrmvn_1xn_kernelILj128ELj8ELj16EfEEvi20rocsparse_direction_NS_24const_host_device_scalarIT2_EEPKiS6_PKS3_S8_S4_PS3_21rocsparse_index_base_b.has_recursion, 0
	.set _ZN9rocsparseL19gebsrmvn_1xn_kernelILj128ELj8ELj16EfEEvi20rocsparse_direction_NS_24const_host_device_scalarIT2_EEPKiS6_PKS3_S8_S4_PS3_21rocsparse_index_base_b.has_indirect_call, 0
	.section	.AMDGPU.csdata,"",@progbits
; Kernel info:
; codeLenInByte = 796
; TotalNumSgprs: 16
; NumVgprs: 25
; ScratchSize: 0
; MemoryBound: 0
; FloatMode: 240
; IeeeMode: 1
; LDSByteSize: 0 bytes/workgroup (compile time only)
; SGPRBlocks: 0
; VGPRBlocks: 3
; NumSGPRsForWavesPerEU: 16
; NumVGPRsForWavesPerEU: 25
; Occupancy: 16
; WaveLimiterHint : 1
; COMPUTE_PGM_RSRC2:SCRATCH_EN: 0
; COMPUTE_PGM_RSRC2:USER_SGPR: 6
; COMPUTE_PGM_RSRC2:TRAP_HANDLER: 0
; COMPUTE_PGM_RSRC2:TGID_X_EN: 1
; COMPUTE_PGM_RSRC2:TGID_Y_EN: 0
; COMPUTE_PGM_RSRC2:TGID_Z_EN: 0
; COMPUTE_PGM_RSRC2:TIDIG_COMP_CNT: 0
	.section	.text._ZN9rocsparseL19gebsrmvn_1xn_kernelILj128ELj8ELj32EfEEvi20rocsparse_direction_NS_24const_host_device_scalarIT2_EEPKiS6_PKS3_S8_S4_PS3_21rocsparse_index_base_b,"axG",@progbits,_ZN9rocsparseL19gebsrmvn_1xn_kernelILj128ELj8ELj32EfEEvi20rocsparse_direction_NS_24const_host_device_scalarIT2_EEPKiS6_PKS3_S8_S4_PS3_21rocsparse_index_base_b,comdat
	.globl	_ZN9rocsparseL19gebsrmvn_1xn_kernelILj128ELj8ELj32EfEEvi20rocsparse_direction_NS_24const_host_device_scalarIT2_EEPKiS6_PKS3_S8_S4_PS3_21rocsparse_index_base_b ; -- Begin function _ZN9rocsparseL19gebsrmvn_1xn_kernelILj128ELj8ELj32EfEEvi20rocsparse_direction_NS_24const_host_device_scalarIT2_EEPKiS6_PKS3_S8_S4_PS3_21rocsparse_index_base_b
	.p2align	8
	.type	_ZN9rocsparseL19gebsrmvn_1xn_kernelILj128ELj8ELj32EfEEvi20rocsparse_direction_NS_24const_host_device_scalarIT2_EEPKiS6_PKS3_S8_S4_PS3_21rocsparse_index_base_b,@function
_ZN9rocsparseL19gebsrmvn_1xn_kernelILj128ELj8ELj32EfEEvi20rocsparse_direction_NS_24const_host_device_scalarIT2_EEPKiS6_PKS3_S8_S4_PS3_21rocsparse_index_base_b: ; @_ZN9rocsparseL19gebsrmvn_1xn_kernelILj128ELj8ELj32EfEEvi20rocsparse_direction_NS_24const_host_device_scalarIT2_EEPKiS6_PKS3_S8_S4_PS3_21rocsparse_index_base_b
; %bb.0:
	s_clause 0x2
	s_load_dwordx2 s[12:13], s[4:5], 0x40
	s_load_dwordx2 s[10:11], s[4:5], 0x8
	;; [unrolled: 1-line block ×3, first 2 shown]
	s_waitcnt lgkmcnt(0)
	s_bitcmp1_b32 s13, 0
	s_cselect_b32 s0, -1, 0
	s_and_b32 vcc_lo, exec_lo, s0
	s_xor_b32 s0, s0, -1
	s_cbranch_vccnz .LBB33_2
; %bb.1:
	s_load_dword s10, s[10:11], 0x0
.LBB33_2:
	s_andn2_b32 vcc_lo, exec_lo, s0
	s_cbranch_vccnz .LBB33_4
; %bb.3:
	s_load_dword s8, s[8:9], 0x0
.LBB33_4:
	s_waitcnt lgkmcnt(0)
	v_cmp_eq_f32_e64 s0, s10, 0
	v_cmp_eq_f32_e64 s1, s8, 1.0
	s_and_b32 s0, s0, s1
	s_and_b32 vcc_lo, exec_lo, s0
	s_cbranch_vccnz .LBB33_15
; %bb.5:
	s_load_dword s0, s[4:5], 0x0
	v_lshrrev_b32_e32 v1, 5, v0
	v_lshl_or_b32 v1, s6, 2, v1
	s_waitcnt lgkmcnt(0)
	v_cmp_gt_i32_e32 vcc_lo, s0, v1
	s_and_saveexec_b32 s0, vcc_lo
	s_cbranch_execz .LBB33_15
; %bb.6:
	s_clause 0x1
	s_load_dwordx2 s[0:1], s[4:5], 0x10
	s_load_dwordx2 s[6:7], s[4:5], 0x38
	v_ashrrev_i32_e32 v2, 31, v1
	v_and_b32_e32 v0, 31, v0
	v_mov_b32_e32 v7, 0
	s_mov_b32 s9, exec_lo
	v_lshlrev_b64 v[1:2], 2, v[1:2]
	v_subrev_nc_u32_e32 v5, s12, v0
	s_waitcnt lgkmcnt(0)
	v_add_co_u32 v3, vcc_lo, s0, v1
	v_add_co_ci_u32_e64 v4, null, s1, v2, vcc_lo
	global_load_dwordx2 v[3:4], v[3:4], off
	s_waitcnt vmcnt(0)
	v_subrev_nc_u32_e32 v8, s12, v4
	v_add_nc_u32_e32 v3, v3, v5
	v_cmpx_lt_i32_e64 v3, v8
	s_cbranch_execz .LBB33_10
; %bb.7:
	s_clause 0x1
	s_load_dwordx4 s[0:3], s[4:5], 0x18
	s_load_dwordx2 s[4:5], s[4:5], 0x28
	v_mov_b32_e32 v6, 0
	v_lshlrev_b32_e32 v5, 3, v3
	s_mov_b32 s11, 0
	v_mov_b32_e32 v7, v6
	s_inst_prefetch 0x1
	.p2align	6
.LBB33_8:                               ; =>This Inner Loop Header: Depth=1
	v_ashrrev_i32_e32 v4, 31, v3
	v_mov_b32_e32 v12, v6
	v_lshlrev_b64 v[9:10], 2, v[3:4]
	v_add_nc_u32_e32 v3, 32, v3
	s_waitcnt lgkmcnt(0)
	v_add_co_u32 v9, vcc_lo, s0, v9
	v_add_co_ci_u32_e64 v10, null, s1, v10, vcc_lo
	global_load_dword v4, v[9:10], off
	v_lshlrev_b64 v[9:10], 2, v[5:6]
	v_add_nc_u32_e32 v5, 0x100, v5
	v_add_co_u32 v13, vcc_lo, s2, v9
	v_add_co_ci_u32_e64 v14, null, s3, v10, vcc_lo
	s_waitcnt vmcnt(0)
	v_subrev_nc_u32_e32 v4, s12, v4
	v_lshlrev_b32_e32 v11, 3, v4
	v_lshlrev_b64 v[11:12], 2, v[11:12]
	v_add_co_u32 v21, vcc_lo, s4, v11
	v_add_co_ci_u32_e64 v22, null, s5, v12, vcc_lo
	v_cmp_ge_i32_e32 vcc_lo, v3, v8
	s_clause 0x1
	global_load_dwordx4 v[9:12], v[13:14], off offset:16
	global_load_dwordx4 v[13:16], v[13:14], off
	s_clause 0x1
	global_load_dwordx4 v[17:20], v[21:22], off
	global_load_dwordx4 v[21:24], v[21:22], off offset:16
	s_or_b32 s11, vcc_lo, s11
	s_waitcnt vmcnt(1)
	v_fmac_f32_e32 v7, v13, v17
	v_fmac_f32_e32 v7, v14, v18
	;; [unrolled: 1-line block ×4, first 2 shown]
	s_waitcnt vmcnt(0)
	v_fmac_f32_e32 v7, v9, v21
	v_fmac_f32_e32 v7, v10, v22
	v_fmac_f32_e32 v7, v11, v23
	v_fmac_f32_e32 v7, v12, v24
	s_andn2_b32 exec_lo, exec_lo, s11
	s_cbranch_execnz .LBB33_8
; %bb.9:
	s_inst_prefetch 0x2
	s_or_b32 exec_lo, exec_lo, s11
.LBB33_10:
	s_or_b32 exec_lo, exec_lo, s9
	v_mbcnt_lo_u32_b32 v3, -1, 0
	s_mov_b32 s0, -1
	v_xor_b32_e32 v4, 16, v3
	v_xor_b32_e32 v5, 8, v3
	;; [unrolled: 1-line block ×3, first 2 shown]
	v_cmp_gt_i32_e32 vcc_lo, 32, v4
	v_cndmask_b32_e32 v4, v3, v4, vcc_lo
	v_cmp_gt_i32_e32 vcc_lo, 32, v5
	v_lshlrev_b32_e32 v4, 2, v4
	v_cndmask_b32_e32 v5, v3, v5, vcc_lo
	v_cmp_gt_i32_e32 vcc_lo, 32, v6
	ds_bpermute_b32 v4, v4, v7
	v_lshlrev_b32_e32 v5, 2, v5
	v_cndmask_b32_e32 v6, v3, v6, vcc_lo
	v_lshlrev_b32_e32 v6, 2, v6
	s_waitcnt lgkmcnt(0)
	v_add_f32_e32 v4, v7, v4
	ds_bpermute_b32 v5, v5, v4
	s_waitcnt lgkmcnt(0)
	v_add_f32_e32 v4, v4, v5
	ds_bpermute_b32 v5, v6, v4
	v_xor_b32_e32 v6, 2, v3
	v_cmp_gt_i32_e32 vcc_lo, 32, v6
	v_cndmask_b32_e32 v6, v3, v6, vcc_lo
	v_lshlrev_b32_e32 v6, 2, v6
	s_waitcnt lgkmcnt(0)
	v_add_f32_e32 v4, v4, v5
	ds_bpermute_b32 v5, v6, v4
	v_xor_b32_e32 v6, 1, v3
	v_cmp_gt_i32_e32 vcc_lo, 32, v6
	v_cndmask_b32_e32 v6, v3, v6, vcc_lo
	v_cmp_eq_u32_e32 vcc_lo, 31, v0
	s_waitcnt lgkmcnt(0)
	v_add_f32_e32 v3, v4, v5
	v_lshlrev_b32_e32 v4, 2, v6
	ds_bpermute_b32 v4, v4, v3
	s_and_b32 exec_lo, exec_lo, vcc_lo
	s_cbranch_execz .LBB33_15
; %bb.11:
	s_waitcnt lgkmcnt(0)
	v_add_f32_e32 v0, v3, v4
	v_cmp_eq_f32_e64 s1, s8, 0
	v_mul_f32_e32 v0, s10, v0
	s_and_b32 vcc_lo, exec_lo, s1
	s_cbranch_vccz .LBB33_13
; %bb.12:
	v_add_co_u32 v3, vcc_lo, s6, v1
	v_add_co_ci_u32_e64 v4, null, s7, v2, vcc_lo
	s_mov_b32 s0, 0
	global_store_dword v[3:4], v0, off
.LBB33_13:
	s_andn2_b32 vcc_lo, exec_lo, s0
	s_cbranch_vccnz .LBB33_15
; %bb.14:
	v_add_co_u32 v1, vcc_lo, s6, v1
	v_add_co_ci_u32_e64 v2, null, s7, v2, vcc_lo
	global_load_dword v3, v[1:2], off
	s_waitcnt vmcnt(0)
	v_fmac_f32_e32 v0, s8, v3
	global_store_dword v[1:2], v0, off
.LBB33_15:
	s_endpgm
	.section	.rodata,"a",@progbits
	.p2align	6, 0x0
	.amdhsa_kernel _ZN9rocsparseL19gebsrmvn_1xn_kernelILj128ELj8ELj32EfEEvi20rocsparse_direction_NS_24const_host_device_scalarIT2_EEPKiS6_PKS3_S8_S4_PS3_21rocsparse_index_base_b
		.amdhsa_group_segment_fixed_size 0
		.amdhsa_private_segment_fixed_size 0
		.amdhsa_kernarg_size 72
		.amdhsa_user_sgpr_count 6
		.amdhsa_user_sgpr_private_segment_buffer 1
		.amdhsa_user_sgpr_dispatch_ptr 0
		.amdhsa_user_sgpr_queue_ptr 0
		.amdhsa_user_sgpr_kernarg_segment_ptr 1
		.amdhsa_user_sgpr_dispatch_id 0
		.amdhsa_user_sgpr_flat_scratch_init 0
		.amdhsa_user_sgpr_private_segment_size 0
		.amdhsa_wavefront_size32 1
		.amdhsa_uses_dynamic_stack 0
		.amdhsa_system_sgpr_private_segment_wavefront_offset 0
		.amdhsa_system_sgpr_workgroup_id_x 1
		.amdhsa_system_sgpr_workgroup_id_y 0
		.amdhsa_system_sgpr_workgroup_id_z 0
		.amdhsa_system_sgpr_workgroup_info 0
		.amdhsa_system_vgpr_workitem_id 0
		.amdhsa_next_free_vgpr 25
		.amdhsa_next_free_sgpr 14
		.amdhsa_reserve_vcc 1
		.amdhsa_reserve_flat_scratch 0
		.amdhsa_float_round_mode_32 0
		.amdhsa_float_round_mode_16_64 0
		.amdhsa_float_denorm_mode_32 3
		.amdhsa_float_denorm_mode_16_64 3
		.amdhsa_dx10_clamp 1
		.amdhsa_ieee_mode 1
		.amdhsa_fp16_overflow 0
		.amdhsa_workgroup_processor_mode 1
		.amdhsa_memory_ordered 1
		.amdhsa_forward_progress 1
		.amdhsa_shared_vgpr_count 0
		.amdhsa_exception_fp_ieee_invalid_op 0
		.amdhsa_exception_fp_denorm_src 0
		.amdhsa_exception_fp_ieee_div_zero 0
		.amdhsa_exception_fp_ieee_overflow 0
		.amdhsa_exception_fp_ieee_underflow 0
		.amdhsa_exception_fp_ieee_inexact 0
		.amdhsa_exception_int_div_zero 0
	.end_amdhsa_kernel
	.section	.text._ZN9rocsparseL19gebsrmvn_1xn_kernelILj128ELj8ELj32EfEEvi20rocsparse_direction_NS_24const_host_device_scalarIT2_EEPKiS6_PKS3_S8_S4_PS3_21rocsparse_index_base_b,"axG",@progbits,_ZN9rocsparseL19gebsrmvn_1xn_kernelILj128ELj8ELj32EfEEvi20rocsparse_direction_NS_24const_host_device_scalarIT2_EEPKiS6_PKS3_S8_S4_PS3_21rocsparse_index_base_b,comdat
.Lfunc_end33:
	.size	_ZN9rocsparseL19gebsrmvn_1xn_kernelILj128ELj8ELj32EfEEvi20rocsparse_direction_NS_24const_host_device_scalarIT2_EEPKiS6_PKS3_S8_S4_PS3_21rocsparse_index_base_b, .Lfunc_end33-_ZN9rocsparseL19gebsrmvn_1xn_kernelILj128ELj8ELj32EfEEvi20rocsparse_direction_NS_24const_host_device_scalarIT2_EEPKiS6_PKS3_S8_S4_PS3_21rocsparse_index_base_b
                                        ; -- End function
	.set _ZN9rocsparseL19gebsrmvn_1xn_kernelILj128ELj8ELj32EfEEvi20rocsparse_direction_NS_24const_host_device_scalarIT2_EEPKiS6_PKS3_S8_S4_PS3_21rocsparse_index_base_b.num_vgpr, 25
	.set _ZN9rocsparseL19gebsrmvn_1xn_kernelILj128ELj8ELj32EfEEvi20rocsparse_direction_NS_24const_host_device_scalarIT2_EEPKiS6_PKS3_S8_S4_PS3_21rocsparse_index_base_b.num_agpr, 0
	.set _ZN9rocsparseL19gebsrmvn_1xn_kernelILj128ELj8ELj32EfEEvi20rocsparse_direction_NS_24const_host_device_scalarIT2_EEPKiS6_PKS3_S8_S4_PS3_21rocsparse_index_base_b.numbered_sgpr, 14
	.set _ZN9rocsparseL19gebsrmvn_1xn_kernelILj128ELj8ELj32EfEEvi20rocsparse_direction_NS_24const_host_device_scalarIT2_EEPKiS6_PKS3_S8_S4_PS3_21rocsparse_index_base_b.num_named_barrier, 0
	.set _ZN9rocsparseL19gebsrmvn_1xn_kernelILj128ELj8ELj32EfEEvi20rocsparse_direction_NS_24const_host_device_scalarIT2_EEPKiS6_PKS3_S8_S4_PS3_21rocsparse_index_base_b.private_seg_size, 0
	.set _ZN9rocsparseL19gebsrmvn_1xn_kernelILj128ELj8ELj32EfEEvi20rocsparse_direction_NS_24const_host_device_scalarIT2_EEPKiS6_PKS3_S8_S4_PS3_21rocsparse_index_base_b.uses_vcc, 1
	.set _ZN9rocsparseL19gebsrmvn_1xn_kernelILj128ELj8ELj32EfEEvi20rocsparse_direction_NS_24const_host_device_scalarIT2_EEPKiS6_PKS3_S8_S4_PS3_21rocsparse_index_base_b.uses_flat_scratch, 0
	.set _ZN9rocsparseL19gebsrmvn_1xn_kernelILj128ELj8ELj32EfEEvi20rocsparse_direction_NS_24const_host_device_scalarIT2_EEPKiS6_PKS3_S8_S4_PS3_21rocsparse_index_base_b.has_dyn_sized_stack, 0
	.set _ZN9rocsparseL19gebsrmvn_1xn_kernelILj128ELj8ELj32EfEEvi20rocsparse_direction_NS_24const_host_device_scalarIT2_EEPKiS6_PKS3_S8_S4_PS3_21rocsparse_index_base_b.has_recursion, 0
	.set _ZN9rocsparseL19gebsrmvn_1xn_kernelILj128ELj8ELj32EfEEvi20rocsparse_direction_NS_24const_host_device_scalarIT2_EEPKiS6_PKS3_S8_S4_PS3_21rocsparse_index_base_b.has_indirect_call, 0
	.section	.AMDGPU.csdata,"",@progbits
; Kernel info:
; codeLenInByte = 828
; TotalNumSgprs: 16
; NumVgprs: 25
; ScratchSize: 0
; MemoryBound: 0
; FloatMode: 240
; IeeeMode: 1
; LDSByteSize: 0 bytes/workgroup (compile time only)
; SGPRBlocks: 0
; VGPRBlocks: 3
; NumSGPRsForWavesPerEU: 16
; NumVGPRsForWavesPerEU: 25
; Occupancy: 16
; WaveLimiterHint : 1
; COMPUTE_PGM_RSRC2:SCRATCH_EN: 0
; COMPUTE_PGM_RSRC2:USER_SGPR: 6
; COMPUTE_PGM_RSRC2:TRAP_HANDLER: 0
; COMPUTE_PGM_RSRC2:TGID_X_EN: 1
; COMPUTE_PGM_RSRC2:TGID_Y_EN: 0
; COMPUTE_PGM_RSRC2:TGID_Z_EN: 0
; COMPUTE_PGM_RSRC2:TIDIG_COMP_CNT: 0
	.section	.text._ZN9rocsparseL19gebsrmvn_1xn_kernelILj128ELj8ELj64EfEEvi20rocsparse_direction_NS_24const_host_device_scalarIT2_EEPKiS6_PKS3_S8_S4_PS3_21rocsparse_index_base_b,"axG",@progbits,_ZN9rocsparseL19gebsrmvn_1xn_kernelILj128ELj8ELj64EfEEvi20rocsparse_direction_NS_24const_host_device_scalarIT2_EEPKiS6_PKS3_S8_S4_PS3_21rocsparse_index_base_b,comdat
	.globl	_ZN9rocsparseL19gebsrmvn_1xn_kernelILj128ELj8ELj64EfEEvi20rocsparse_direction_NS_24const_host_device_scalarIT2_EEPKiS6_PKS3_S8_S4_PS3_21rocsparse_index_base_b ; -- Begin function _ZN9rocsparseL19gebsrmvn_1xn_kernelILj128ELj8ELj64EfEEvi20rocsparse_direction_NS_24const_host_device_scalarIT2_EEPKiS6_PKS3_S8_S4_PS3_21rocsparse_index_base_b
	.p2align	8
	.type	_ZN9rocsparseL19gebsrmvn_1xn_kernelILj128ELj8ELj64EfEEvi20rocsparse_direction_NS_24const_host_device_scalarIT2_EEPKiS6_PKS3_S8_S4_PS3_21rocsparse_index_base_b,@function
_ZN9rocsparseL19gebsrmvn_1xn_kernelILj128ELj8ELj64EfEEvi20rocsparse_direction_NS_24const_host_device_scalarIT2_EEPKiS6_PKS3_S8_S4_PS3_21rocsparse_index_base_b: ; @_ZN9rocsparseL19gebsrmvn_1xn_kernelILj128ELj8ELj64EfEEvi20rocsparse_direction_NS_24const_host_device_scalarIT2_EEPKiS6_PKS3_S8_S4_PS3_21rocsparse_index_base_b
; %bb.0:
	s_clause 0x2
	s_load_dwordx2 s[12:13], s[4:5], 0x40
	s_load_dwordx2 s[10:11], s[4:5], 0x8
	;; [unrolled: 1-line block ×3, first 2 shown]
	s_waitcnt lgkmcnt(0)
	s_bitcmp1_b32 s13, 0
	s_cselect_b32 s0, -1, 0
	s_and_b32 vcc_lo, exec_lo, s0
	s_xor_b32 s0, s0, -1
	s_cbranch_vccnz .LBB34_2
; %bb.1:
	s_load_dword s10, s[10:11], 0x0
.LBB34_2:
	s_andn2_b32 vcc_lo, exec_lo, s0
	s_cbranch_vccnz .LBB34_4
; %bb.3:
	s_load_dword s8, s[8:9], 0x0
.LBB34_4:
	s_waitcnt lgkmcnt(0)
	v_cmp_eq_f32_e64 s0, s10, 0
	v_cmp_eq_f32_e64 s1, s8, 1.0
	s_and_b32 s0, s0, s1
	s_and_b32 vcc_lo, exec_lo, s0
	s_cbranch_vccnz .LBB34_15
; %bb.5:
	s_load_dword s0, s[4:5], 0x0
	v_lshrrev_b32_e32 v1, 6, v0
	v_lshl_or_b32 v1, s6, 1, v1
	s_waitcnt lgkmcnt(0)
	v_cmp_gt_i32_e32 vcc_lo, s0, v1
	s_and_saveexec_b32 s0, vcc_lo
	s_cbranch_execz .LBB34_15
; %bb.6:
	s_clause 0x1
	s_load_dwordx2 s[0:1], s[4:5], 0x10
	s_load_dwordx2 s[6:7], s[4:5], 0x38
	v_ashrrev_i32_e32 v2, 31, v1
	v_and_b32_e32 v0, 63, v0
	v_mov_b32_e32 v7, 0
	s_mov_b32 s9, exec_lo
	v_lshlrev_b64 v[1:2], 2, v[1:2]
	v_subrev_nc_u32_e32 v5, s12, v0
	s_waitcnt lgkmcnt(0)
	v_add_co_u32 v3, vcc_lo, s0, v1
	v_add_co_ci_u32_e64 v4, null, s1, v2, vcc_lo
	global_load_dwordx2 v[3:4], v[3:4], off
	s_waitcnt vmcnt(0)
	v_subrev_nc_u32_e32 v8, s12, v4
	v_add_nc_u32_e32 v3, v3, v5
	v_cmpx_lt_i32_e64 v3, v8
	s_cbranch_execz .LBB34_10
; %bb.7:
	s_clause 0x1
	s_load_dwordx4 s[0:3], s[4:5], 0x18
	s_load_dwordx2 s[4:5], s[4:5], 0x28
	v_mov_b32_e32 v6, 0
	v_lshlrev_b32_e32 v5, 3, v3
	s_mov_b32 s11, 0
	v_mov_b32_e32 v7, v6
	s_inst_prefetch 0x1
	.p2align	6
.LBB34_8:                               ; =>This Inner Loop Header: Depth=1
	v_ashrrev_i32_e32 v4, 31, v3
	v_mov_b32_e32 v12, v6
	v_lshlrev_b64 v[9:10], 2, v[3:4]
	v_add_nc_u32_e32 v3, 64, v3
	s_waitcnt lgkmcnt(0)
	v_add_co_u32 v9, vcc_lo, s0, v9
	v_add_co_ci_u32_e64 v10, null, s1, v10, vcc_lo
	global_load_dword v4, v[9:10], off
	v_lshlrev_b64 v[9:10], 2, v[5:6]
	v_add_nc_u32_e32 v5, 0x200, v5
	v_add_co_u32 v13, vcc_lo, s2, v9
	v_add_co_ci_u32_e64 v14, null, s3, v10, vcc_lo
	s_waitcnt vmcnt(0)
	v_subrev_nc_u32_e32 v4, s12, v4
	v_lshlrev_b32_e32 v11, 3, v4
	v_lshlrev_b64 v[11:12], 2, v[11:12]
	v_add_co_u32 v21, vcc_lo, s4, v11
	v_add_co_ci_u32_e64 v22, null, s5, v12, vcc_lo
	v_cmp_ge_i32_e32 vcc_lo, v3, v8
	s_clause 0x1
	global_load_dwordx4 v[9:12], v[13:14], off offset:16
	global_load_dwordx4 v[13:16], v[13:14], off
	s_clause 0x1
	global_load_dwordx4 v[17:20], v[21:22], off
	global_load_dwordx4 v[21:24], v[21:22], off offset:16
	s_or_b32 s11, vcc_lo, s11
	s_waitcnt vmcnt(1)
	v_fmac_f32_e32 v7, v13, v17
	v_fmac_f32_e32 v7, v14, v18
	;; [unrolled: 1-line block ×4, first 2 shown]
	s_waitcnt vmcnt(0)
	v_fmac_f32_e32 v7, v9, v21
	v_fmac_f32_e32 v7, v10, v22
	;; [unrolled: 1-line block ×4, first 2 shown]
	s_andn2_b32 exec_lo, exec_lo, s11
	s_cbranch_execnz .LBB34_8
; %bb.9:
	s_inst_prefetch 0x2
	s_or_b32 exec_lo, exec_lo, s11
.LBB34_10:
	s_or_b32 exec_lo, exec_lo, s9
	v_mbcnt_lo_u32_b32 v3, -1, 0
	s_mov_b32 s0, -1
	v_or_b32_e32 v4, 32, v3
	v_xor_b32_e32 v5, 16, v3
	v_xor_b32_e32 v6, 8, v3
	v_cmp_gt_i32_e32 vcc_lo, 32, v4
	v_cndmask_b32_e32 v4, v3, v4, vcc_lo
	v_cmp_gt_i32_e32 vcc_lo, 32, v5
	v_lshlrev_b32_e32 v4, 2, v4
	v_cndmask_b32_e32 v5, v3, v5, vcc_lo
	v_cmp_gt_i32_e32 vcc_lo, 32, v6
	ds_bpermute_b32 v4, v4, v7
	v_lshlrev_b32_e32 v5, 2, v5
	v_cndmask_b32_e32 v6, v3, v6, vcc_lo
	v_lshlrev_b32_e32 v6, 2, v6
	s_waitcnt lgkmcnt(0)
	v_add_f32_e32 v4, v7, v4
	ds_bpermute_b32 v5, v5, v4
	s_waitcnt lgkmcnt(0)
	v_add_f32_e32 v4, v4, v5
	ds_bpermute_b32 v5, v6, v4
	v_xor_b32_e32 v6, 4, v3
	v_cmp_gt_i32_e32 vcc_lo, 32, v6
	v_cndmask_b32_e32 v6, v3, v6, vcc_lo
	v_lshlrev_b32_e32 v6, 2, v6
	s_waitcnt lgkmcnt(0)
	v_add_f32_e32 v4, v4, v5
	ds_bpermute_b32 v5, v6, v4
	v_xor_b32_e32 v6, 2, v3
	v_cmp_gt_i32_e32 vcc_lo, 32, v6
	v_cndmask_b32_e32 v6, v3, v6, vcc_lo
	v_lshlrev_b32_e32 v6, 2, v6
	s_waitcnt lgkmcnt(0)
	v_add_f32_e32 v4, v4, v5
	ds_bpermute_b32 v5, v6, v4
	v_xor_b32_e32 v6, 1, v3
	v_cmp_gt_i32_e32 vcc_lo, 32, v6
	v_cndmask_b32_e32 v6, v3, v6, vcc_lo
	v_cmp_eq_u32_e32 vcc_lo, 63, v0
	s_waitcnt lgkmcnt(0)
	v_add_f32_e32 v3, v4, v5
	v_lshlrev_b32_e32 v4, 2, v6
	ds_bpermute_b32 v4, v4, v3
	s_and_b32 exec_lo, exec_lo, vcc_lo
	s_cbranch_execz .LBB34_15
; %bb.11:
	s_waitcnt lgkmcnt(0)
	v_add_f32_e32 v0, v3, v4
	v_cmp_eq_f32_e64 s1, s8, 0
	v_mul_f32_e32 v0, s10, v0
	s_and_b32 vcc_lo, exec_lo, s1
	s_cbranch_vccz .LBB34_13
; %bb.12:
	v_add_co_u32 v3, vcc_lo, s6, v1
	v_add_co_ci_u32_e64 v4, null, s7, v2, vcc_lo
	s_mov_b32 s0, 0
	global_store_dword v[3:4], v0, off
.LBB34_13:
	s_andn2_b32 vcc_lo, exec_lo, s0
	s_cbranch_vccnz .LBB34_15
; %bb.14:
	v_add_co_u32 v1, vcc_lo, s6, v1
	v_add_co_ci_u32_e64 v2, null, s7, v2, vcc_lo
	global_load_dword v3, v[1:2], off
	s_waitcnt vmcnt(0)
	v_fmac_f32_e32 v0, s8, v3
	global_store_dword v[1:2], v0, off
.LBB34_15:
	s_endpgm
	.section	.rodata,"a",@progbits
	.p2align	6, 0x0
	.amdhsa_kernel _ZN9rocsparseL19gebsrmvn_1xn_kernelILj128ELj8ELj64EfEEvi20rocsparse_direction_NS_24const_host_device_scalarIT2_EEPKiS6_PKS3_S8_S4_PS3_21rocsparse_index_base_b
		.amdhsa_group_segment_fixed_size 0
		.amdhsa_private_segment_fixed_size 0
		.amdhsa_kernarg_size 72
		.amdhsa_user_sgpr_count 6
		.amdhsa_user_sgpr_private_segment_buffer 1
		.amdhsa_user_sgpr_dispatch_ptr 0
		.amdhsa_user_sgpr_queue_ptr 0
		.amdhsa_user_sgpr_kernarg_segment_ptr 1
		.amdhsa_user_sgpr_dispatch_id 0
		.amdhsa_user_sgpr_flat_scratch_init 0
		.amdhsa_user_sgpr_private_segment_size 0
		.amdhsa_wavefront_size32 1
		.amdhsa_uses_dynamic_stack 0
		.amdhsa_system_sgpr_private_segment_wavefront_offset 0
		.amdhsa_system_sgpr_workgroup_id_x 1
		.amdhsa_system_sgpr_workgroup_id_y 0
		.amdhsa_system_sgpr_workgroup_id_z 0
		.amdhsa_system_sgpr_workgroup_info 0
		.amdhsa_system_vgpr_workitem_id 0
		.amdhsa_next_free_vgpr 25
		.amdhsa_next_free_sgpr 14
		.amdhsa_reserve_vcc 1
		.amdhsa_reserve_flat_scratch 0
		.amdhsa_float_round_mode_32 0
		.amdhsa_float_round_mode_16_64 0
		.amdhsa_float_denorm_mode_32 3
		.amdhsa_float_denorm_mode_16_64 3
		.amdhsa_dx10_clamp 1
		.amdhsa_ieee_mode 1
		.amdhsa_fp16_overflow 0
		.amdhsa_workgroup_processor_mode 1
		.amdhsa_memory_ordered 1
		.amdhsa_forward_progress 1
		.amdhsa_shared_vgpr_count 0
		.amdhsa_exception_fp_ieee_invalid_op 0
		.amdhsa_exception_fp_denorm_src 0
		.amdhsa_exception_fp_ieee_div_zero 0
		.amdhsa_exception_fp_ieee_overflow 0
		.amdhsa_exception_fp_ieee_underflow 0
		.amdhsa_exception_fp_ieee_inexact 0
		.amdhsa_exception_int_div_zero 0
	.end_amdhsa_kernel
	.section	.text._ZN9rocsparseL19gebsrmvn_1xn_kernelILj128ELj8ELj64EfEEvi20rocsparse_direction_NS_24const_host_device_scalarIT2_EEPKiS6_PKS3_S8_S4_PS3_21rocsparse_index_base_b,"axG",@progbits,_ZN9rocsparseL19gebsrmvn_1xn_kernelILj128ELj8ELj64EfEEvi20rocsparse_direction_NS_24const_host_device_scalarIT2_EEPKiS6_PKS3_S8_S4_PS3_21rocsparse_index_base_b,comdat
.Lfunc_end34:
	.size	_ZN9rocsparseL19gebsrmvn_1xn_kernelILj128ELj8ELj64EfEEvi20rocsparse_direction_NS_24const_host_device_scalarIT2_EEPKiS6_PKS3_S8_S4_PS3_21rocsparse_index_base_b, .Lfunc_end34-_ZN9rocsparseL19gebsrmvn_1xn_kernelILj128ELj8ELj64EfEEvi20rocsparse_direction_NS_24const_host_device_scalarIT2_EEPKiS6_PKS3_S8_S4_PS3_21rocsparse_index_base_b
                                        ; -- End function
	.set _ZN9rocsparseL19gebsrmvn_1xn_kernelILj128ELj8ELj64EfEEvi20rocsparse_direction_NS_24const_host_device_scalarIT2_EEPKiS6_PKS3_S8_S4_PS3_21rocsparse_index_base_b.num_vgpr, 25
	.set _ZN9rocsparseL19gebsrmvn_1xn_kernelILj128ELj8ELj64EfEEvi20rocsparse_direction_NS_24const_host_device_scalarIT2_EEPKiS6_PKS3_S8_S4_PS3_21rocsparse_index_base_b.num_agpr, 0
	.set _ZN9rocsparseL19gebsrmvn_1xn_kernelILj128ELj8ELj64EfEEvi20rocsparse_direction_NS_24const_host_device_scalarIT2_EEPKiS6_PKS3_S8_S4_PS3_21rocsparse_index_base_b.numbered_sgpr, 14
	.set _ZN9rocsparseL19gebsrmvn_1xn_kernelILj128ELj8ELj64EfEEvi20rocsparse_direction_NS_24const_host_device_scalarIT2_EEPKiS6_PKS3_S8_S4_PS3_21rocsparse_index_base_b.num_named_barrier, 0
	.set _ZN9rocsparseL19gebsrmvn_1xn_kernelILj128ELj8ELj64EfEEvi20rocsparse_direction_NS_24const_host_device_scalarIT2_EEPKiS6_PKS3_S8_S4_PS3_21rocsparse_index_base_b.private_seg_size, 0
	.set _ZN9rocsparseL19gebsrmvn_1xn_kernelILj128ELj8ELj64EfEEvi20rocsparse_direction_NS_24const_host_device_scalarIT2_EEPKiS6_PKS3_S8_S4_PS3_21rocsparse_index_base_b.uses_vcc, 1
	.set _ZN9rocsparseL19gebsrmvn_1xn_kernelILj128ELj8ELj64EfEEvi20rocsparse_direction_NS_24const_host_device_scalarIT2_EEPKiS6_PKS3_S8_S4_PS3_21rocsparse_index_base_b.uses_flat_scratch, 0
	.set _ZN9rocsparseL19gebsrmvn_1xn_kernelILj128ELj8ELj64EfEEvi20rocsparse_direction_NS_24const_host_device_scalarIT2_EEPKiS6_PKS3_S8_S4_PS3_21rocsparse_index_base_b.has_dyn_sized_stack, 0
	.set _ZN9rocsparseL19gebsrmvn_1xn_kernelILj128ELj8ELj64EfEEvi20rocsparse_direction_NS_24const_host_device_scalarIT2_EEPKiS6_PKS3_S8_S4_PS3_21rocsparse_index_base_b.has_recursion, 0
	.set _ZN9rocsparseL19gebsrmvn_1xn_kernelILj128ELj8ELj64EfEEvi20rocsparse_direction_NS_24const_host_device_scalarIT2_EEPKiS6_PKS3_S8_S4_PS3_21rocsparse_index_base_b.has_indirect_call, 0
	.section	.AMDGPU.csdata,"",@progbits
; Kernel info:
; codeLenInByte = 860
; TotalNumSgprs: 16
; NumVgprs: 25
; ScratchSize: 0
; MemoryBound: 0
; FloatMode: 240
; IeeeMode: 1
; LDSByteSize: 0 bytes/workgroup (compile time only)
; SGPRBlocks: 0
; VGPRBlocks: 3
; NumSGPRsForWavesPerEU: 16
; NumVGPRsForWavesPerEU: 25
; Occupancy: 16
; WaveLimiterHint : 1
; COMPUTE_PGM_RSRC2:SCRATCH_EN: 0
; COMPUTE_PGM_RSRC2:USER_SGPR: 6
; COMPUTE_PGM_RSRC2:TRAP_HANDLER: 0
; COMPUTE_PGM_RSRC2:TGID_X_EN: 1
; COMPUTE_PGM_RSRC2:TGID_Y_EN: 0
; COMPUTE_PGM_RSRC2:TGID_Z_EN: 0
; COMPUTE_PGM_RSRC2:TIDIG_COMP_CNT: 0
	.section	.text._ZN9rocsparseL19gebsrmvn_1xn_kernelILj128ELj9ELj4EfEEvi20rocsparse_direction_NS_24const_host_device_scalarIT2_EEPKiS6_PKS3_S8_S4_PS3_21rocsparse_index_base_b,"axG",@progbits,_ZN9rocsparseL19gebsrmvn_1xn_kernelILj128ELj9ELj4EfEEvi20rocsparse_direction_NS_24const_host_device_scalarIT2_EEPKiS6_PKS3_S8_S4_PS3_21rocsparse_index_base_b,comdat
	.globl	_ZN9rocsparseL19gebsrmvn_1xn_kernelILj128ELj9ELj4EfEEvi20rocsparse_direction_NS_24const_host_device_scalarIT2_EEPKiS6_PKS3_S8_S4_PS3_21rocsparse_index_base_b ; -- Begin function _ZN9rocsparseL19gebsrmvn_1xn_kernelILj128ELj9ELj4EfEEvi20rocsparse_direction_NS_24const_host_device_scalarIT2_EEPKiS6_PKS3_S8_S4_PS3_21rocsparse_index_base_b
	.p2align	8
	.type	_ZN9rocsparseL19gebsrmvn_1xn_kernelILj128ELj9ELj4EfEEvi20rocsparse_direction_NS_24const_host_device_scalarIT2_EEPKiS6_PKS3_S8_S4_PS3_21rocsparse_index_base_b,@function
_ZN9rocsparseL19gebsrmvn_1xn_kernelILj128ELj9ELj4EfEEvi20rocsparse_direction_NS_24const_host_device_scalarIT2_EEPKiS6_PKS3_S8_S4_PS3_21rocsparse_index_base_b: ; @_ZN9rocsparseL19gebsrmvn_1xn_kernelILj128ELj9ELj4EfEEvi20rocsparse_direction_NS_24const_host_device_scalarIT2_EEPKiS6_PKS3_S8_S4_PS3_21rocsparse_index_base_b
; %bb.0:
	s_clause 0x2
	s_load_dwordx2 s[12:13], s[4:5], 0x40
	s_load_dwordx2 s[10:11], s[4:5], 0x8
	s_load_dwordx2 s[8:9], s[4:5], 0x30
	s_waitcnt lgkmcnt(0)
	s_bitcmp1_b32 s13, 0
	s_cselect_b32 s0, -1, 0
	s_and_b32 vcc_lo, exec_lo, s0
	s_xor_b32 s0, s0, -1
	s_cbranch_vccnz .LBB35_2
; %bb.1:
	s_load_dword s10, s[10:11], 0x0
.LBB35_2:
	s_andn2_b32 vcc_lo, exec_lo, s0
	s_cbranch_vccnz .LBB35_4
; %bb.3:
	s_load_dword s8, s[8:9], 0x0
.LBB35_4:
	s_waitcnt lgkmcnt(0)
	v_cmp_eq_f32_e64 s0, s10, 0
	v_cmp_eq_f32_e64 s1, s8, 1.0
	s_and_b32 s0, s0, s1
	s_and_b32 vcc_lo, exec_lo, s0
	s_cbranch_vccnz .LBB35_15
; %bb.5:
	s_load_dword s0, s[4:5], 0x0
	v_lshrrev_b32_e32 v1, 2, v0
	v_lshl_or_b32 v1, s6, 5, v1
	s_waitcnt lgkmcnt(0)
	v_cmp_gt_i32_e32 vcc_lo, s0, v1
	s_and_saveexec_b32 s0, vcc_lo
	s_cbranch_execz .LBB35_15
; %bb.6:
	s_clause 0x1
	s_load_dwordx2 s[0:1], s[4:5], 0x10
	s_load_dwordx2 s[6:7], s[4:5], 0x38
	v_ashrrev_i32_e32 v2, 31, v1
	v_and_b32_e32 v0, 3, v0
	v_mov_b32_e32 v9, 0
	s_mov_b32 s9, exec_lo
	v_lshlrev_b64 v[1:2], 2, v[1:2]
	v_subrev_nc_u32_e32 v5, s12, v0
	s_waitcnt lgkmcnt(0)
	v_add_co_u32 v3, vcc_lo, s0, v1
	v_add_co_ci_u32_e64 v4, null, s1, v2, vcc_lo
	global_load_dwordx2 v[3:4], v[3:4], off
	s_waitcnt vmcnt(0)
	v_subrev_nc_u32_e32 v10, s12, v4
	v_add_nc_u32_e32 v3, v3, v5
	v_cmpx_lt_i32_e64 v3, v10
	s_cbranch_execz .LBB35_10
; %bb.7:
	s_clause 0x1
	s_load_dwordx4 s[0:3], s[4:5], 0x18
	s_load_dwordx2 s[4:5], s[4:5], 0x28
	v_mad_u64_u32 v[5:6], null, v3, 9, 8
	v_mov_b32_e32 v8, 0
	v_mov_b32_e32 v9, 0
	s_mov_b32 s11, 0
.LBB35_8:                               ; =>This Inner Loop Header: Depth=1
	v_ashrrev_i32_e32 v4, 31, v3
	v_mov_b32_e32 v12, v8
	v_lshlrev_b64 v[6:7], 2, v[3:4]
	v_add_nc_u32_e32 v3, 4, v3
	s_waitcnt lgkmcnt(0)
	v_add_co_u32 v6, vcc_lo, s0, v6
	v_add_co_ci_u32_e64 v7, null, s1, v7, vcc_lo
	global_load_dword v4, v[6:7], off
	v_add_nc_u32_e32 v7, -8, v5
	v_mov_b32_e32 v6, v8
	v_lshlrev_b64 v[13:14], 2, v[7:8]
	v_add_nc_u32_e32 v7, -7, v5
	v_lshlrev_b64 v[15:16], 2, v[5:6]
	v_lshlrev_b64 v[6:7], 2, v[7:8]
	v_add_co_u32 v13, vcc_lo, s2, v13
	v_add_co_ci_u32_e64 v14, null, s3, v14, vcc_lo
	v_add_co_u32 v15, vcc_lo, s2, v15
	v_add_co_ci_u32_e64 v16, null, s3, v16, vcc_lo
	;; [unrolled: 2-line block ×3, first 2 shown]
	s_clause 0x1
	global_load_dword v21, v[13:14], off
	global_load_dword v22, v[6:7], off
	s_waitcnt vmcnt(2)
	v_subrev_nc_u32_e32 v4, s12, v4
	v_lshl_add_u32 v11, v4, 3, v4
	v_add_nc_u32_e32 v7, 1, v11
	v_lshlrev_b64 v[12:13], 2, v[11:12]
	v_lshlrev_b64 v[17:18], 2, v[7:8]
	v_add_nc_u32_e32 v7, -6, v5
	v_add_co_u32 v12, vcc_lo, s4, v12
	v_add_co_ci_u32_e64 v13, null, s5, v13, vcc_lo
	v_add_co_u32 v17, vcc_lo, s4, v17
	v_lshlrev_b64 v[19:20], 2, v[7:8]
	v_add_nc_u32_e32 v7, 2, v11
	v_add_co_ci_u32_e64 v18, null, s5, v18, vcc_lo
	s_clause 0x1
	global_load_dword v4, v[12:13], off
	global_load_dword v23, v[17:18], off
	v_lshlrev_b64 v[12:13], 2, v[7:8]
	v_add_nc_u32_e32 v7, -5, v5
	v_add_co_u32 v17, vcc_lo, s2, v19
	v_add_co_ci_u32_e64 v18, null, s3, v20, vcc_lo
	v_add_co_u32 v12, vcc_lo, s4, v12
	v_lshlrev_b64 v[19:20], 2, v[7:8]
	v_add_co_ci_u32_e64 v13, null, s5, v13, vcc_lo
	v_add_nc_u32_e32 v7, 3, v11
	global_load_dword v24, v[17:18], off
	global_load_dword v25, v[12:13], off
	v_add_co_u32 v12, vcc_lo, s2, v19
	v_add_co_ci_u32_e64 v13, null, s3, v20, vcc_lo
	global_load_dword v26, v[12:13], off
	v_lshlrev_b64 v[17:18], 2, v[7:8]
	v_add_nc_u32_e32 v7, -4, v5
	v_lshlrev_b64 v[19:20], 2, v[7:8]
	v_add_nc_u32_e32 v7, 4, v11
	v_add_co_u32 v17, vcc_lo, s4, v17
	v_add_co_ci_u32_e64 v18, null, s5, v18, vcc_lo
	v_lshlrev_b64 v[12:13], 2, v[7:8]
	v_add_nc_u32_e32 v7, -3, v5
	global_load_dword v27, v[17:18], off
	v_add_co_u32 v17, vcc_lo, s2, v19
	v_add_co_ci_u32_e64 v18, null, s3, v20, vcc_lo
	v_add_co_u32 v12, vcc_lo, s4, v12
	v_lshlrev_b64 v[19:20], 2, v[7:8]
	v_add_co_ci_u32_e64 v13, null, s5, v13, vcc_lo
	v_add_nc_u32_e32 v7, 5, v11
	global_load_dword v28, v[17:18], off
	global_load_dword v29, v[12:13], off
	v_add_co_u32 v12, vcc_lo, s2, v19
	v_add_co_ci_u32_e64 v13, null, s3, v20, vcc_lo
	global_load_dword v30, v[12:13], off
	v_lshlrev_b64 v[17:18], 2, v[7:8]
	v_add_nc_u32_e32 v7, -2, v5
	v_lshlrev_b64 v[19:20], 2, v[7:8]
	v_add_nc_u32_e32 v7, 6, v11
	v_add_co_u32 v17, vcc_lo, s4, v17
	v_add_co_ci_u32_e64 v18, null, s5, v18, vcc_lo
	v_lshlrev_b64 v[12:13], 2, v[7:8]
	v_add_nc_u32_e32 v7, -1, v5
	v_add_nc_u32_e32 v5, 36, v5
	global_load_dword v31, v[17:18], off
	v_add_co_u32 v17, vcc_lo, s2, v19
	v_add_co_ci_u32_e64 v18, null, s3, v20, vcc_lo
	v_lshlrev_b64 v[19:20], 2, v[7:8]
	v_add_nc_u32_e32 v7, 7, v11
	v_add_co_u32 v12, vcc_lo, s4, v12
	global_load_dword v32, v[17:18], off
	v_add_co_ci_u32_e64 v13, null, s5, v13, vcc_lo
	v_lshlrev_b64 v[17:18], 2, v[7:8]
	v_add_nc_u32_e32 v7, 8, v11
	v_add_co_u32 v11, vcc_lo, s2, v19
	global_load_dword v33, v[12:13], off
	v_add_co_ci_u32_e64 v12, null, s3, v20, vcc_lo
	v_lshlrev_b64 v[6:7], 2, v[7:8]
	v_add_co_u32 v13, vcc_lo, s4, v17
	v_add_co_ci_u32_e64 v14, null, s5, v18, vcc_lo
	global_load_dword v11, v[11:12], off
	global_load_dword v12, v[13:14], off
	v_add_co_u32 v6, vcc_lo, s4, v6
	v_add_co_ci_u32_e64 v7, null, s5, v7, vcc_lo
	global_load_dword v13, v[15:16], off
	global_load_dword v6, v[6:7], off
	v_cmp_ge_i32_e32 vcc_lo, v3, v10
	s_or_b32 s11, vcc_lo, s11
	s_waitcnt vmcnt(15)
	v_fmac_f32_e32 v9, v21, v4
	s_waitcnt vmcnt(14)
	v_fmac_f32_e32 v9, v22, v23
	;; [unrolled: 2-line block ×9, first 2 shown]
	s_andn2_b32 exec_lo, exec_lo, s11
	s_cbranch_execnz .LBB35_8
; %bb.9:
	s_or_b32 exec_lo, exec_lo, s11
.LBB35_10:
	s_or_b32 exec_lo, exec_lo, s9
	v_mbcnt_lo_u32_b32 v3, -1, 0
	s_mov_b32 s0, -1
	v_xor_b32_e32 v4, 2, v3
	v_xor_b32_e32 v5, 1, v3
	v_cmp_gt_i32_e32 vcc_lo, 32, v4
	v_cndmask_b32_e32 v4, v3, v4, vcc_lo
	v_cmp_gt_i32_e32 vcc_lo, 32, v5
	v_lshlrev_b32_e32 v4, 2, v4
	v_cndmask_b32_e32 v5, v3, v5, vcc_lo
	v_cmp_eq_u32_e32 vcc_lo, 3, v0
	ds_bpermute_b32 v4, v4, v9
	s_waitcnt lgkmcnt(0)
	v_add_f32_e32 v3, v9, v4
	v_lshlrev_b32_e32 v4, 2, v5
	ds_bpermute_b32 v4, v4, v3
	s_and_b32 exec_lo, exec_lo, vcc_lo
	s_cbranch_execz .LBB35_15
; %bb.11:
	s_waitcnt lgkmcnt(0)
	v_add_f32_e32 v0, v3, v4
	v_cmp_eq_f32_e64 s1, s8, 0
	v_mul_f32_e32 v0, s10, v0
	s_and_b32 vcc_lo, exec_lo, s1
	s_cbranch_vccz .LBB35_13
; %bb.12:
	v_add_co_u32 v3, vcc_lo, s6, v1
	v_add_co_ci_u32_e64 v4, null, s7, v2, vcc_lo
	s_mov_b32 s0, 0
	global_store_dword v[3:4], v0, off
.LBB35_13:
	s_andn2_b32 vcc_lo, exec_lo, s0
	s_cbranch_vccnz .LBB35_15
; %bb.14:
	v_add_co_u32 v1, vcc_lo, s6, v1
	v_add_co_ci_u32_e64 v2, null, s7, v2, vcc_lo
	global_load_dword v3, v[1:2], off
	s_waitcnt vmcnt(0)
	v_fmac_f32_e32 v0, s8, v3
	global_store_dword v[1:2], v0, off
.LBB35_15:
	s_endpgm
	.section	.rodata,"a",@progbits
	.p2align	6, 0x0
	.amdhsa_kernel _ZN9rocsparseL19gebsrmvn_1xn_kernelILj128ELj9ELj4EfEEvi20rocsparse_direction_NS_24const_host_device_scalarIT2_EEPKiS6_PKS3_S8_S4_PS3_21rocsparse_index_base_b
		.amdhsa_group_segment_fixed_size 0
		.amdhsa_private_segment_fixed_size 0
		.amdhsa_kernarg_size 72
		.amdhsa_user_sgpr_count 6
		.amdhsa_user_sgpr_private_segment_buffer 1
		.amdhsa_user_sgpr_dispatch_ptr 0
		.amdhsa_user_sgpr_queue_ptr 0
		.amdhsa_user_sgpr_kernarg_segment_ptr 1
		.amdhsa_user_sgpr_dispatch_id 0
		.amdhsa_user_sgpr_flat_scratch_init 0
		.amdhsa_user_sgpr_private_segment_size 0
		.amdhsa_wavefront_size32 1
		.amdhsa_uses_dynamic_stack 0
		.amdhsa_system_sgpr_private_segment_wavefront_offset 0
		.amdhsa_system_sgpr_workgroup_id_x 1
		.amdhsa_system_sgpr_workgroup_id_y 0
		.amdhsa_system_sgpr_workgroup_id_z 0
		.amdhsa_system_sgpr_workgroup_info 0
		.amdhsa_system_vgpr_workitem_id 0
		.amdhsa_next_free_vgpr 34
		.amdhsa_next_free_sgpr 14
		.amdhsa_reserve_vcc 1
		.amdhsa_reserve_flat_scratch 0
		.amdhsa_float_round_mode_32 0
		.amdhsa_float_round_mode_16_64 0
		.amdhsa_float_denorm_mode_32 3
		.amdhsa_float_denorm_mode_16_64 3
		.amdhsa_dx10_clamp 1
		.amdhsa_ieee_mode 1
		.amdhsa_fp16_overflow 0
		.amdhsa_workgroup_processor_mode 1
		.amdhsa_memory_ordered 1
		.amdhsa_forward_progress 1
		.amdhsa_shared_vgpr_count 0
		.amdhsa_exception_fp_ieee_invalid_op 0
		.amdhsa_exception_fp_denorm_src 0
		.amdhsa_exception_fp_ieee_div_zero 0
		.amdhsa_exception_fp_ieee_overflow 0
		.amdhsa_exception_fp_ieee_underflow 0
		.amdhsa_exception_fp_ieee_inexact 0
		.amdhsa_exception_int_div_zero 0
	.end_amdhsa_kernel
	.section	.text._ZN9rocsparseL19gebsrmvn_1xn_kernelILj128ELj9ELj4EfEEvi20rocsparse_direction_NS_24const_host_device_scalarIT2_EEPKiS6_PKS3_S8_S4_PS3_21rocsparse_index_base_b,"axG",@progbits,_ZN9rocsparseL19gebsrmvn_1xn_kernelILj128ELj9ELj4EfEEvi20rocsparse_direction_NS_24const_host_device_scalarIT2_EEPKiS6_PKS3_S8_S4_PS3_21rocsparse_index_base_b,comdat
.Lfunc_end35:
	.size	_ZN9rocsparseL19gebsrmvn_1xn_kernelILj128ELj9ELj4EfEEvi20rocsparse_direction_NS_24const_host_device_scalarIT2_EEPKiS6_PKS3_S8_S4_PS3_21rocsparse_index_base_b, .Lfunc_end35-_ZN9rocsparseL19gebsrmvn_1xn_kernelILj128ELj9ELj4EfEEvi20rocsparse_direction_NS_24const_host_device_scalarIT2_EEPKiS6_PKS3_S8_S4_PS3_21rocsparse_index_base_b
                                        ; -- End function
	.set _ZN9rocsparseL19gebsrmvn_1xn_kernelILj128ELj9ELj4EfEEvi20rocsparse_direction_NS_24const_host_device_scalarIT2_EEPKiS6_PKS3_S8_S4_PS3_21rocsparse_index_base_b.num_vgpr, 34
	.set _ZN9rocsparseL19gebsrmvn_1xn_kernelILj128ELj9ELj4EfEEvi20rocsparse_direction_NS_24const_host_device_scalarIT2_EEPKiS6_PKS3_S8_S4_PS3_21rocsparse_index_base_b.num_agpr, 0
	.set _ZN9rocsparseL19gebsrmvn_1xn_kernelILj128ELj9ELj4EfEEvi20rocsparse_direction_NS_24const_host_device_scalarIT2_EEPKiS6_PKS3_S8_S4_PS3_21rocsparse_index_base_b.numbered_sgpr, 14
	.set _ZN9rocsparseL19gebsrmvn_1xn_kernelILj128ELj9ELj4EfEEvi20rocsparse_direction_NS_24const_host_device_scalarIT2_EEPKiS6_PKS3_S8_S4_PS3_21rocsparse_index_base_b.num_named_barrier, 0
	.set _ZN9rocsparseL19gebsrmvn_1xn_kernelILj128ELj9ELj4EfEEvi20rocsparse_direction_NS_24const_host_device_scalarIT2_EEPKiS6_PKS3_S8_S4_PS3_21rocsparse_index_base_b.private_seg_size, 0
	.set _ZN9rocsparseL19gebsrmvn_1xn_kernelILj128ELj9ELj4EfEEvi20rocsparse_direction_NS_24const_host_device_scalarIT2_EEPKiS6_PKS3_S8_S4_PS3_21rocsparse_index_base_b.uses_vcc, 1
	.set _ZN9rocsparseL19gebsrmvn_1xn_kernelILj128ELj9ELj4EfEEvi20rocsparse_direction_NS_24const_host_device_scalarIT2_EEPKiS6_PKS3_S8_S4_PS3_21rocsparse_index_base_b.uses_flat_scratch, 0
	.set _ZN9rocsparseL19gebsrmvn_1xn_kernelILj128ELj9ELj4EfEEvi20rocsparse_direction_NS_24const_host_device_scalarIT2_EEPKiS6_PKS3_S8_S4_PS3_21rocsparse_index_base_b.has_dyn_sized_stack, 0
	.set _ZN9rocsparseL19gebsrmvn_1xn_kernelILj128ELj9ELj4EfEEvi20rocsparse_direction_NS_24const_host_device_scalarIT2_EEPKiS6_PKS3_S8_S4_PS3_21rocsparse_index_base_b.has_recursion, 0
	.set _ZN9rocsparseL19gebsrmvn_1xn_kernelILj128ELj9ELj4EfEEvi20rocsparse_direction_NS_24const_host_device_scalarIT2_EEPKiS6_PKS3_S8_S4_PS3_21rocsparse_index_base_b.has_indirect_call, 0
	.section	.AMDGPU.csdata,"",@progbits
; Kernel info:
; codeLenInByte = 1288
; TotalNumSgprs: 16
; NumVgprs: 34
; ScratchSize: 0
; MemoryBound: 0
; FloatMode: 240
; IeeeMode: 1
; LDSByteSize: 0 bytes/workgroup (compile time only)
; SGPRBlocks: 0
; VGPRBlocks: 4
; NumSGPRsForWavesPerEU: 16
; NumVGPRsForWavesPerEU: 34
; Occupancy: 16
; WaveLimiterHint : 1
; COMPUTE_PGM_RSRC2:SCRATCH_EN: 0
; COMPUTE_PGM_RSRC2:USER_SGPR: 6
; COMPUTE_PGM_RSRC2:TRAP_HANDLER: 0
; COMPUTE_PGM_RSRC2:TGID_X_EN: 1
; COMPUTE_PGM_RSRC2:TGID_Y_EN: 0
; COMPUTE_PGM_RSRC2:TGID_Z_EN: 0
; COMPUTE_PGM_RSRC2:TIDIG_COMP_CNT: 0
	.section	.text._ZN9rocsparseL19gebsrmvn_1xn_kernelILj128ELj9ELj8EfEEvi20rocsparse_direction_NS_24const_host_device_scalarIT2_EEPKiS6_PKS3_S8_S4_PS3_21rocsparse_index_base_b,"axG",@progbits,_ZN9rocsparseL19gebsrmvn_1xn_kernelILj128ELj9ELj8EfEEvi20rocsparse_direction_NS_24const_host_device_scalarIT2_EEPKiS6_PKS3_S8_S4_PS3_21rocsparse_index_base_b,comdat
	.globl	_ZN9rocsparseL19gebsrmvn_1xn_kernelILj128ELj9ELj8EfEEvi20rocsparse_direction_NS_24const_host_device_scalarIT2_EEPKiS6_PKS3_S8_S4_PS3_21rocsparse_index_base_b ; -- Begin function _ZN9rocsparseL19gebsrmvn_1xn_kernelILj128ELj9ELj8EfEEvi20rocsparse_direction_NS_24const_host_device_scalarIT2_EEPKiS6_PKS3_S8_S4_PS3_21rocsparse_index_base_b
	.p2align	8
	.type	_ZN9rocsparseL19gebsrmvn_1xn_kernelILj128ELj9ELj8EfEEvi20rocsparse_direction_NS_24const_host_device_scalarIT2_EEPKiS6_PKS3_S8_S4_PS3_21rocsparse_index_base_b,@function
_ZN9rocsparseL19gebsrmvn_1xn_kernelILj128ELj9ELj8EfEEvi20rocsparse_direction_NS_24const_host_device_scalarIT2_EEPKiS6_PKS3_S8_S4_PS3_21rocsparse_index_base_b: ; @_ZN9rocsparseL19gebsrmvn_1xn_kernelILj128ELj9ELj8EfEEvi20rocsparse_direction_NS_24const_host_device_scalarIT2_EEPKiS6_PKS3_S8_S4_PS3_21rocsparse_index_base_b
; %bb.0:
	s_clause 0x2
	s_load_dwordx2 s[12:13], s[4:5], 0x40
	s_load_dwordx2 s[10:11], s[4:5], 0x8
	;; [unrolled: 1-line block ×3, first 2 shown]
	s_waitcnt lgkmcnt(0)
	s_bitcmp1_b32 s13, 0
	s_cselect_b32 s0, -1, 0
	s_and_b32 vcc_lo, exec_lo, s0
	s_xor_b32 s0, s0, -1
	s_cbranch_vccnz .LBB36_2
; %bb.1:
	s_load_dword s10, s[10:11], 0x0
.LBB36_2:
	s_andn2_b32 vcc_lo, exec_lo, s0
	s_cbranch_vccnz .LBB36_4
; %bb.3:
	s_load_dword s8, s[8:9], 0x0
.LBB36_4:
	s_waitcnt lgkmcnt(0)
	v_cmp_eq_f32_e64 s0, s10, 0
	v_cmp_eq_f32_e64 s1, s8, 1.0
	s_and_b32 s0, s0, s1
	s_and_b32 vcc_lo, exec_lo, s0
	s_cbranch_vccnz .LBB36_15
; %bb.5:
	s_load_dword s0, s[4:5], 0x0
	v_lshrrev_b32_e32 v1, 3, v0
	v_lshl_or_b32 v1, s6, 4, v1
	s_waitcnt lgkmcnt(0)
	v_cmp_gt_i32_e32 vcc_lo, s0, v1
	s_and_saveexec_b32 s0, vcc_lo
	s_cbranch_execz .LBB36_15
; %bb.6:
	s_clause 0x1
	s_load_dwordx2 s[0:1], s[4:5], 0x10
	s_load_dwordx2 s[6:7], s[4:5], 0x38
	v_ashrrev_i32_e32 v2, 31, v1
	v_and_b32_e32 v0, 7, v0
	v_mov_b32_e32 v9, 0
	s_mov_b32 s9, exec_lo
	v_lshlrev_b64 v[1:2], 2, v[1:2]
	v_subrev_nc_u32_e32 v5, s12, v0
	s_waitcnt lgkmcnt(0)
	v_add_co_u32 v3, vcc_lo, s0, v1
	v_add_co_ci_u32_e64 v4, null, s1, v2, vcc_lo
	global_load_dwordx2 v[3:4], v[3:4], off
	s_waitcnt vmcnt(0)
	v_subrev_nc_u32_e32 v10, s12, v4
	v_add_nc_u32_e32 v3, v3, v5
	v_cmpx_lt_i32_e64 v3, v10
	s_cbranch_execz .LBB36_10
; %bb.7:
	s_clause 0x1
	s_load_dwordx4 s[0:3], s[4:5], 0x18
	s_load_dwordx2 s[4:5], s[4:5], 0x28
	v_mad_u64_u32 v[5:6], null, v3, 9, 8
	v_mov_b32_e32 v8, 0
	v_mov_b32_e32 v9, 0
	s_mov_b32 s11, 0
.LBB36_8:                               ; =>This Inner Loop Header: Depth=1
	v_ashrrev_i32_e32 v4, 31, v3
	v_mov_b32_e32 v12, v8
	v_lshlrev_b64 v[6:7], 2, v[3:4]
	v_add_nc_u32_e32 v3, 8, v3
	s_waitcnt lgkmcnt(0)
	v_add_co_u32 v6, vcc_lo, s0, v6
	v_add_co_ci_u32_e64 v7, null, s1, v7, vcc_lo
	global_load_dword v4, v[6:7], off
	v_add_nc_u32_e32 v7, -8, v5
	v_mov_b32_e32 v6, v8
	v_lshlrev_b64 v[13:14], 2, v[7:8]
	v_add_nc_u32_e32 v7, -7, v5
	v_lshlrev_b64 v[15:16], 2, v[5:6]
	v_lshlrev_b64 v[6:7], 2, v[7:8]
	v_add_co_u32 v13, vcc_lo, s2, v13
	v_add_co_ci_u32_e64 v14, null, s3, v14, vcc_lo
	v_add_co_u32 v15, vcc_lo, s2, v15
	v_add_co_ci_u32_e64 v16, null, s3, v16, vcc_lo
	;; [unrolled: 2-line block ×3, first 2 shown]
	s_clause 0x1
	global_load_dword v21, v[13:14], off
	global_load_dword v22, v[6:7], off
	s_waitcnt vmcnt(2)
	v_subrev_nc_u32_e32 v4, s12, v4
	v_lshl_add_u32 v11, v4, 3, v4
	v_add_nc_u32_e32 v7, 1, v11
	v_lshlrev_b64 v[12:13], 2, v[11:12]
	v_lshlrev_b64 v[17:18], 2, v[7:8]
	v_add_nc_u32_e32 v7, -6, v5
	v_add_co_u32 v12, vcc_lo, s4, v12
	v_add_co_ci_u32_e64 v13, null, s5, v13, vcc_lo
	v_add_co_u32 v17, vcc_lo, s4, v17
	v_lshlrev_b64 v[19:20], 2, v[7:8]
	v_add_nc_u32_e32 v7, 2, v11
	v_add_co_ci_u32_e64 v18, null, s5, v18, vcc_lo
	s_clause 0x1
	global_load_dword v4, v[12:13], off
	global_load_dword v23, v[17:18], off
	v_lshlrev_b64 v[12:13], 2, v[7:8]
	v_add_nc_u32_e32 v7, -5, v5
	v_add_co_u32 v17, vcc_lo, s2, v19
	v_add_co_ci_u32_e64 v18, null, s3, v20, vcc_lo
	v_add_co_u32 v12, vcc_lo, s4, v12
	v_lshlrev_b64 v[19:20], 2, v[7:8]
	v_add_co_ci_u32_e64 v13, null, s5, v13, vcc_lo
	v_add_nc_u32_e32 v7, 3, v11
	global_load_dword v24, v[17:18], off
	global_load_dword v25, v[12:13], off
	v_add_co_u32 v12, vcc_lo, s2, v19
	v_add_co_ci_u32_e64 v13, null, s3, v20, vcc_lo
	global_load_dword v26, v[12:13], off
	v_lshlrev_b64 v[17:18], 2, v[7:8]
	v_add_nc_u32_e32 v7, -4, v5
	v_lshlrev_b64 v[19:20], 2, v[7:8]
	v_add_nc_u32_e32 v7, 4, v11
	v_add_co_u32 v17, vcc_lo, s4, v17
	v_add_co_ci_u32_e64 v18, null, s5, v18, vcc_lo
	v_lshlrev_b64 v[12:13], 2, v[7:8]
	v_add_nc_u32_e32 v7, -3, v5
	global_load_dword v27, v[17:18], off
	v_add_co_u32 v17, vcc_lo, s2, v19
	v_add_co_ci_u32_e64 v18, null, s3, v20, vcc_lo
	v_add_co_u32 v12, vcc_lo, s4, v12
	v_lshlrev_b64 v[19:20], 2, v[7:8]
	v_add_co_ci_u32_e64 v13, null, s5, v13, vcc_lo
	v_add_nc_u32_e32 v7, 5, v11
	global_load_dword v28, v[17:18], off
	global_load_dword v29, v[12:13], off
	v_add_co_u32 v12, vcc_lo, s2, v19
	v_add_co_ci_u32_e64 v13, null, s3, v20, vcc_lo
	global_load_dword v30, v[12:13], off
	v_lshlrev_b64 v[17:18], 2, v[7:8]
	v_add_nc_u32_e32 v7, -2, v5
	v_lshlrev_b64 v[19:20], 2, v[7:8]
	v_add_nc_u32_e32 v7, 6, v11
	v_add_co_u32 v17, vcc_lo, s4, v17
	v_add_co_ci_u32_e64 v18, null, s5, v18, vcc_lo
	v_lshlrev_b64 v[12:13], 2, v[7:8]
	v_add_nc_u32_e32 v7, -1, v5
	v_add_nc_u32_e32 v5, 0x48, v5
	global_load_dword v31, v[17:18], off
	v_add_co_u32 v17, vcc_lo, s2, v19
	v_add_co_ci_u32_e64 v18, null, s3, v20, vcc_lo
	v_lshlrev_b64 v[19:20], 2, v[7:8]
	v_add_nc_u32_e32 v7, 7, v11
	v_add_co_u32 v12, vcc_lo, s4, v12
	global_load_dword v32, v[17:18], off
	v_add_co_ci_u32_e64 v13, null, s5, v13, vcc_lo
	v_lshlrev_b64 v[17:18], 2, v[7:8]
	v_add_nc_u32_e32 v7, 8, v11
	v_add_co_u32 v11, vcc_lo, s2, v19
	global_load_dword v33, v[12:13], off
	v_add_co_ci_u32_e64 v12, null, s3, v20, vcc_lo
	v_lshlrev_b64 v[6:7], 2, v[7:8]
	v_add_co_u32 v13, vcc_lo, s4, v17
	v_add_co_ci_u32_e64 v14, null, s5, v18, vcc_lo
	global_load_dword v11, v[11:12], off
	global_load_dword v12, v[13:14], off
	v_add_co_u32 v6, vcc_lo, s4, v6
	v_add_co_ci_u32_e64 v7, null, s5, v7, vcc_lo
	global_load_dword v13, v[15:16], off
	global_load_dword v6, v[6:7], off
	v_cmp_ge_i32_e32 vcc_lo, v3, v10
	s_or_b32 s11, vcc_lo, s11
	s_waitcnt vmcnt(15)
	v_fmac_f32_e32 v9, v21, v4
	s_waitcnt vmcnt(14)
	v_fmac_f32_e32 v9, v22, v23
	;; [unrolled: 2-line block ×9, first 2 shown]
	s_andn2_b32 exec_lo, exec_lo, s11
	s_cbranch_execnz .LBB36_8
; %bb.9:
	s_or_b32 exec_lo, exec_lo, s11
.LBB36_10:
	s_or_b32 exec_lo, exec_lo, s9
	v_mbcnt_lo_u32_b32 v3, -1, 0
	s_mov_b32 s0, -1
	v_xor_b32_e32 v4, 4, v3
	v_xor_b32_e32 v5, 2, v3
	;; [unrolled: 1-line block ×3, first 2 shown]
	v_cmp_gt_i32_e32 vcc_lo, 32, v4
	v_cndmask_b32_e32 v4, v3, v4, vcc_lo
	v_cmp_gt_i32_e32 vcc_lo, 32, v5
	v_lshlrev_b32_e32 v4, 2, v4
	v_cndmask_b32_e32 v5, v3, v5, vcc_lo
	v_cmp_gt_i32_e32 vcc_lo, 32, v6
	ds_bpermute_b32 v4, v4, v9
	v_lshlrev_b32_e32 v5, 2, v5
	v_cndmask_b32_e32 v6, v3, v6, vcc_lo
	v_cmp_eq_u32_e32 vcc_lo, 7, v0
	s_waitcnt lgkmcnt(0)
	v_add_f32_e32 v4, v9, v4
	ds_bpermute_b32 v5, v5, v4
	s_waitcnt lgkmcnt(0)
	v_add_f32_e32 v3, v4, v5
	v_lshlrev_b32_e32 v4, 2, v6
	ds_bpermute_b32 v4, v4, v3
	s_and_b32 exec_lo, exec_lo, vcc_lo
	s_cbranch_execz .LBB36_15
; %bb.11:
	s_waitcnt lgkmcnt(0)
	v_add_f32_e32 v0, v3, v4
	v_cmp_eq_f32_e64 s1, s8, 0
	v_mul_f32_e32 v0, s10, v0
	s_and_b32 vcc_lo, exec_lo, s1
	s_cbranch_vccz .LBB36_13
; %bb.12:
	v_add_co_u32 v3, vcc_lo, s6, v1
	v_add_co_ci_u32_e64 v4, null, s7, v2, vcc_lo
	s_mov_b32 s0, 0
	global_store_dword v[3:4], v0, off
.LBB36_13:
	s_andn2_b32 vcc_lo, exec_lo, s0
	s_cbranch_vccnz .LBB36_15
; %bb.14:
	v_add_co_u32 v1, vcc_lo, s6, v1
	v_add_co_ci_u32_e64 v2, null, s7, v2, vcc_lo
	global_load_dword v3, v[1:2], off
	s_waitcnt vmcnt(0)
	v_fmac_f32_e32 v0, s8, v3
	global_store_dword v[1:2], v0, off
.LBB36_15:
	s_endpgm
	.section	.rodata,"a",@progbits
	.p2align	6, 0x0
	.amdhsa_kernel _ZN9rocsparseL19gebsrmvn_1xn_kernelILj128ELj9ELj8EfEEvi20rocsparse_direction_NS_24const_host_device_scalarIT2_EEPKiS6_PKS3_S8_S4_PS3_21rocsparse_index_base_b
		.amdhsa_group_segment_fixed_size 0
		.amdhsa_private_segment_fixed_size 0
		.amdhsa_kernarg_size 72
		.amdhsa_user_sgpr_count 6
		.amdhsa_user_sgpr_private_segment_buffer 1
		.amdhsa_user_sgpr_dispatch_ptr 0
		.amdhsa_user_sgpr_queue_ptr 0
		.amdhsa_user_sgpr_kernarg_segment_ptr 1
		.amdhsa_user_sgpr_dispatch_id 0
		.amdhsa_user_sgpr_flat_scratch_init 0
		.amdhsa_user_sgpr_private_segment_size 0
		.amdhsa_wavefront_size32 1
		.amdhsa_uses_dynamic_stack 0
		.amdhsa_system_sgpr_private_segment_wavefront_offset 0
		.amdhsa_system_sgpr_workgroup_id_x 1
		.amdhsa_system_sgpr_workgroup_id_y 0
		.amdhsa_system_sgpr_workgroup_id_z 0
		.amdhsa_system_sgpr_workgroup_info 0
		.amdhsa_system_vgpr_workitem_id 0
		.amdhsa_next_free_vgpr 34
		.amdhsa_next_free_sgpr 14
		.amdhsa_reserve_vcc 1
		.amdhsa_reserve_flat_scratch 0
		.amdhsa_float_round_mode_32 0
		.amdhsa_float_round_mode_16_64 0
		.amdhsa_float_denorm_mode_32 3
		.amdhsa_float_denorm_mode_16_64 3
		.amdhsa_dx10_clamp 1
		.amdhsa_ieee_mode 1
		.amdhsa_fp16_overflow 0
		.amdhsa_workgroup_processor_mode 1
		.amdhsa_memory_ordered 1
		.amdhsa_forward_progress 1
		.amdhsa_shared_vgpr_count 0
		.amdhsa_exception_fp_ieee_invalid_op 0
		.amdhsa_exception_fp_denorm_src 0
		.amdhsa_exception_fp_ieee_div_zero 0
		.amdhsa_exception_fp_ieee_overflow 0
		.amdhsa_exception_fp_ieee_underflow 0
		.amdhsa_exception_fp_ieee_inexact 0
		.amdhsa_exception_int_div_zero 0
	.end_amdhsa_kernel
	.section	.text._ZN9rocsparseL19gebsrmvn_1xn_kernelILj128ELj9ELj8EfEEvi20rocsparse_direction_NS_24const_host_device_scalarIT2_EEPKiS6_PKS3_S8_S4_PS3_21rocsparse_index_base_b,"axG",@progbits,_ZN9rocsparseL19gebsrmvn_1xn_kernelILj128ELj9ELj8EfEEvi20rocsparse_direction_NS_24const_host_device_scalarIT2_EEPKiS6_PKS3_S8_S4_PS3_21rocsparse_index_base_b,comdat
.Lfunc_end36:
	.size	_ZN9rocsparseL19gebsrmvn_1xn_kernelILj128ELj9ELj8EfEEvi20rocsparse_direction_NS_24const_host_device_scalarIT2_EEPKiS6_PKS3_S8_S4_PS3_21rocsparse_index_base_b, .Lfunc_end36-_ZN9rocsparseL19gebsrmvn_1xn_kernelILj128ELj9ELj8EfEEvi20rocsparse_direction_NS_24const_host_device_scalarIT2_EEPKiS6_PKS3_S8_S4_PS3_21rocsparse_index_base_b
                                        ; -- End function
	.set _ZN9rocsparseL19gebsrmvn_1xn_kernelILj128ELj9ELj8EfEEvi20rocsparse_direction_NS_24const_host_device_scalarIT2_EEPKiS6_PKS3_S8_S4_PS3_21rocsparse_index_base_b.num_vgpr, 34
	.set _ZN9rocsparseL19gebsrmvn_1xn_kernelILj128ELj9ELj8EfEEvi20rocsparse_direction_NS_24const_host_device_scalarIT2_EEPKiS6_PKS3_S8_S4_PS3_21rocsparse_index_base_b.num_agpr, 0
	.set _ZN9rocsparseL19gebsrmvn_1xn_kernelILj128ELj9ELj8EfEEvi20rocsparse_direction_NS_24const_host_device_scalarIT2_EEPKiS6_PKS3_S8_S4_PS3_21rocsparse_index_base_b.numbered_sgpr, 14
	.set _ZN9rocsparseL19gebsrmvn_1xn_kernelILj128ELj9ELj8EfEEvi20rocsparse_direction_NS_24const_host_device_scalarIT2_EEPKiS6_PKS3_S8_S4_PS3_21rocsparse_index_base_b.num_named_barrier, 0
	.set _ZN9rocsparseL19gebsrmvn_1xn_kernelILj128ELj9ELj8EfEEvi20rocsparse_direction_NS_24const_host_device_scalarIT2_EEPKiS6_PKS3_S8_S4_PS3_21rocsparse_index_base_b.private_seg_size, 0
	.set _ZN9rocsparseL19gebsrmvn_1xn_kernelILj128ELj9ELj8EfEEvi20rocsparse_direction_NS_24const_host_device_scalarIT2_EEPKiS6_PKS3_S8_S4_PS3_21rocsparse_index_base_b.uses_vcc, 1
	.set _ZN9rocsparseL19gebsrmvn_1xn_kernelILj128ELj9ELj8EfEEvi20rocsparse_direction_NS_24const_host_device_scalarIT2_EEPKiS6_PKS3_S8_S4_PS3_21rocsparse_index_base_b.uses_flat_scratch, 0
	.set _ZN9rocsparseL19gebsrmvn_1xn_kernelILj128ELj9ELj8EfEEvi20rocsparse_direction_NS_24const_host_device_scalarIT2_EEPKiS6_PKS3_S8_S4_PS3_21rocsparse_index_base_b.has_dyn_sized_stack, 0
	.set _ZN9rocsparseL19gebsrmvn_1xn_kernelILj128ELj9ELj8EfEEvi20rocsparse_direction_NS_24const_host_device_scalarIT2_EEPKiS6_PKS3_S8_S4_PS3_21rocsparse_index_base_b.has_recursion, 0
	.set _ZN9rocsparseL19gebsrmvn_1xn_kernelILj128ELj9ELj8EfEEvi20rocsparse_direction_NS_24const_host_device_scalarIT2_EEPKiS6_PKS3_S8_S4_PS3_21rocsparse_index_base_b.has_indirect_call, 0
	.section	.AMDGPU.csdata,"",@progbits
; Kernel info:
; codeLenInByte = 1324
; TotalNumSgprs: 16
; NumVgprs: 34
; ScratchSize: 0
; MemoryBound: 0
; FloatMode: 240
; IeeeMode: 1
; LDSByteSize: 0 bytes/workgroup (compile time only)
; SGPRBlocks: 0
; VGPRBlocks: 4
; NumSGPRsForWavesPerEU: 16
; NumVGPRsForWavesPerEU: 34
; Occupancy: 16
; WaveLimiterHint : 1
; COMPUTE_PGM_RSRC2:SCRATCH_EN: 0
; COMPUTE_PGM_RSRC2:USER_SGPR: 6
; COMPUTE_PGM_RSRC2:TRAP_HANDLER: 0
; COMPUTE_PGM_RSRC2:TGID_X_EN: 1
; COMPUTE_PGM_RSRC2:TGID_Y_EN: 0
; COMPUTE_PGM_RSRC2:TGID_Z_EN: 0
; COMPUTE_PGM_RSRC2:TIDIG_COMP_CNT: 0
	.section	.text._ZN9rocsparseL19gebsrmvn_1xn_kernelILj128ELj9ELj16EfEEvi20rocsparse_direction_NS_24const_host_device_scalarIT2_EEPKiS6_PKS3_S8_S4_PS3_21rocsparse_index_base_b,"axG",@progbits,_ZN9rocsparseL19gebsrmvn_1xn_kernelILj128ELj9ELj16EfEEvi20rocsparse_direction_NS_24const_host_device_scalarIT2_EEPKiS6_PKS3_S8_S4_PS3_21rocsparse_index_base_b,comdat
	.globl	_ZN9rocsparseL19gebsrmvn_1xn_kernelILj128ELj9ELj16EfEEvi20rocsparse_direction_NS_24const_host_device_scalarIT2_EEPKiS6_PKS3_S8_S4_PS3_21rocsparse_index_base_b ; -- Begin function _ZN9rocsparseL19gebsrmvn_1xn_kernelILj128ELj9ELj16EfEEvi20rocsparse_direction_NS_24const_host_device_scalarIT2_EEPKiS6_PKS3_S8_S4_PS3_21rocsparse_index_base_b
	.p2align	8
	.type	_ZN9rocsparseL19gebsrmvn_1xn_kernelILj128ELj9ELj16EfEEvi20rocsparse_direction_NS_24const_host_device_scalarIT2_EEPKiS6_PKS3_S8_S4_PS3_21rocsparse_index_base_b,@function
_ZN9rocsparseL19gebsrmvn_1xn_kernelILj128ELj9ELj16EfEEvi20rocsparse_direction_NS_24const_host_device_scalarIT2_EEPKiS6_PKS3_S8_S4_PS3_21rocsparse_index_base_b: ; @_ZN9rocsparseL19gebsrmvn_1xn_kernelILj128ELj9ELj16EfEEvi20rocsparse_direction_NS_24const_host_device_scalarIT2_EEPKiS6_PKS3_S8_S4_PS3_21rocsparse_index_base_b
; %bb.0:
	s_clause 0x2
	s_load_dwordx2 s[12:13], s[4:5], 0x40
	s_load_dwordx2 s[10:11], s[4:5], 0x8
	;; [unrolled: 1-line block ×3, first 2 shown]
	s_waitcnt lgkmcnt(0)
	s_bitcmp1_b32 s13, 0
	s_cselect_b32 s0, -1, 0
	s_and_b32 vcc_lo, exec_lo, s0
	s_xor_b32 s0, s0, -1
	s_cbranch_vccnz .LBB37_2
; %bb.1:
	s_load_dword s10, s[10:11], 0x0
.LBB37_2:
	s_andn2_b32 vcc_lo, exec_lo, s0
	s_cbranch_vccnz .LBB37_4
; %bb.3:
	s_load_dword s8, s[8:9], 0x0
.LBB37_4:
	s_waitcnt lgkmcnt(0)
	v_cmp_eq_f32_e64 s0, s10, 0
	v_cmp_eq_f32_e64 s1, s8, 1.0
	s_and_b32 s0, s0, s1
	s_and_b32 vcc_lo, exec_lo, s0
	s_cbranch_vccnz .LBB37_15
; %bb.5:
	s_load_dword s0, s[4:5], 0x0
	v_lshrrev_b32_e32 v1, 4, v0
	v_lshl_or_b32 v1, s6, 3, v1
	s_waitcnt lgkmcnt(0)
	v_cmp_gt_i32_e32 vcc_lo, s0, v1
	s_and_saveexec_b32 s0, vcc_lo
	s_cbranch_execz .LBB37_15
; %bb.6:
	s_clause 0x1
	s_load_dwordx2 s[0:1], s[4:5], 0x10
	s_load_dwordx2 s[6:7], s[4:5], 0x38
	v_ashrrev_i32_e32 v2, 31, v1
	v_and_b32_e32 v0, 15, v0
	v_mov_b32_e32 v9, 0
	s_mov_b32 s9, exec_lo
	v_lshlrev_b64 v[1:2], 2, v[1:2]
	v_subrev_nc_u32_e32 v5, s12, v0
	s_waitcnt lgkmcnt(0)
	v_add_co_u32 v3, vcc_lo, s0, v1
	v_add_co_ci_u32_e64 v4, null, s1, v2, vcc_lo
	global_load_dwordx2 v[3:4], v[3:4], off
	s_waitcnt vmcnt(0)
	v_subrev_nc_u32_e32 v10, s12, v4
	v_add_nc_u32_e32 v3, v3, v5
	v_cmpx_lt_i32_e64 v3, v10
	s_cbranch_execz .LBB37_10
; %bb.7:
	s_clause 0x1
	s_load_dwordx4 s[0:3], s[4:5], 0x18
	s_load_dwordx2 s[4:5], s[4:5], 0x28
	v_mad_u64_u32 v[5:6], null, v3, 9, 8
	v_mov_b32_e32 v8, 0
	v_mov_b32_e32 v9, 0
	s_mov_b32 s11, 0
.LBB37_8:                               ; =>This Inner Loop Header: Depth=1
	v_ashrrev_i32_e32 v4, 31, v3
	v_mov_b32_e32 v12, v8
	v_lshlrev_b64 v[6:7], 2, v[3:4]
	v_add_nc_u32_e32 v3, 16, v3
	s_waitcnt lgkmcnt(0)
	v_add_co_u32 v6, vcc_lo, s0, v6
	v_add_co_ci_u32_e64 v7, null, s1, v7, vcc_lo
	global_load_dword v4, v[6:7], off
	v_add_nc_u32_e32 v7, -8, v5
	v_mov_b32_e32 v6, v8
	v_lshlrev_b64 v[13:14], 2, v[7:8]
	v_add_nc_u32_e32 v7, -7, v5
	v_lshlrev_b64 v[15:16], 2, v[5:6]
	v_lshlrev_b64 v[6:7], 2, v[7:8]
	v_add_co_u32 v13, vcc_lo, s2, v13
	v_add_co_ci_u32_e64 v14, null, s3, v14, vcc_lo
	v_add_co_u32 v15, vcc_lo, s2, v15
	v_add_co_ci_u32_e64 v16, null, s3, v16, vcc_lo
	;; [unrolled: 2-line block ×3, first 2 shown]
	s_clause 0x1
	global_load_dword v21, v[13:14], off
	global_load_dword v22, v[6:7], off
	s_waitcnt vmcnt(2)
	v_subrev_nc_u32_e32 v4, s12, v4
	v_lshl_add_u32 v11, v4, 3, v4
	v_add_nc_u32_e32 v7, 1, v11
	v_lshlrev_b64 v[12:13], 2, v[11:12]
	v_lshlrev_b64 v[17:18], 2, v[7:8]
	v_add_nc_u32_e32 v7, -6, v5
	v_add_co_u32 v12, vcc_lo, s4, v12
	v_add_co_ci_u32_e64 v13, null, s5, v13, vcc_lo
	v_add_co_u32 v17, vcc_lo, s4, v17
	v_lshlrev_b64 v[19:20], 2, v[7:8]
	v_add_nc_u32_e32 v7, 2, v11
	v_add_co_ci_u32_e64 v18, null, s5, v18, vcc_lo
	s_clause 0x1
	global_load_dword v4, v[12:13], off
	global_load_dword v23, v[17:18], off
	v_lshlrev_b64 v[12:13], 2, v[7:8]
	v_add_nc_u32_e32 v7, -5, v5
	v_add_co_u32 v17, vcc_lo, s2, v19
	v_add_co_ci_u32_e64 v18, null, s3, v20, vcc_lo
	v_add_co_u32 v12, vcc_lo, s4, v12
	v_lshlrev_b64 v[19:20], 2, v[7:8]
	v_add_co_ci_u32_e64 v13, null, s5, v13, vcc_lo
	v_add_nc_u32_e32 v7, 3, v11
	global_load_dword v24, v[17:18], off
	global_load_dword v25, v[12:13], off
	v_add_co_u32 v12, vcc_lo, s2, v19
	v_add_co_ci_u32_e64 v13, null, s3, v20, vcc_lo
	global_load_dword v26, v[12:13], off
	v_lshlrev_b64 v[17:18], 2, v[7:8]
	v_add_nc_u32_e32 v7, -4, v5
	v_lshlrev_b64 v[19:20], 2, v[7:8]
	v_add_nc_u32_e32 v7, 4, v11
	v_add_co_u32 v17, vcc_lo, s4, v17
	v_add_co_ci_u32_e64 v18, null, s5, v18, vcc_lo
	v_lshlrev_b64 v[12:13], 2, v[7:8]
	v_add_nc_u32_e32 v7, -3, v5
	global_load_dword v27, v[17:18], off
	v_add_co_u32 v17, vcc_lo, s2, v19
	v_add_co_ci_u32_e64 v18, null, s3, v20, vcc_lo
	v_add_co_u32 v12, vcc_lo, s4, v12
	v_lshlrev_b64 v[19:20], 2, v[7:8]
	v_add_co_ci_u32_e64 v13, null, s5, v13, vcc_lo
	v_add_nc_u32_e32 v7, 5, v11
	global_load_dword v28, v[17:18], off
	global_load_dword v29, v[12:13], off
	v_add_co_u32 v12, vcc_lo, s2, v19
	v_add_co_ci_u32_e64 v13, null, s3, v20, vcc_lo
	global_load_dword v30, v[12:13], off
	v_lshlrev_b64 v[17:18], 2, v[7:8]
	v_add_nc_u32_e32 v7, -2, v5
	v_lshlrev_b64 v[19:20], 2, v[7:8]
	v_add_nc_u32_e32 v7, 6, v11
	v_add_co_u32 v17, vcc_lo, s4, v17
	v_add_co_ci_u32_e64 v18, null, s5, v18, vcc_lo
	v_lshlrev_b64 v[12:13], 2, v[7:8]
	v_add_nc_u32_e32 v7, -1, v5
	v_add_nc_u32_e32 v5, 0x90, v5
	global_load_dword v31, v[17:18], off
	v_add_co_u32 v17, vcc_lo, s2, v19
	v_add_co_ci_u32_e64 v18, null, s3, v20, vcc_lo
	v_lshlrev_b64 v[19:20], 2, v[7:8]
	v_add_nc_u32_e32 v7, 7, v11
	v_add_co_u32 v12, vcc_lo, s4, v12
	global_load_dword v32, v[17:18], off
	v_add_co_ci_u32_e64 v13, null, s5, v13, vcc_lo
	v_lshlrev_b64 v[17:18], 2, v[7:8]
	v_add_nc_u32_e32 v7, 8, v11
	v_add_co_u32 v11, vcc_lo, s2, v19
	global_load_dword v33, v[12:13], off
	v_add_co_ci_u32_e64 v12, null, s3, v20, vcc_lo
	v_lshlrev_b64 v[6:7], 2, v[7:8]
	v_add_co_u32 v13, vcc_lo, s4, v17
	v_add_co_ci_u32_e64 v14, null, s5, v18, vcc_lo
	global_load_dword v11, v[11:12], off
	global_load_dword v12, v[13:14], off
	v_add_co_u32 v6, vcc_lo, s4, v6
	v_add_co_ci_u32_e64 v7, null, s5, v7, vcc_lo
	global_load_dword v13, v[15:16], off
	global_load_dword v6, v[6:7], off
	v_cmp_ge_i32_e32 vcc_lo, v3, v10
	s_or_b32 s11, vcc_lo, s11
	s_waitcnt vmcnt(15)
	v_fmac_f32_e32 v9, v21, v4
	s_waitcnt vmcnt(14)
	v_fmac_f32_e32 v9, v22, v23
	;; [unrolled: 2-line block ×9, first 2 shown]
	s_andn2_b32 exec_lo, exec_lo, s11
	s_cbranch_execnz .LBB37_8
; %bb.9:
	s_or_b32 exec_lo, exec_lo, s11
.LBB37_10:
	s_or_b32 exec_lo, exec_lo, s9
	v_mbcnt_lo_u32_b32 v3, -1, 0
	s_mov_b32 s0, -1
	v_xor_b32_e32 v4, 8, v3
	v_xor_b32_e32 v5, 4, v3
	;; [unrolled: 1-line block ×3, first 2 shown]
	v_cmp_gt_i32_e32 vcc_lo, 32, v4
	v_cndmask_b32_e32 v4, v3, v4, vcc_lo
	v_cmp_gt_i32_e32 vcc_lo, 32, v5
	v_lshlrev_b32_e32 v4, 2, v4
	v_cndmask_b32_e32 v5, v3, v5, vcc_lo
	v_cmp_gt_i32_e32 vcc_lo, 32, v6
	ds_bpermute_b32 v4, v4, v9
	v_lshlrev_b32_e32 v5, 2, v5
	v_cndmask_b32_e32 v6, v3, v6, vcc_lo
	v_lshlrev_b32_e32 v6, 2, v6
	s_waitcnt lgkmcnt(0)
	v_add_f32_e32 v4, v9, v4
	ds_bpermute_b32 v5, v5, v4
	s_waitcnt lgkmcnt(0)
	v_add_f32_e32 v4, v4, v5
	ds_bpermute_b32 v5, v6, v4
	v_xor_b32_e32 v6, 1, v3
	v_cmp_gt_i32_e32 vcc_lo, 32, v6
	v_cndmask_b32_e32 v6, v3, v6, vcc_lo
	v_cmp_eq_u32_e32 vcc_lo, 15, v0
	s_waitcnt lgkmcnt(0)
	v_add_f32_e32 v3, v4, v5
	v_lshlrev_b32_e32 v4, 2, v6
	ds_bpermute_b32 v4, v4, v3
	s_and_b32 exec_lo, exec_lo, vcc_lo
	s_cbranch_execz .LBB37_15
; %bb.11:
	s_waitcnt lgkmcnt(0)
	v_add_f32_e32 v0, v3, v4
	v_cmp_eq_f32_e64 s1, s8, 0
	v_mul_f32_e32 v0, s10, v0
	s_and_b32 vcc_lo, exec_lo, s1
	s_cbranch_vccz .LBB37_13
; %bb.12:
	v_add_co_u32 v3, vcc_lo, s6, v1
	v_add_co_ci_u32_e64 v4, null, s7, v2, vcc_lo
	s_mov_b32 s0, 0
	global_store_dword v[3:4], v0, off
.LBB37_13:
	s_andn2_b32 vcc_lo, exec_lo, s0
	s_cbranch_vccnz .LBB37_15
; %bb.14:
	v_add_co_u32 v1, vcc_lo, s6, v1
	v_add_co_ci_u32_e64 v2, null, s7, v2, vcc_lo
	global_load_dword v3, v[1:2], off
	s_waitcnt vmcnt(0)
	v_fmac_f32_e32 v0, s8, v3
	global_store_dword v[1:2], v0, off
.LBB37_15:
	s_endpgm
	.section	.rodata,"a",@progbits
	.p2align	6, 0x0
	.amdhsa_kernel _ZN9rocsparseL19gebsrmvn_1xn_kernelILj128ELj9ELj16EfEEvi20rocsparse_direction_NS_24const_host_device_scalarIT2_EEPKiS6_PKS3_S8_S4_PS3_21rocsparse_index_base_b
		.amdhsa_group_segment_fixed_size 0
		.amdhsa_private_segment_fixed_size 0
		.amdhsa_kernarg_size 72
		.amdhsa_user_sgpr_count 6
		.amdhsa_user_sgpr_private_segment_buffer 1
		.amdhsa_user_sgpr_dispatch_ptr 0
		.amdhsa_user_sgpr_queue_ptr 0
		.amdhsa_user_sgpr_kernarg_segment_ptr 1
		.amdhsa_user_sgpr_dispatch_id 0
		.amdhsa_user_sgpr_flat_scratch_init 0
		.amdhsa_user_sgpr_private_segment_size 0
		.amdhsa_wavefront_size32 1
		.amdhsa_uses_dynamic_stack 0
		.amdhsa_system_sgpr_private_segment_wavefront_offset 0
		.amdhsa_system_sgpr_workgroup_id_x 1
		.amdhsa_system_sgpr_workgroup_id_y 0
		.amdhsa_system_sgpr_workgroup_id_z 0
		.amdhsa_system_sgpr_workgroup_info 0
		.amdhsa_system_vgpr_workitem_id 0
		.amdhsa_next_free_vgpr 34
		.amdhsa_next_free_sgpr 14
		.amdhsa_reserve_vcc 1
		.amdhsa_reserve_flat_scratch 0
		.amdhsa_float_round_mode_32 0
		.amdhsa_float_round_mode_16_64 0
		.amdhsa_float_denorm_mode_32 3
		.amdhsa_float_denorm_mode_16_64 3
		.amdhsa_dx10_clamp 1
		.amdhsa_ieee_mode 1
		.amdhsa_fp16_overflow 0
		.amdhsa_workgroup_processor_mode 1
		.amdhsa_memory_ordered 1
		.amdhsa_forward_progress 1
		.amdhsa_shared_vgpr_count 0
		.amdhsa_exception_fp_ieee_invalid_op 0
		.amdhsa_exception_fp_denorm_src 0
		.amdhsa_exception_fp_ieee_div_zero 0
		.amdhsa_exception_fp_ieee_overflow 0
		.amdhsa_exception_fp_ieee_underflow 0
		.amdhsa_exception_fp_ieee_inexact 0
		.amdhsa_exception_int_div_zero 0
	.end_amdhsa_kernel
	.section	.text._ZN9rocsparseL19gebsrmvn_1xn_kernelILj128ELj9ELj16EfEEvi20rocsparse_direction_NS_24const_host_device_scalarIT2_EEPKiS6_PKS3_S8_S4_PS3_21rocsparse_index_base_b,"axG",@progbits,_ZN9rocsparseL19gebsrmvn_1xn_kernelILj128ELj9ELj16EfEEvi20rocsparse_direction_NS_24const_host_device_scalarIT2_EEPKiS6_PKS3_S8_S4_PS3_21rocsparse_index_base_b,comdat
.Lfunc_end37:
	.size	_ZN9rocsparseL19gebsrmvn_1xn_kernelILj128ELj9ELj16EfEEvi20rocsparse_direction_NS_24const_host_device_scalarIT2_EEPKiS6_PKS3_S8_S4_PS3_21rocsparse_index_base_b, .Lfunc_end37-_ZN9rocsparseL19gebsrmvn_1xn_kernelILj128ELj9ELj16EfEEvi20rocsparse_direction_NS_24const_host_device_scalarIT2_EEPKiS6_PKS3_S8_S4_PS3_21rocsparse_index_base_b
                                        ; -- End function
	.set _ZN9rocsparseL19gebsrmvn_1xn_kernelILj128ELj9ELj16EfEEvi20rocsparse_direction_NS_24const_host_device_scalarIT2_EEPKiS6_PKS3_S8_S4_PS3_21rocsparse_index_base_b.num_vgpr, 34
	.set _ZN9rocsparseL19gebsrmvn_1xn_kernelILj128ELj9ELj16EfEEvi20rocsparse_direction_NS_24const_host_device_scalarIT2_EEPKiS6_PKS3_S8_S4_PS3_21rocsparse_index_base_b.num_agpr, 0
	.set _ZN9rocsparseL19gebsrmvn_1xn_kernelILj128ELj9ELj16EfEEvi20rocsparse_direction_NS_24const_host_device_scalarIT2_EEPKiS6_PKS3_S8_S4_PS3_21rocsparse_index_base_b.numbered_sgpr, 14
	.set _ZN9rocsparseL19gebsrmvn_1xn_kernelILj128ELj9ELj16EfEEvi20rocsparse_direction_NS_24const_host_device_scalarIT2_EEPKiS6_PKS3_S8_S4_PS3_21rocsparse_index_base_b.num_named_barrier, 0
	.set _ZN9rocsparseL19gebsrmvn_1xn_kernelILj128ELj9ELj16EfEEvi20rocsparse_direction_NS_24const_host_device_scalarIT2_EEPKiS6_PKS3_S8_S4_PS3_21rocsparse_index_base_b.private_seg_size, 0
	.set _ZN9rocsparseL19gebsrmvn_1xn_kernelILj128ELj9ELj16EfEEvi20rocsparse_direction_NS_24const_host_device_scalarIT2_EEPKiS6_PKS3_S8_S4_PS3_21rocsparse_index_base_b.uses_vcc, 1
	.set _ZN9rocsparseL19gebsrmvn_1xn_kernelILj128ELj9ELj16EfEEvi20rocsparse_direction_NS_24const_host_device_scalarIT2_EEPKiS6_PKS3_S8_S4_PS3_21rocsparse_index_base_b.uses_flat_scratch, 0
	.set _ZN9rocsparseL19gebsrmvn_1xn_kernelILj128ELj9ELj16EfEEvi20rocsparse_direction_NS_24const_host_device_scalarIT2_EEPKiS6_PKS3_S8_S4_PS3_21rocsparse_index_base_b.has_dyn_sized_stack, 0
	.set _ZN9rocsparseL19gebsrmvn_1xn_kernelILj128ELj9ELj16EfEEvi20rocsparse_direction_NS_24const_host_device_scalarIT2_EEPKiS6_PKS3_S8_S4_PS3_21rocsparse_index_base_b.has_recursion, 0
	.set _ZN9rocsparseL19gebsrmvn_1xn_kernelILj128ELj9ELj16EfEEvi20rocsparse_direction_NS_24const_host_device_scalarIT2_EEPKiS6_PKS3_S8_S4_PS3_21rocsparse_index_base_b.has_indirect_call, 0
	.section	.AMDGPU.csdata,"",@progbits
; Kernel info:
; codeLenInByte = 1356
; TotalNumSgprs: 16
; NumVgprs: 34
; ScratchSize: 0
; MemoryBound: 0
; FloatMode: 240
; IeeeMode: 1
; LDSByteSize: 0 bytes/workgroup (compile time only)
; SGPRBlocks: 0
; VGPRBlocks: 4
; NumSGPRsForWavesPerEU: 16
; NumVGPRsForWavesPerEU: 34
; Occupancy: 16
; WaveLimiterHint : 1
; COMPUTE_PGM_RSRC2:SCRATCH_EN: 0
; COMPUTE_PGM_RSRC2:USER_SGPR: 6
; COMPUTE_PGM_RSRC2:TRAP_HANDLER: 0
; COMPUTE_PGM_RSRC2:TGID_X_EN: 1
; COMPUTE_PGM_RSRC2:TGID_Y_EN: 0
; COMPUTE_PGM_RSRC2:TGID_Z_EN: 0
; COMPUTE_PGM_RSRC2:TIDIG_COMP_CNT: 0
	.section	.text._ZN9rocsparseL19gebsrmvn_1xn_kernelILj128ELj9ELj32EfEEvi20rocsparse_direction_NS_24const_host_device_scalarIT2_EEPKiS6_PKS3_S8_S4_PS3_21rocsparse_index_base_b,"axG",@progbits,_ZN9rocsparseL19gebsrmvn_1xn_kernelILj128ELj9ELj32EfEEvi20rocsparse_direction_NS_24const_host_device_scalarIT2_EEPKiS6_PKS3_S8_S4_PS3_21rocsparse_index_base_b,comdat
	.globl	_ZN9rocsparseL19gebsrmvn_1xn_kernelILj128ELj9ELj32EfEEvi20rocsparse_direction_NS_24const_host_device_scalarIT2_EEPKiS6_PKS3_S8_S4_PS3_21rocsparse_index_base_b ; -- Begin function _ZN9rocsparseL19gebsrmvn_1xn_kernelILj128ELj9ELj32EfEEvi20rocsparse_direction_NS_24const_host_device_scalarIT2_EEPKiS6_PKS3_S8_S4_PS3_21rocsparse_index_base_b
	.p2align	8
	.type	_ZN9rocsparseL19gebsrmvn_1xn_kernelILj128ELj9ELj32EfEEvi20rocsparse_direction_NS_24const_host_device_scalarIT2_EEPKiS6_PKS3_S8_S4_PS3_21rocsparse_index_base_b,@function
_ZN9rocsparseL19gebsrmvn_1xn_kernelILj128ELj9ELj32EfEEvi20rocsparse_direction_NS_24const_host_device_scalarIT2_EEPKiS6_PKS3_S8_S4_PS3_21rocsparse_index_base_b: ; @_ZN9rocsparseL19gebsrmvn_1xn_kernelILj128ELj9ELj32EfEEvi20rocsparse_direction_NS_24const_host_device_scalarIT2_EEPKiS6_PKS3_S8_S4_PS3_21rocsparse_index_base_b
; %bb.0:
	s_clause 0x2
	s_load_dwordx2 s[12:13], s[4:5], 0x40
	s_load_dwordx2 s[10:11], s[4:5], 0x8
	;; [unrolled: 1-line block ×3, first 2 shown]
	s_waitcnt lgkmcnt(0)
	s_bitcmp1_b32 s13, 0
	s_cselect_b32 s0, -1, 0
	s_and_b32 vcc_lo, exec_lo, s0
	s_xor_b32 s0, s0, -1
	s_cbranch_vccnz .LBB38_2
; %bb.1:
	s_load_dword s10, s[10:11], 0x0
.LBB38_2:
	s_andn2_b32 vcc_lo, exec_lo, s0
	s_cbranch_vccnz .LBB38_4
; %bb.3:
	s_load_dword s8, s[8:9], 0x0
.LBB38_4:
	s_waitcnt lgkmcnt(0)
	v_cmp_eq_f32_e64 s0, s10, 0
	v_cmp_eq_f32_e64 s1, s8, 1.0
	s_and_b32 s0, s0, s1
	s_and_b32 vcc_lo, exec_lo, s0
	s_cbranch_vccnz .LBB38_15
; %bb.5:
	s_load_dword s0, s[4:5], 0x0
	v_lshrrev_b32_e32 v1, 5, v0
	v_lshl_or_b32 v1, s6, 2, v1
	s_waitcnt lgkmcnt(0)
	v_cmp_gt_i32_e32 vcc_lo, s0, v1
	s_and_saveexec_b32 s0, vcc_lo
	s_cbranch_execz .LBB38_15
; %bb.6:
	s_clause 0x1
	s_load_dwordx2 s[0:1], s[4:5], 0x10
	s_load_dwordx2 s[6:7], s[4:5], 0x38
	v_ashrrev_i32_e32 v2, 31, v1
	v_and_b32_e32 v0, 31, v0
	v_mov_b32_e32 v9, 0
	s_mov_b32 s9, exec_lo
	v_lshlrev_b64 v[1:2], 2, v[1:2]
	v_subrev_nc_u32_e32 v5, s12, v0
	s_waitcnt lgkmcnt(0)
	v_add_co_u32 v3, vcc_lo, s0, v1
	v_add_co_ci_u32_e64 v4, null, s1, v2, vcc_lo
	global_load_dwordx2 v[3:4], v[3:4], off
	s_waitcnt vmcnt(0)
	v_subrev_nc_u32_e32 v10, s12, v4
	v_add_nc_u32_e32 v3, v3, v5
	v_cmpx_lt_i32_e64 v3, v10
	s_cbranch_execz .LBB38_10
; %bb.7:
	s_clause 0x1
	s_load_dwordx4 s[0:3], s[4:5], 0x18
	s_load_dwordx2 s[4:5], s[4:5], 0x28
	v_mad_u64_u32 v[5:6], null, v3, 9, 8
	v_mov_b32_e32 v8, 0
	v_mov_b32_e32 v9, 0
	s_mov_b32 s11, 0
.LBB38_8:                               ; =>This Inner Loop Header: Depth=1
	v_ashrrev_i32_e32 v4, 31, v3
	v_mov_b32_e32 v12, v8
	v_lshlrev_b64 v[6:7], 2, v[3:4]
	v_add_nc_u32_e32 v3, 32, v3
	s_waitcnt lgkmcnt(0)
	v_add_co_u32 v6, vcc_lo, s0, v6
	v_add_co_ci_u32_e64 v7, null, s1, v7, vcc_lo
	global_load_dword v4, v[6:7], off
	v_add_nc_u32_e32 v7, -8, v5
	v_mov_b32_e32 v6, v8
	v_lshlrev_b64 v[13:14], 2, v[7:8]
	v_add_nc_u32_e32 v7, -7, v5
	v_lshlrev_b64 v[15:16], 2, v[5:6]
	v_lshlrev_b64 v[6:7], 2, v[7:8]
	v_add_co_u32 v13, vcc_lo, s2, v13
	v_add_co_ci_u32_e64 v14, null, s3, v14, vcc_lo
	v_add_co_u32 v15, vcc_lo, s2, v15
	v_add_co_ci_u32_e64 v16, null, s3, v16, vcc_lo
	;; [unrolled: 2-line block ×3, first 2 shown]
	s_clause 0x1
	global_load_dword v21, v[13:14], off
	global_load_dword v22, v[6:7], off
	s_waitcnt vmcnt(2)
	v_subrev_nc_u32_e32 v4, s12, v4
	v_lshl_add_u32 v11, v4, 3, v4
	v_add_nc_u32_e32 v7, 1, v11
	v_lshlrev_b64 v[12:13], 2, v[11:12]
	v_lshlrev_b64 v[17:18], 2, v[7:8]
	v_add_nc_u32_e32 v7, -6, v5
	v_add_co_u32 v12, vcc_lo, s4, v12
	v_add_co_ci_u32_e64 v13, null, s5, v13, vcc_lo
	v_add_co_u32 v17, vcc_lo, s4, v17
	v_lshlrev_b64 v[19:20], 2, v[7:8]
	v_add_nc_u32_e32 v7, 2, v11
	v_add_co_ci_u32_e64 v18, null, s5, v18, vcc_lo
	s_clause 0x1
	global_load_dword v4, v[12:13], off
	global_load_dword v23, v[17:18], off
	v_lshlrev_b64 v[12:13], 2, v[7:8]
	v_add_nc_u32_e32 v7, -5, v5
	v_add_co_u32 v17, vcc_lo, s2, v19
	v_add_co_ci_u32_e64 v18, null, s3, v20, vcc_lo
	v_add_co_u32 v12, vcc_lo, s4, v12
	v_lshlrev_b64 v[19:20], 2, v[7:8]
	v_add_co_ci_u32_e64 v13, null, s5, v13, vcc_lo
	v_add_nc_u32_e32 v7, 3, v11
	global_load_dword v24, v[17:18], off
	global_load_dword v25, v[12:13], off
	v_add_co_u32 v12, vcc_lo, s2, v19
	v_add_co_ci_u32_e64 v13, null, s3, v20, vcc_lo
	global_load_dword v26, v[12:13], off
	v_lshlrev_b64 v[17:18], 2, v[7:8]
	v_add_nc_u32_e32 v7, -4, v5
	v_lshlrev_b64 v[19:20], 2, v[7:8]
	v_add_nc_u32_e32 v7, 4, v11
	v_add_co_u32 v17, vcc_lo, s4, v17
	v_add_co_ci_u32_e64 v18, null, s5, v18, vcc_lo
	v_lshlrev_b64 v[12:13], 2, v[7:8]
	v_add_nc_u32_e32 v7, -3, v5
	global_load_dword v27, v[17:18], off
	v_add_co_u32 v17, vcc_lo, s2, v19
	v_add_co_ci_u32_e64 v18, null, s3, v20, vcc_lo
	v_add_co_u32 v12, vcc_lo, s4, v12
	v_lshlrev_b64 v[19:20], 2, v[7:8]
	v_add_co_ci_u32_e64 v13, null, s5, v13, vcc_lo
	v_add_nc_u32_e32 v7, 5, v11
	global_load_dword v28, v[17:18], off
	global_load_dword v29, v[12:13], off
	v_add_co_u32 v12, vcc_lo, s2, v19
	v_add_co_ci_u32_e64 v13, null, s3, v20, vcc_lo
	global_load_dword v30, v[12:13], off
	v_lshlrev_b64 v[17:18], 2, v[7:8]
	v_add_nc_u32_e32 v7, -2, v5
	v_lshlrev_b64 v[19:20], 2, v[7:8]
	v_add_nc_u32_e32 v7, 6, v11
	v_add_co_u32 v17, vcc_lo, s4, v17
	v_add_co_ci_u32_e64 v18, null, s5, v18, vcc_lo
	v_lshlrev_b64 v[12:13], 2, v[7:8]
	v_add_nc_u32_e32 v7, -1, v5
	v_add_nc_u32_e32 v5, 0x120, v5
	global_load_dword v31, v[17:18], off
	v_add_co_u32 v17, vcc_lo, s2, v19
	v_add_co_ci_u32_e64 v18, null, s3, v20, vcc_lo
	v_lshlrev_b64 v[19:20], 2, v[7:8]
	v_add_nc_u32_e32 v7, 7, v11
	v_add_co_u32 v12, vcc_lo, s4, v12
	global_load_dword v32, v[17:18], off
	v_add_co_ci_u32_e64 v13, null, s5, v13, vcc_lo
	v_lshlrev_b64 v[17:18], 2, v[7:8]
	v_add_nc_u32_e32 v7, 8, v11
	v_add_co_u32 v11, vcc_lo, s2, v19
	global_load_dword v33, v[12:13], off
	v_add_co_ci_u32_e64 v12, null, s3, v20, vcc_lo
	v_lshlrev_b64 v[6:7], 2, v[7:8]
	v_add_co_u32 v13, vcc_lo, s4, v17
	v_add_co_ci_u32_e64 v14, null, s5, v18, vcc_lo
	global_load_dword v11, v[11:12], off
	global_load_dword v12, v[13:14], off
	v_add_co_u32 v6, vcc_lo, s4, v6
	v_add_co_ci_u32_e64 v7, null, s5, v7, vcc_lo
	global_load_dword v13, v[15:16], off
	global_load_dword v6, v[6:7], off
	v_cmp_ge_i32_e32 vcc_lo, v3, v10
	s_or_b32 s11, vcc_lo, s11
	s_waitcnt vmcnt(15)
	v_fmac_f32_e32 v9, v21, v4
	s_waitcnt vmcnt(14)
	v_fmac_f32_e32 v9, v22, v23
	;; [unrolled: 2-line block ×9, first 2 shown]
	s_andn2_b32 exec_lo, exec_lo, s11
	s_cbranch_execnz .LBB38_8
; %bb.9:
	s_or_b32 exec_lo, exec_lo, s11
.LBB38_10:
	s_or_b32 exec_lo, exec_lo, s9
	v_mbcnt_lo_u32_b32 v3, -1, 0
	s_mov_b32 s0, -1
	v_xor_b32_e32 v4, 16, v3
	v_xor_b32_e32 v5, 8, v3
	;; [unrolled: 1-line block ×3, first 2 shown]
	v_cmp_gt_i32_e32 vcc_lo, 32, v4
	v_cndmask_b32_e32 v4, v3, v4, vcc_lo
	v_cmp_gt_i32_e32 vcc_lo, 32, v5
	v_lshlrev_b32_e32 v4, 2, v4
	v_cndmask_b32_e32 v5, v3, v5, vcc_lo
	v_cmp_gt_i32_e32 vcc_lo, 32, v6
	ds_bpermute_b32 v4, v4, v9
	v_lshlrev_b32_e32 v5, 2, v5
	v_cndmask_b32_e32 v6, v3, v6, vcc_lo
	v_lshlrev_b32_e32 v6, 2, v6
	s_waitcnt lgkmcnt(0)
	v_add_f32_e32 v4, v9, v4
	ds_bpermute_b32 v5, v5, v4
	s_waitcnt lgkmcnt(0)
	v_add_f32_e32 v4, v4, v5
	ds_bpermute_b32 v5, v6, v4
	v_xor_b32_e32 v6, 2, v3
	v_cmp_gt_i32_e32 vcc_lo, 32, v6
	v_cndmask_b32_e32 v6, v3, v6, vcc_lo
	v_lshlrev_b32_e32 v6, 2, v6
	s_waitcnt lgkmcnt(0)
	v_add_f32_e32 v4, v4, v5
	ds_bpermute_b32 v5, v6, v4
	v_xor_b32_e32 v6, 1, v3
	v_cmp_gt_i32_e32 vcc_lo, 32, v6
	v_cndmask_b32_e32 v6, v3, v6, vcc_lo
	v_cmp_eq_u32_e32 vcc_lo, 31, v0
	s_waitcnt lgkmcnt(0)
	v_add_f32_e32 v3, v4, v5
	v_lshlrev_b32_e32 v4, 2, v6
	ds_bpermute_b32 v4, v4, v3
	s_and_b32 exec_lo, exec_lo, vcc_lo
	s_cbranch_execz .LBB38_15
; %bb.11:
	s_waitcnt lgkmcnt(0)
	v_add_f32_e32 v0, v3, v4
	v_cmp_eq_f32_e64 s1, s8, 0
	v_mul_f32_e32 v0, s10, v0
	s_and_b32 vcc_lo, exec_lo, s1
	s_cbranch_vccz .LBB38_13
; %bb.12:
	v_add_co_u32 v3, vcc_lo, s6, v1
	v_add_co_ci_u32_e64 v4, null, s7, v2, vcc_lo
	s_mov_b32 s0, 0
	global_store_dword v[3:4], v0, off
.LBB38_13:
	s_andn2_b32 vcc_lo, exec_lo, s0
	s_cbranch_vccnz .LBB38_15
; %bb.14:
	v_add_co_u32 v1, vcc_lo, s6, v1
	v_add_co_ci_u32_e64 v2, null, s7, v2, vcc_lo
	global_load_dword v3, v[1:2], off
	s_waitcnt vmcnt(0)
	v_fmac_f32_e32 v0, s8, v3
	global_store_dword v[1:2], v0, off
.LBB38_15:
	s_endpgm
	.section	.rodata,"a",@progbits
	.p2align	6, 0x0
	.amdhsa_kernel _ZN9rocsparseL19gebsrmvn_1xn_kernelILj128ELj9ELj32EfEEvi20rocsparse_direction_NS_24const_host_device_scalarIT2_EEPKiS6_PKS3_S8_S4_PS3_21rocsparse_index_base_b
		.amdhsa_group_segment_fixed_size 0
		.amdhsa_private_segment_fixed_size 0
		.amdhsa_kernarg_size 72
		.amdhsa_user_sgpr_count 6
		.amdhsa_user_sgpr_private_segment_buffer 1
		.amdhsa_user_sgpr_dispatch_ptr 0
		.amdhsa_user_sgpr_queue_ptr 0
		.amdhsa_user_sgpr_kernarg_segment_ptr 1
		.amdhsa_user_sgpr_dispatch_id 0
		.amdhsa_user_sgpr_flat_scratch_init 0
		.amdhsa_user_sgpr_private_segment_size 0
		.amdhsa_wavefront_size32 1
		.amdhsa_uses_dynamic_stack 0
		.amdhsa_system_sgpr_private_segment_wavefront_offset 0
		.amdhsa_system_sgpr_workgroup_id_x 1
		.amdhsa_system_sgpr_workgroup_id_y 0
		.amdhsa_system_sgpr_workgroup_id_z 0
		.amdhsa_system_sgpr_workgroup_info 0
		.amdhsa_system_vgpr_workitem_id 0
		.amdhsa_next_free_vgpr 34
		.amdhsa_next_free_sgpr 14
		.amdhsa_reserve_vcc 1
		.amdhsa_reserve_flat_scratch 0
		.amdhsa_float_round_mode_32 0
		.amdhsa_float_round_mode_16_64 0
		.amdhsa_float_denorm_mode_32 3
		.amdhsa_float_denorm_mode_16_64 3
		.amdhsa_dx10_clamp 1
		.amdhsa_ieee_mode 1
		.amdhsa_fp16_overflow 0
		.amdhsa_workgroup_processor_mode 1
		.amdhsa_memory_ordered 1
		.amdhsa_forward_progress 1
		.amdhsa_shared_vgpr_count 0
		.amdhsa_exception_fp_ieee_invalid_op 0
		.amdhsa_exception_fp_denorm_src 0
		.amdhsa_exception_fp_ieee_div_zero 0
		.amdhsa_exception_fp_ieee_overflow 0
		.amdhsa_exception_fp_ieee_underflow 0
		.amdhsa_exception_fp_ieee_inexact 0
		.amdhsa_exception_int_div_zero 0
	.end_amdhsa_kernel
	.section	.text._ZN9rocsparseL19gebsrmvn_1xn_kernelILj128ELj9ELj32EfEEvi20rocsparse_direction_NS_24const_host_device_scalarIT2_EEPKiS6_PKS3_S8_S4_PS3_21rocsparse_index_base_b,"axG",@progbits,_ZN9rocsparseL19gebsrmvn_1xn_kernelILj128ELj9ELj32EfEEvi20rocsparse_direction_NS_24const_host_device_scalarIT2_EEPKiS6_PKS3_S8_S4_PS3_21rocsparse_index_base_b,comdat
.Lfunc_end38:
	.size	_ZN9rocsparseL19gebsrmvn_1xn_kernelILj128ELj9ELj32EfEEvi20rocsparse_direction_NS_24const_host_device_scalarIT2_EEPKiS6_PKS3_S8_S4_PS3_21rocsparse_index_base_b, .Lfunc_end38-_ZN9rocsparseL19gebsrmvn_1xn_kernelILj128ELj9ELj32EfEEvi20rocsparse_direction_NS_24const_host_device_scalarIT2_EEPKiS6_PKS3_S8_S4_PS3_21rocsparse_index_base_b
                                        ; -- End function
	.set _ZN9rocsparseL19gebsrmvn_1xn_kernelILj128ELj9ELj32EfEEvi20rocsparse_direction_NS_24const_host_device_scalarIT2_EEPKiS6_PKS3_S8_S4_PS3_21rocsparse_index_base_b.num_vgpr, 34
	.set _ZN9rocsparseL19gebsrmvn_1xn_kernelILj128ELj9ELj32EfEEvi20rocsparse_direction_NS_24const_host_device_scalarIT2_EEPKiS6_PKS3_S8_S4_PS3_21rocsparse_index_base_b.num_agpr, 0
	.set _ZN9rocsparseL19gebsrmvn_1xn_kernelILj128ELj9ELj32EfEEvi20rocsparse_direction_NS_24const_host_device_scalarIT2_EEPKiS6_PKS3_S8_S4_PS3_21rocsparse_index_base_b.numbered_sgpr, 14
	.set _ZN9rocsparseL19gebsrmvn_1xn_kernelILj128ELj9ELj32EfEEvi20rocsparse_direction_NS_24const_host_device_scalarIT2_EEPKiS6_PKS3_S8_S4_PS3_21rocsparse_index_base_b.num_named_barrier, 0
	.set _ZN9rocsparseL19gebsrmvn_1xn_kernelILj128ELj9ELj32EfEEvi20rocsparse_direction_NS_24const_host_device_scalarIT2_EEPKiS6_PKS3_S8_S4_PS3_21rocsparse_index_base_b.private_seg_size, 0
	.set _ZN9rocsparseL19gebsrmvn_1xn_kernelILj128ELj9ELj32EfEEvi20rocsparse_direction_NS_24const_host_device_scalarIT2_EEPKiS6_PKS3_S8_S4_PS3_21rocsparse_index_base_b.uses_vcc, 1
	.set _ZN9rocsparseL19gebsrmvn_1xn_kernelILj128ELj9ELj32EfEEvi20rocsparse_direction_NS_24const_host_device_scalarIT2_EEPKiS6_PKS3_S8_S4_PS3_21rocsparse_index_base_b.uses_flat_scratch, 0
	.set _ZN9rocsparseL19gebsrmvn_1xn_kernelILj128ELj9ELj32EfEEvi20rocsparse_direction_NS_24const_host_device_scalarIT2_EEPKiS6_PKS3_S8_S4_PS3_21rocsparse_index_base_b.has_dyn_sized_stack, 0
	.set _ZN9rocsparseL19gebsrmvn_1xn_kernelILj128ELj9ELj32EfEEvi20rocsparse_direction_NS_24const_host_device_scalarIT2_EEPKiS6_PKS3_S8_S4_PS3_21rocsparse_index_base_b.has_recursion, 0
	.set _ZN9rocsparseL19gebsrmvn_1xn_kernelILj128ELj9ELj32EfEEvi20rocsparse_direction_NS_24const_host_device_scalarIT2_EEPKiS6_PKS3_S8_S4_PS3_21rocsparse_index_base_b.has_indirect_call, 0
	.section	.AMDGPU.csdata,"",@progbits
; Kernel info:
; codeLenInByte = 1388
; TotalNumSgprs: 16
; NumVgprs: 34
; ScratchSize: 0
; MemoryBound: 0
; FloatMode: 240
; IeeeMode: 1
; LDSByteSize: 0 bytes/workgroup (compile time only)
; SGPRBlocks: 0
; VGPRBlocks: 4
; NumSGPRsForWavesPerEU: 16
; NumVGPRsForWavesPerEU: 34
; Occupancy: 16
; WaveLimiterHint : 1
; COMPUTE_PGM_RSRC2:SCRATCH_EN: 0
; COMPUTE_PGM_RSRC2:USER_SGPR: 6
; COMPUTE_PGM_RSRC2:TRAP_HANDLER: 0
; COMPUTE_PGM_RSRC2:TGID_X_EN: 1
; COMPUTE_PGM_RSRC2:TGID_Y_EN: 0
; COMPUTE_PGM_RSRC2:TGID_Z_EN: 0
; COMPUTE_PGM_RSRC2:TIDIG_COMP_CNT: 0
	.section	.text._ZN9rocsparseL19gebsrmvn_1xn_kernelILj128ELj9ELj64EfEEvi20rocsparse_direction_NS_24const_host_device_scalarIT2_EEPKiS6_PKS3_S8_S4_PS3_21rocsparse_index_base_b,"axG",@progbits,_ZN9rocsparseL19gebsrmvn_1xn_kernelILj128ELj9ELj64EfEEvi20rocsparse_direction_NS_24const_host_device_scalarIT2_EEPKiS6_PKS3_S8_S4_PS3_21rocsparse_index_base_b,comdat
	.globl	_ZN9rocsparseL19gebsrmvn_1xn_kernelILj128ELj9ELj64EfEEvi20rocsparse_direction_NS_24const_host_device_scalarIT2_EEPKiS6_PKS3_S8_S4_PS3_21rocsparse_index_base_b ; -- Begin function _ZN9rocsparseL19gebsrmvn_1xn_kernelILj128ELj9ELj64EfEEvi20rocsparse_direction_NS_24const_host_device_scalarIT2_EEPKiS6_PKS3_S8_S4_PS3_21rocsparse_index_base_b
	.p2align	8
	.type	_ZN9rocsparseL19gebsrmvn_1xn_kernelILj128ELj9ELj64EfEEvi20rocsparse_direction_NS_24const_host_device_scalarIT2_EEPKiS6_PKS3_S8_S4_PS3_21rocsparse_index_base_b,@function
_ZN9rocsparseL19gebsrmvn_1xn_kernelILj128ELj9ELj64EfEEvi20rocsparse_direction_NS_24const_host_device_scalarIT2_EEPKiS6_PKS3_S8_S4_PS3_21rocsparse_index_base_b: ; @_ZN9rocsparseL19gebsrmvn_1xn_kernelILj128ELj9ELj64EfEEvi20rocsparse_direction_NS_24const_host_device_scalarIT2_EEPKiS6_PKS3_S8_S4_PS3_21rocsparse_index_base_b
; %bb.0:
	s_clause 0x2
	s_load_dwordx2 s[12:13], s[4:5], 0x40
	s_load_dwordx2 s[10:11], s[4:5], 0x8
	s_load_dwordx2 s[8:9], s[4:5], 0x30
	s_waitcnt lgkmcnt(0)
	s_bitcmp1_b32 s13, 0
	s_cselect_b32 s0, -1, 0
	s_and_b32 vcc_lo, exec_lo, s0
	s_xor_b32 s0, s0, -1
	s_cbranch_vccnz .LBB39_2
; %bb.1:
	s_load_dword s10, s[10:11], 0x0
.LBB39_2:
	s_andn2_b32 vcc_lo, exec_lo, s0
	s_cbranch_vccnz .LBB39_4
; %bb.3:
	s_load_dword s8, s[8:9], 0x0
.LBB39_4:
	s_waitcnt lgkmcnt(0)
	v_cmp_eq_f32_e64 s0, s10, 0
	v_cmp_eq_f32_e64 s1, s8, 1.0
	s_and_b32 s0, s0, s1
	s_and_b32 vcc_lo, exec_lo, s0
	s_cbranch_vccnz .LBB39_15
; %bb.5:
	s_load_dword s0, s[4:5], 0x0
	v_lshrrev_b32_e32 v1, 6, v0
	v_lshl_or_b32 v1, s6, 1, v1
	s_waitcnt lgkmcnt(0)
	v_cmp_gt_i32_e32 vcc_lo, s0, v1
	s_and_saveexec_b32 s0, vcc_lo
	s_cbranch_execz .LBB39_15
; %bb.6:
	s_clause 0x1
	s_load_dwordx2 s[0:1], s[4:5], 0x10
	s_load_dwordx2 s[6:7], s[4:5], 0x38
	v_ashrrev_i32_e32 v2, 31, v1
	v_and_b32_e32 v0, 63, v0
	v_mov_b32_e32 v9, 0
	s_mov_b32 s9, exec_lo
	v_lshlrev_b64 v[1:2], 2, v[1:2]
	v_subrev_nc_u32_e32 v5, s12, v0
	s_waitcnt lgkmcnt(0)
	v_add_co_u32 v3, vcc_lo, s0, v1
	v_add_co_ci_u32_e64 v4, null, s1, v2, vcc_lo
	global_load_dwordx2 v[3:4], v[3:4], off
	s_waitcnt vmcnt(0)
	v_subrev_nc_u32_e32 v10, s12, v4
	v_add_nc_u32_e32 v3, v3, v5
	v_cmpx_lt_i32_e64 v3, v10
	s_cbranch_execz .LBB39_10
; %bb.7:
	s_clause 0x1
	s_load_dwordx4 s[0:3], s[4:5], 0x18
	s_load_dwordx2 s[4:5], s[4:5], 0x28
	v_mad_u64_u32 v[5:6], null, v3, 9, 8
	v_mov_b32_e32 v8, 0
	v_mov_b32_e32 v9, 0
	s_mov_b32 s11, 0
.LBB39_8:                               ; =>This Inner Loop Header: Depth=1
	v_ashrrev_i32_e32 v4, 31, v3
	v_mov_b32_e32 v12, v8
	v_lshlrev_b64 v[6:7], 2, v[3:4]
	v_add_nc_u32_e32 v3, 64, v3
	s_waitcnt lgkmcnt(0)
	v_add_co_u32 v6, vcc_lo, s0, v6
	v_add_co_ci_u32_e64 v7, null, s1, v7, vcc_lo
	global_load_dword v4, v[6:7], off
	v_add_nc_u32_e32 v7, -8, v5
	v_mov_b32_e32 v6, v8
	v_lshlrev_b64 v[13:14], 2, v[7:8]
	v_add_nc_u32_e32 v7, -7, v5
	v_lshlrev_b64 v[15:16], 2, v[5:6]
	v_lshlrev_b64 v[6:7], 2, v[7:8]
	v_add_co_u32 v13, vcc_lo, s2, v13
	v_add_co_ci_u32_e64 v14, null, s3, v14, vcc_lo
	v_add_co_u32 v15, vcc_lo, s2, v15
	v_add_co_ci_u32_e64 v16, null, s3, v16, vcc_lo
	;; [unrolled: 2-line block ×3, first 2 shown]
	s_clause 0x1
	global_load_dword v21, v[13:14], off
	global_load_dword v22, v[6:7], off
	s_waitcnt vmcnt(2)
	v_subrev_nc_u32_e32 v4, s12, v4
	v_lshl_add_u32 v11, v4, 3, v4
	v_add_nc_u32_e32 v7, 1, v11
	v_lshlrev_b64 v[12:13], 2, v[11:12]
	v_lshlrev_b64 v[17:18], 2, v[7:8]
	v_add_nc_u32_e32 v7, -6, v5
	v_add_co_u32 v12, vcc_lo, s4, v12
	v_add_co_ci_u32_e64 v13, null, s5, v13, vcc_lo
	v_add_co_u32 v17, vcc_lo, s4, v17
	v_lshlrev_b64 v[19:20], 2, v[7:8]
	v_add_nc_u32_e32 v7, 2, v11
	v_add_co_ci_u32_e64 v18, null, s5, v18, vcc_lo
	s_clause 0x1
	global_load_dword v4, v[12:13], off
	global_load_dword v23, v[17:18], off
	v_lshlrev_b64 v[12:13], 2, v[7:8]
	v_add_nc_u32_e32 v7, -5, v5
	v_add_co_u32 v17, vcc_lo, s2, v19
	v_add_co_ci_u32_e64 v18, null, s3, v20, vcc_lo
	v_add_co_u32 v12, vcc_lo, s4, v12
	v_lshlrev_b64 v[19:20], 2, v[7:8]
	v_add_co_ci_u32_e64 v13, null, s5, v13, vcc_lo
	v_add_nc_u32_e32 v7, 3, v11
	global_load_dword v24, v[17:18], off
	global_load_dword v25, v[12:13], off
	v_add_co_u32 v12, vcc_lo, s2, v19
	v_add_co_ci_u32_e64 v13, null, s3, v20, vcc_lo
	global_load_dword v26, v[12:13], off
	v_lshlrev_b64 v[17:18], 2, v[7:8]
	v_add_nc_u32_e32 v7, -4, v5
	v_lshlrev_b64 v[19:20], 2, v[7:8]
	v_add_nc_u32_e32 v7, 4, v11
	v_add_co_u32 v17, vcc_lo, s4, v17
	v_add_co_ci_u32_e64 v18, null, s5, v18, vcc_lo
	v_lshlrev_b64 v[12:13], 2, v[7:8]
	v_add_nc_u32_e32 v7, -3, v5
	global_load_dword v27, v[17:18], off
	v_add_co_u32 v17, vcc_lo, s2, v19
	v_add_co_ci_u32_e64 v18, null, s3, v20, vcc_lo
	v_add_co_u32 v12, vcc_lo, s4, v12
	v_lshlrev_b64 v[19:20], 2, v[7:8]
	v_add_co_ci_u32_e64 v13, null, s5, v13, vcc_lo
	v_add_nc_u32_e32 v7, 5, v11
	global_load_dword v28, v[17:18], off
	global_load_dword v29, v[12:13], off
	v_add_co_u32 v12, vcc_lo, s2, v19
	v_add_co_ci_u32_e64 v13, null, s3, v20, vcc_lo
	global_load_dword v30, v[12:13], off
	v_lshlrev_b64 v[17:18], 2, v[7:8]
	v_add_nc_u32_e32 v7, -2, v5
	v_lshlrev_b64 v[19:20], 2, v[7:8]
	v_add_nc_u32_e32 v7, 6, v11
	v_add_co_u32 v17, vcc_lo, s4, v17
	v_add_co_ci_u32_e64 v18, null, s5, v18, vcc_lo
	v_lshlrev_b64 v[12:13], 2, v[7:8]
	v_add_nc_u32_e32 v7, -1, v5
	v_add_nc_u32_e32 v5, 0x240, v5
	global_load_dword v31, v[17:18], off
	v_add_co_u32 v17, vcc_lo, s2, v19
	v_add_co_ci_u32_e64 v18, null, s3, v20, vcc_lo
	v_lshlrev_b64 v[19:20], 2, v[7:8]
	v_add_nc_u32_e32 v7, 7, v11
	v_add_co_u32 v12, vcc_lo, s4, v12
	global_load_dword v32, v[17:18], off
	v_add_co_ci_u32_e64 v13, null, s5, v13, vcc_lo
	v_lshlrev_b64 v[17:18], 2, v[7:8]
	v_add_nc_u32_e32 v7, 8, v11
	v_add_co_u32 v11, vcc_lo, s2, v19
	global_load_dword v33, v[12:13], off
	v_add_co_ci_u32_e64 v12, null, s3, v20, vcc_lo
	v_lshlrev_b64 v[6:7], 2, v[7:8]
	v_add_co_u32 v13, vcc_lo, s4, v17
	v_add_co_ci_u32_e64 v14, null, s5, v18, vcc_lo
	global_load_dword v11, v[11:12], off
	global_load_dword v12, v[13:14], off
	v_add_co_u32 v6, vcc_lo, s4, v6
	v_add_co_ci_u32_e64 v7, null, s5, v7, vcc_lo
	global_load_dword v13, v[15:16], off
	global_load_dword v6, v[6:7], off
	v_cmp_ge_i32_e32 vcc_lo, v3, v10
	s_or_b32 s11, vcc_lo, s11
	s_waitcnt vmcnt(15)
	v_fmac_f32_e32 v9, v21, v4
	s_waitcnt vmcnt(14)
	v_fmac_f32_e32 v9, v22, v23
	;; [unrolled: 2-line block ×9, first 2 shown]
	s_andn2_b32 exec_lo, exec_lo, s11
	s_cbranch_execnz .LBB39_8
; %bb.9:
	s_or_b32 exec_lo, exec_lo, s11
.LBB39_10:
	s_or_b32 exec_lo, exec_lo, s9
	v_mbcnt_lo_u32_b32 v3, -1, 0
	s_mov_b32 s0, -1
	v_or_b32_e32 v4, 32, v3
	v_xor_b32_e32 v5, 16, v3
	v_xor_b32_e32 v6, 8, v3
	v_cmp_gt_i32_e32 vcc_lo, 32, v4
	v_cndmask_b32_e32 v4, v3, v4, vcc_lo
	v_cmp_gt_i32_e32 vcc_lo, 32, v5
	v_lshlrev_b32_e32 v4, 2, v4
	v_cndmask_b32_e32 v5, v3, v5, vcc_lo
	v_cmp_gt_i32_e32 vcc_lo, 32, v6
	ds_bpermute_b32 v4, v4, v9
	v_lshlrev_b32_e32 v5, 2, v5
	v_cndmask_b32_e32 v6, v3, v6, vcc_lo
	v_lshlrev_b32_e32 v6, 2, v6
	s_waitcnt lgkmcnt(0)
	v_add_f32_e32 v4, v9, v4
	ds_bpermute_b32 v5, v5, v4
	s_waitcnt lgkmcnt(0)
	v_add_f32_e32 v4, v4, v5
	ds_bpermute_b32 v5, v6, v4
	v_xor_b32_e32 v6, 4, v3
	v_cmp_gt_i32_e32 vcc_lo, 32, v6
	v_cndmask_b32_e32 v6, v3, v6, vcc_lo
	v_lshlrev_b32_e32 v6, 2, v6
	s_waitcnt lgkmcnt(0)
	v_add_f32_e32 v4, v4, v5
	ds_bpermute_b32 v5, v6, v4
	v_xor_b32_e32 v6, 2, v3
	v_cmp_gt_i32_e32 vcc_lo, 32, v6
	v_cndmask_b32_e32 v6, v3, v6, vcc_lo
	v_lshlrev_b32_e32 v6, 2, v6
	s_waitcnt lgkmcnt(0)
	v_add_f32_e32 v4, v4, v5
	ds_bpermute_b32 v5, v6, v4
	v_xor_b32_e32 v6, 1, v3
	v_cmp_gt_i32_e32 vcc_lo, 32, v6
	v_cndmask_b32_e32 v6, v3, v6, vcc_lo
	v_cmp_eq_u32_e32 vcc_lo, 63, v0
	s_waitcnt lgkmcnt(0)
	v_add_f32_e32 v3, v4, v5
	v_lshlrev_b32_e32 v4, 2, v6
	ds_bpermute_b32 v4, v4, v3
	s_and_b32 exec_lo, exec_lo, vcc_lo
	s_cbranch_execz .LBB39_15
; %bb.11:
	s_waitcnt lgkmcnt(0)
	v_add_f32_e32 v0, v3, v4
	v_cmp_eq_f32_e64 s1, s8, 0
	v_mul_f32_e32 v0, s10, v0
	s_and_b32 vcc_lo, exec_lo, s1
	s_cbranch_vccz .LBB39_13
; %bb.12:
	v_add_co_u32 v3, vcc_lo, s6, v1
	v_add_co_ci_u32_e64 v4, null, s7, v2, vcc_lo
	s_mov_b32 s0, 0
	global_store_dword v[3:4], v0, off
.LBB39_13:
	s_andn2_b32 vcc_lo, exec_lo, s0
	s_cbranch_vccnz .LBB39_15
; %bb.14:
	v_add_co_u32 v1, vcc_lo, s6, v1
	v_add_co_ci_u32_e64 v2, null, s7, v2, vcc_lo
	global_load_dword v3, v[1:2], off
	s_waitcnt vmcnt(0)
	v_fmac_f32_e32 v0, s8, v3
	global_store_dword v[1:2], v0, off
.LBB39_15:
	s_endpgm
	.section	.rodata,"a",@progbits
	.p2align	6, 0x0
	.amdhsa_kernel _ZN9rocsparseL19gebsrmvn_1xn_kernelILj128ELj9ELj64EfEEvi20rocsparse_direction_NS_24const_host_device_scalarIT2_EEPKiS6_PKS3_S8_S4_PS3_21rocsparse_index_base_b
		.amdhsa_group_segment_fixed_size 0
		.amdhsa_private_segment_fixed_size 0
		.amdhsa_kernarg_size 72
		.amdhsa_user_sgpr_count 6
		.amdhsa_user_sgpr_private_segment_buffer 1
		.amdhsa_user_sgpr_dispatch_ptr 0
		.amdhsa_user_sgpr_queue_ptr 0
		.amdhsa_user_sgpr_kernarg_segment_ptr 1
		.amdhsa_user_sgpr_dispatch_id 0
		.amdhsa_user_sgpr_flat_scratch_init 0
		.amdhsa_user_sgpr_private_segment_size 0
		.amdhsa_wavefront_size32 1
		.amdhsa_uses_dynamic_stack 0
		.amdhsa_system_sgpr_private_segment_wavefront_offset 0
		.amdhsa_system_sgpr_workgroup_id_x 1
		.amdhsa_system_sgpr_workgroup_id_y 0
		.amdhsa_system_sgpr_workgroup_id_z 0
		.amdhsa_system_sgpr_workgroup_info 0
		.amdhsa_system_vgpr_workitem_id 0
		.amdhsa_next_free_vgpr 34
		.amdhsa_next_free_sgpr 14
		.amdhsa_reserve_vcc 1
		.amdhsa_reserve_flat_scratch 0
		.amdhsa_float_round_mode_32 0
		.amdhsa_float_round_mode_16_64 0
		.amdhsa_float_denorm_mode_32 3
		.amdhsa_float_denorm_mode_16_64 3
		.amdhsa_dx10_clamp 1
		.amdhsa_ieee_mode 1
		.amdhsa_fp16_overflow 0
		.amdhsa_workgroup_processor_mode 1
		.amdhsa_memory_ordered 1
		.amdhsa_forward_progress 1
		.amdhsa_shared_vgpr_count 0
		.amdhsa_exception_fp_ieee_invalid_op 0
		.amdhsa_exception_fp_denorm_src 0
		.amdhsa_exception_fp_ieee_div_zero 0
		.amdhsa_exception_fp_ieee_overflow 0
		.amdhsa_exception_fp_ieee_underflow 0
		.amdhsa_exception_fp_ieee_inexact 0
		.amdhsa_exception_int_div_zero 0
	.end_amdhsa_kernel
	.section	.text._ZN9rocsparseL19gebsrmvn_1xn_kernelILj128ELj9ELj64EfEEvi20rocsparse_direction_NS_24const_host_device_scalarIT2_EEPKiS6_PKS3_S8_S4_PS3_21rocsparse_index_base_b,"axG",@progbits,_ZN9rocsparseL19gebsrmvn_1xn_kernelILj128ELj9ELj64EfEEvi20rocsparse_direction_NS_24const_host_device_scalarIT2_EEPKiS6_PKS3_S8_S4_PS3_21rocsparse_index_base_b,comdat
.Lfunc_end39:
	.size	_ZN9rocsparseL19gebsrmvn_1xn_kernelILj128ELj9ELj64EfEEvi20rocsparse_direction_NS_24const_host_device_scalarIT2_EEPKiS6_PKS3_S8_S4_PS3_21rocsparse_index_base_b, .Lfunc_end39-_ZN9rocsparseL19gebsrmvn_1xn_kernelILj128ELj9ELj64EfEEvi20rocsparse_direction_NS_24const_host_device_scalarIT2_EEPKiS6_PKS3_S8_S4_PS3_21rocsparse_index_base_b
                                        ; -- End function
	.set _ZN9rocsparseL19gebsrmvn_1xn_kernelILj128ELj9ELj64EfEEvi20rocsparse_direction_NS_24const_host_device_scalarIT2_EEPKiS6_PKS3_S8_S4_PS3_21rocsparse_index_base_b.num_vgpr, 34
	.set _ZN9rocsparseL19gebsrmvn_1xn_kernelILj128ELj9ELj64EfEEvi20rocsparse_direction_NS_24const_host_device_scalarIT2_EEPKiS6_PKS3_S8_S4_PS3_21rocsparse_index_base_b.num_agpr, 0
	.set _ZN9rocsparseL19gebsrmvn_1xn_kernelILj128ELj9ELj64EfEEvi20rocsparse_direction_NS_24const_host_device_scalarIT2_EEPKiS6_PKS3_S8_S4_PS3_21rocsparse_index_base_b.numbered_sgpr, 14
	.set _ZN9rocsparseL19gebsrmvn_1xn_kernelILj128ELj9ELj64EfEEvi20rocsparse_direction_NS_24const_host_device_scalarIT2_EEPKiS6_PKS3_S8_S4_PS3_21rocsparse_index_base_b.num_named_barrier, 0
	.set _ZN9rocsparseL19gebsrmvn_1xn_kernelILj128ELj9ELj64EfEEvi20rocsparse_direction_NS_24const_host_device_scalarIT2_EEPKiS6_PKS3_S8_S4_PS3_21rocsparse_index_base_b.private_seg_size, 0
	.set _ZN9rocsparseL19gebsrmvn_1xn_kernelILj128ELj9ELj64EfEEvi20rocsparse_direction_NS_24const_host_device_scalarIT2_EEPKiS6_PKS3_S8_S4_PS3_21rocsparse_index_base_b.uses_vcc, 1
	.set _ZN9rocsparseL19gebsrmvn_1xn_kernelILj128ELj9ELj64EfEEvi20rocsparse_direction_NS_24const_host_device_scalarIT2_EEPKiS6_PKS3_S8_S4_PS3_21rocsparse_index_base_b.uses_flat_scratch, 0
	.set _ZN9rocsparseL19gebsrmvn_1xn_kernelILj128ELj9ELj64EfEEvi20rocsparse_direction_NS_24const_host_device_scalarIT2_EEPKiS6_PKS3_S8_S4_PS3_21rocsparse_index_base_b.has_dyn_sized_stack, 0
	.set _ZN9rocsparseL19gebsrmvn_1xn_kernelILj128ELj9ELj64EfEEvi20rocsparse_direction_NS_24const_host_device_scalarIT2_EEPKiS6_PKS3_S8_S4_PS3_21rocsparse_index_base_b.has_recursion, 0
	.set _ZN9rocsparseL19gebsrmvn_1xn_kernelILj128ELj9ELj64EfEEvi20rocsparse_direction_NS_24const_host_device_scalarIT2_EEPKiS6_PKS3_S8_S4_PS3_21rocsparse_index_base_b.has_indirect_call, 0
	.section	.AMDGPU.csdata,"",@progbits
; Kernel info:
; codeLenInByte = 1420
; TotalNumSgprs: 16
; NumVgprs: 34
; ScratchSize: 0
; MemoryBound: 0
; FloatMode: 240
; IeeeMode: 1
; LDSByteSize: 0 bytes/workgroup (compile time only)
; SGPRBlocks: 0
; VGPRBlocks: 4
; NumSGPRsForWavesPerEU: 16
; NumVGPRsForWavesPerEU: 34
; Occupancy: 16
; WaveLimiterHint : 1
; COMPUTE_PGM_RSRC2:SCRATCH_EN: 0
; COMPUTE_PGM_RSRC2:USER_SGPR: 6
; COMPUTE_PGM_RSRC2:TRAP_HANDLER: 0
; COMPUTE_PGM_RSRC2:TGID_X_EN: 1
; COMPUTE_PGM_RSRC2:TGID_Y_EN: 0
; COMPUTE_PGM_RSRC2:TGID_Z_EN: 0
; COMPUTE_PGM_RSRC2:TIDIG_COMP_CNT: 0
	.section	.text._ZN9rocsparseL19gebsrmvn_1xn_kernelILj128ELj10ELj4EfEEvi20rocsparse_direction_NS_24const_host_device_scalarIT2_EEPKiS6_PKS3_S8_S4_PS3_21rocsparse_index_base_b,"axG",@progbits,_ZN9rocsparseL19gebsrmvn_1xn_kernelILj128ELj10ELj4EfEEvi20rocsparse_direction_NS_24const_host_device_scalarIT2_EEPKiS6_PKS3_S8_S4_PS3_21rocsparse_index_base_b,comdat
	.globl	_ZN9rocsparseL19gebsrmvn_1xn_kernelILj128ELj10ELj4EfEEvi20rocsparse_direction_NS_24const_host_device_scalarIT2_EEPKiS6_PKS3_S8_S4_PS3_21rocsparse_index_base_b ; -- Begin function _ZN9rocsparseL19gebsrmvn_1xn_kernelILj128ELj10ELj4EfEEvi20rocsparse_direction_NS_24const_host_device_scalarIT2_EEPKiS6_PKS3_S8_S4_PS3_21rocsparse_index_base_b
	.p2align	8
	.type	_ZN9rocsparseL19gebsrmvn_1xn_kernelILj128ELj10ELj4EfEEvi20rocsparse_direction_NS_24const_host_device_scalarIT2_EEPKiS6_PKS3_S8_S4_PS3_21rocsparse_index_base_b,@function
_ZN9rocsparseL19gebsrmvn_1xn_kernelILj128ELj10ELj4EfEEvi20rocsparse_direction_NS_24const_host_device_scalarIT2_EEPKiS6_PKS3_S8_S4_PS3_21rocsparse_index_base_b: ; @_ZN9rocsparseL19gebsrmvn_1xn_kernelILj128ELj10ELj4EfEEvi20rocsparse_direction_NS_24const_host_device_scalarIT2_EEPKiS6_PKS3_S8_S4_PS3_21rocsparse_index_base_b
; %bb.0:
	s_clause 0x2
	s_load_dwordx2 s[12:13], s[4:5], 0x40
	s_load_dwordx2 s[10:11], s[4:5], 0x8
	;; [unrolled: 1-line block ×3, first 2 shown]
	s_waitcnt lgkmcnt(0)
	s_bitcmp1_b32 s13, 0
	s_cselect_b32 s0, -1, 0
	s_and_b32 vcc_lo, exec_lo, s0
	s_xor_b32 s0, s0, -1
	s_cbranch_vccnz .LBB40_2
; %bb.1:
	s_load_dword s10, s[10:11], 0x0
.LBB40_2:
	s_andn2_b32 vcc_lo, exec_lo, s0
	s_cbranch_vccnz .LBB40_4
; %bb.3:
	s_load_dword s8, s[8:9], 0x0
.LBB40_4:
	s_waitcnt lgkmcnt(0)
	v_cmp_eq_f32_e64 s0, s10, 0
	v_cmp_eq_f32_e64 s1, s8, 1.0
	s_and_b32 s0, s0, s1
	s_and_b32 vcc_lo, exec_lo, s0
	s_cbranch_vccnz .LBB40_15
; %bb.5:
	s_load_dword s0, s[4:5], 0x0
	v_lshrrev_b32_e32 v1, 2, v0
	v_lshl_or_b32 v1, s6, 5, v1
	s_waitcnt lgkmcnt(0)
	v_cmp_gt_i32_e32 vcc_lo, s0, v1
	s_and_saveexec_b32 s0, vcc_lo
	s_cbranch_execz .LBB40_15
; %bb.6:
	s_clause 0x1
	s_load_dwordx2 s[0:1], s[4:5], 0x10
	s_load_dwordx2 s[6:7], s[4:5], 0x38
	v_ashrrev_i32_e32 v2, 31, v1
	v_and_b32_e32 v0, 3, v0
	v_mov_b32_e32 v9, 0
	s_mov_b32 s9, exec_lo
	v_lshlrev_b64 v[1:2], 2, v[1:2]
	v_subrev_nc_u32_e32 v5, s12, v0
	s_waitcnt lgkmcnt(0)
	v_add_co_u32 v3, vcc_lo, s0, v1
	v_add_co_ci_u32_e64 v4, null, s1, v2, vcc_lo
	global_load_dwordx2 v[3:4], v[3:4], off
	s_waitcnt vmcnt(0)
	v_subrev_nc_u32_e32 v10, s12, v4
	v_add_nc_u32_e32 v3, v3, v5
	v_cmpx_lt_i32_e64 v3, v10
	s_cbranch_execz .LBB40_10
; %bb.7:
	s_clause 0x1
	s_load_dwordx4 s[0:3], s[4:5], 0x18
	s_load_dwordx2 s[4:5], s[4:5], 0x28
	v_mad_u64_u32 v[5:6], null, v3, 10, 9
	v_mov_b32_e32 v8, 0
	v_mov_b32_e32 v9, 0
	s_mov_b32 s11, 0
.LBB40_8:                               ; =>This Inner Loop Header: Depth=1
	v_ashrrev_i32_e32 v4, 31, v3
	v_mov_b32_e32 v12, v8
	v_lshlrev_b64 v[6:7], 2, v[3:4]
	v_add_nc_u32_e32 v3, 4, v3
	s_waitcnt lgkmcnt(0)
	v_add_co_u32 v6, vcc_lo, s0, v6
	v_add_co_ci_u32_e64 v7, null, s1, v7, vcc_lo
	global_load_dword v4, v[6:7], off
	v_add_nc_u32_e32 v7, -9, v5
	v_mov_b32_e32 v6, v8
	v_lshlrev_b64 v[13:14], 2, v[7:8]
	v_add_nc_u32_e32 v7, -7, v5
	v_lshlrev_b64 v[15:16], 2, v[5:6]
	v_lshlrev_b64 v[6:7], 2, v[7:8]
	v_add_co_u32 v13, vcc_lo, s2, v13
	v_add_co_ci_u32_e64 v14, null, s3, v14, vcc_lo
	v_add_co_u32 v6, vcc_lo, s2, v6
	v_add_co_ci_u32_e64 v7, null, s3, v7, vcc_lo
	s_clause 0x1
	global_load_dwordx2 v[13:14], v[13:14], off
	global_load_dword v29, v[6:7], off
	s_waitcnt vmcnt(2)
	v_subrev_nc_u32_e32 v4, s12, v4
	v_mul_lo_u32 v11, v4, 10
	v_add_nc_u32_e32 v7, 2, v11
	v_lshlrev_b64 v[17:18], 2, v[11:12]
	v_lshlrev_b64 v[19:20], 2, v[7:8]
	v_add_nc_u32_e32 v7, -6, v5
	v_add_co_u32 v17, vcc_lo, s4, v17
	v_add_co_ci_u32_e64 v18, null, s5, v18, vcc_lo
	v_lshlrev_b64 v[21:22], 2, v[7:8]
	v_add_nc_u32_e32 v7, -5, v5
	v_add_co_u32 v19, vcc_lo, s4, v19
	v_add_co_ci_u32_e64 v20, null, s5, v20, vcc_lo
	v_lshlrev_b64 v[23:24], 2, v[7:8]
	v_add_nc_u32_e32 v7, 4, v11
	v_add_co_u32 v21, vcc_lo, s2, v21
	v_add_co_ci_u32_e64 v22, null, s3, v22, vcc_lo
	v_lshlrev_b64 v[25:26], 2, v[7:8]
	v_add_nc_u32_e32 v7, -4, v5
	s_clause 0x1
	global_load_dwordx2 v[17:18], v[17:18], off
	global_load_dwordx2 v[19:20], v[19:20], off
	global_load_dword v4, v[21:22], off
	v_add_co_u32 v21, vcc_lo, s2, v23
	v_add_co_ci_u32_e64 v22, null, s3, v24, vcc_lo
	v_lshlrev_b64 v[23:24], 2, v[7:8]
	v_add_co_u32 v25, vcc_lo, s4, v25
	v_add_co_ci_u32_e64 v26, null, s5, v26, vcc_lo
	v_add_nc_u32_e32 v7, -3, v5
	v_add_co_u32 v23, vcc_lo, s2, v23
	v_add_co_ci_u32_e64 v24, null, s3, v24, vcc_lo
	global_load_dword v30, v[21:22], off
	global_load_dwordx2 v[25:26], v[25:26], off
	global_load_dword v31, v[23:24], off
	v_lshlrev_b64 v[21:22], 2, v[7:8]
	v_add_nc_u32_e32 v7, 6, v11
	v_lshlrev_b64 v[27:28], 2, v[7:8]
	v_add_nc_u32_e32 v7, -2, v5
	v_add_co_u32 v21, vcc_lo, s2, v21
	v_add_co_ci_u32_e64 v22, null, s3, v22, vcc_lo
	v_lshlrev_b64 v[23:24], 2, v[7:8]
	v_add_nc_u32_e32 v7, -1, v5
	v_add_nc_u32_e32 v5, 40, v5
	global_load_dword v32, v[21:22], off
	v_add_co_u32 v21, vcc_lo, s4, v27
	v_add_co_ci_u32_e64 v22, null, s5, v28, vcc_lo
	v_lshlrev_b64 v[27:28], 2, v[7:8]
	v_add_nc_u32_e32 v7, 8, v11
	v_add_co_u32 v11, vcc_lo, s2, v23
	v_add_co_ci_u32_e64 v12, null, s3, v24, vcc_lo
	v_lshlrev_b64 v[6:7], 2, v[7:8]
	global_load_dwordx2 v[21:22], v[21:22], off
	global_load_dword v23, v[11:12], off
	v_add_co_u32 v11, vcc_lo, s2, v27
	v_add_co_ci_u32_e64 v12, null, s3, v28, vcc_lo
	v_add_co_u32 v6, vcc_lo, s4, v6
	v_add_co_ci_u32_e64 v7, null, s5, v7, vcc_lo
	;; [unrolled: 2-line block ×3, first 2 shown]
	global_load_dword v11, v[11:12], off
	global_load_dwordx2 v[6:7], v[6:7], off
	global_load_dword v12, v[15:16], off
	v_cmp_ge_i32_e32 vcc_lo, v3, v10
	s_or_b32 s11, vcc_lo, s11
	s_waitcnt vmcnt(11)
	v_fmac_f32_e32 v9, v13, v17
	v_fmac_f32_e32 v9, v14, v18
	s_waitcnt vmcnt(10)
	v_fmac_f32_e32 v9, v29, v19
	s_waitcnt vmcnt(9)
	;; [unrolled: 2-line block ×8, first 2 shown]
	v_fmac_f32_e32 v9, v12, v7
	s_andn2_b32 exec_lo, exec_lo, s11
	s_cbranch_execnz .LBB40_8
; %bb.9:
	s_or_b32 exec_lo, exec_lo, s11
.LBB40_10:
	s_or_b32 exec_lo, exec_lo, s9
	v_mbcnt_lo_u32_b32 v3, -1, 0
	s_mov_b32 s0, -1
	v_xor_b32_e32 v4, 2, v3
	v_xor_b32_e32 v5, 1, v3
	v_cmp_gt_i32_e32 vcc_lo, 32, v4
	v_cndmask_b32_e32 v4, v3, v4, vcc_lo
	v_cmp_gt_i32_e32 vcc_lo, 32, v5
	v_lshlrev_b32_e32 v4, 2, v4
	v_cndmask_b32_e32 v5, v3, v5, vcc_lo
	v_cmp_eq_u32_e32 vcc_lo, 3, v0
	ds_bpermute_b32 v4, v4, v9
	s_waitcnt lgkmcnt(0)
	v_add_f32_e32 v3, v9, v4
	v_lshlrev_b32_e32 v4, 2, v5
	ds_bpermute_b32 v4, v4, v3
	s_and_b32 exec_lo, exec_lo, vcc_lo
	s_cbranch_execz .LBB40_15
; %bb.11:
	s_waitcnt lgkmcnt(0)
	v_add_f32_e32 v0, v3, v4
	v_cmp_eq_f32_e64 s1, s8, 0
	v_mul_f32_e32 v0, s10, v0
	s_and_b32 vcc_lo, exec_lo, s1
	s_cbranch_vccz .LBB40_13
; %bb.12:
	v_add_co_u32 v3, vcc_lo, s6, v1
	v_add_co_ci_u32_e64 v4, null, s7, v2, vcc_lo
	s_mov_b32 s0, 0
	global_store_dword v[3:4], v0, off
.LBB40_13:
	s_andn2_b32 vcc_lo, exec_lo, s0
	s_cbranch_vccnz .LBB40_15
; %bb.14:
	v_add_co_u32 v1, vcc_lo, s6, v1
	v_add_co_ci_u32_e64 v2, null, s7, v2, vcc_lo
	global_load_dword v3, v[1:2], off
	s_waitcnt vmcnt(0)
	v_fmac_f32_e32 v0, s8, v3
	global_store_dword v[1:2], v0, off
.LBB40_15:
	s_endpgm
	.section	.rodata,"a",@progbits
	.p2align	6, 0x0
	.amdhsa_kernel _ZN9rocsparseL19gebsrmvn_1xn_kernelILj128ELj10ELj4EfEEvi20rocsparse_direction_NS_24const_host_device_scalarIT2_EEPKiS6_PKS3_S8_S4_PS3_21rocsparse_index_base_b
		.amdhsa_group_segment_fixed_size 0
		.amdhsa_private_segment_fixed_size 0
		.amdhsa_kernarg_size 72
		.amdhsa_user_sgpr_count 6
		.amdhsa_user_sgpr_private_segment_buffer 1
		.amdhsa_user_sgpr_dispatch_ptr 0
		.amdhsa_user_sgpr_queue_ptr 0
		.amdhsa_user_sgpr_kernarg_segment_ptr 1
		.amdhsa_user_sgpr_dispatch_id 0
		.amdhsa_user_sgpr_flat_scratch_init 0
		.amdhsa_user_sgpr_private_segment_size 0
		.amdhsa_wavefront_size32 1
		.amdhsa_uses_dynamic_stack 0
		.amdhsa_system_sgpr_private_segment_wavefront_offset 0
		.amdhsa_system_sgpr_workgroup_id_x 1
		.amdhsa_system_sgpr_workgroup_id_y 0
		.amdhsa_system_sgpr_workgroup_id_z 0
		.amdhsa_system_sgpr_workgroup_info 0
		.amdhsa_system_vgpr_workitem_id 0
		.amdhsa_next_free_vgpr 33
		.amdhsa_next_free_sgpr 14
		.amdhsa_reserve_vcc 1
		.amdhsa_reserve_flat_scratch 0
		.amdhsa_float_round_mode_32 0
		.amdhsa_float_round_mode_16_64 0
		.amdhsa_float_denorm_mode_32 3
		.amdhsa_float_denorm_mode_16_64 3
		.amdhsa_dx10_clamp 1
		.amdhsa_ieee_mode 1
		.amdhsa_fp16_overflow 0
		.amdhsa_workgroup_processor_mode 1
		.amdhsa_memory_ordered 1
		.amdhsa_forward_progress 1
		.amdhsa_shared_vgpr_count 0
		.amdhsa_exception_fp_ieee_invalid_op 0
		.amdhsa_exception_fp_denorm_src 0
		.amdhsa_exception_fp_ieee_div_zero 0
		.amdhsa_exception_fp_ieee_overflow 0
		.amdhsa_exception_fp_ieee_underflow 0
		.amdhsa_exception_fp_ieee_inexact 0
		.amdhsa_exception_int_div_zero 0
	.end_amdhsa_kernel
	.section	.text._ZN9rocsparseL19gebsrmvn_1xn_kernelILj128ELj10ELj4EfEEvi20rocsparse_direction_NS_24const_host_device_scalarIT2_EEPKiS6_PKS3_S8_S4_PS3_21rocsparse_index_base_b,"axG",@progbits,_ZN9rocsparseL19gebsrmvn_1xn_kernelILj128ELj10ELj4EfEEvi20rocsparse_direction_NS_24const_host_device_scalarIT2_EEPKiS6_PKS3_S8_S4_PS3_21rocsparse_index_base_b,comdat
.Lfunc_end40:
	.size	_ZN9rocsparseL19gebsrmvn_1xn_kernelILj128ELj10ELj4EfEEvi20rocsparse_direction_NS_24const_host_device_scalarIT2_EEPKiS6_PKS3_S8_S4_PS3_21rocsparse_index_base_b, .Lfunc_end40-_ZN9rocsparseL19gebsrmvn_1xn_kernelILj128ELj10ELj4EfEEvi20rocsparse_direction_NS_24const_host_device_scalarIT2_EEPKiS6_PKS3_S8_S4_PS3_21rocsparse_index_base_b
                                        ; -- End function
	.set _ZN9rocsparseL19gebsrmvn_1xn_kernelILj128ELj10ELj4EfEEvi20rocsparse_direction_NS_24const_host_device_scalarIT2_EEPKiS6_PKS3_S8_S4_PS3_21rocsparse_index_base_b.num_vgpr, 33
	.set _ZN9rocsparseL19gebsrmvn_1xn_kernelILj128ELj10ELj4EfEEvi20rocsparse_direction_NS_24const_host_device_scalarIT2_EEPKiS6_PKS3_S8_S4_PS3_21rocsparse_index_base_b.num_agpr, 0
	.set _ZN9rocsparseL19gebsrmvn_1xn_kernelILj128ELj10ELj4EfEEvi20rocsparse_direction_NS_24const_host_device_scalarIT2_EEPKiS6_PKS3_S8_S4_PS3_21rocsparse_index_base_b.numbered_sgpr, 14
	.set _ZN9rocsparseL19gebsrmvn_1xn_kernelILj128ELj10ELj4EfEEvi20rocsparse_direction_NS_24const_host_device_scalarIT2_EEPKiS6_PKS3_S8_S4_PS3_21rocsparse_index_base_b.num_named_barrier, 0
	.set _ZN9rocsparseL19gebsrmvn_1xn_kernelILj128ELj10ELj4EfEEvi20rocsparse_direction_NS_24const_host_device_scalarIT2_EEPKiS6_PKS3_S8_S4_PS3_21rocsparse_index_base_b.private_seg_size, 0
	.set _ZN9rocsparseL19gebsrmvn_1xn_kernelILj128ELj10ELj4EfEEvi20rocsparse_direction_NS_24const_host_device_scalarIT2_EEPKiS6_PKS3_S8_S4_PS3_21rocsparse_index_base_b.uses_vcc, 1
	.set _ZN9rocsparseL19gebsrmvn_1xn_kernelILj128ELj10ELj4EfEEvi20rocsparse_direction_NS_24const_host_device_scalarIT2_EEPKiS6_PKS3_S8_S4_PS3_21rocsparse_index_base_b.uses_flat_scratch, 0
	.set _ZN9rocsparseL19gebsrmvn_1xn_kernelILj128ELj10ELj4EfEEvi20rocsparse_direction_NS_24const_host_device_scalarIT2_EEPKiS6_PKS3_S8_S4_PS3_21rocsparse_index_base_b.has_dyn_sized_stack, 0
	.set _ZN9rocsparseL19gebsrmvn_1xn_kernelILj128ELj10ELj4EfEEvi20rocsparse_direction_NS_24const_host_device_scalarIT2_EEPKiS6_PKS3_S8_S4_PS3_21rocsparse_index_base_b.has_recursion, 0
	.set _ZN9rocsparseL19gebsrmvn_1xn_kernelILj128ELj10ELj4EfEEvi20rocsparse_direction_NS_24const_host_device_scalarIT2_EEPKiS6_PKS3_S8_S4_PS3_21rocsparse_index_base_b.has_indirect_call, 0
	.section	.AMDGPU.csdata,"",@progbits
; Kernel info:
; codeLenInByte = 1148
; TotalNumSgprs: 16
; NumVgprs: 33
; ScratchSize: 0
; MemoryBound: 0
; FloatMode: 240
; IeeeMode: 1
; LDSByteSize: 0 bytes/workgroup (compile time only)
; SGPRBlocks: 0
; VGPRBlocks: 4
; NumSGPRsForWavesPerEU: 16
; NumVGPRsForWavesPerEU: 33
; Occupancy: 16
; WaveLimiterHint : 1
; COMPUTE_PGM_RSRC2:SCRATCH_EN: 0
; COMPUTE_PGM_RSRC2:USER_SGPR: 6
; COMPUTE_PGM_RSRC2:TRAP_HANDLER: 0
; COMPUTE_PGM_RSRC2:TGID_X_EN: 1
; COMPUTE_PGM_RSRC2:TGID_Y_EN: 0
; COMPUTE_PGM_RSRC2:TGID_Z_EN: 0
; COMPUTE_PGM_RSRC2:TIDIG_COMP_CNT: 0
	.section	.text._ZN9rocsparseL19gebsrmvn_1xn_kernelILj128ELj10ELj8EfEEvi20rocsparse_direction_NS_24const_host_device_scalarIT2_EEPKiS6_PKS3_S8_S4_PS3_21rocsparse_index_base_b,"axG",@progbits,_ZN9rocsparseL19gebsrmvn_1xn_kernelILj128ELj10ELj8EfEEvi20rocsparse_direction_NS_24const_host_device_scalarIT2_EEPKiS6_PKS3_S8_S4_PS3_21rocsparse_index_base_b,comdat
	.globl	_ZN9rocsparseL19gebsrmvn_1xn_kernelILj128ELj10ELj8EfEEvi20rocsparse_direction_NS_24const_host_device_scalarIT2_EEPKiS6_PKS3_S8_S4_PS3_21rocsparse_index_base_b ; -- Begin function _ZN9rocsparseL19gebsrmvn_1xn_kernelILj128ELj10ELj8EfEEvi20rocsparse_direction_NS_24const_host_device_scalarIT2_EEPKiS6_PKS3_S8_S4_PS3_21rocsparse_index_base_b
	.p2align	8
	.type	_ZN9rocsparseL19gebsrmvn_1xn_kernelILj128ELj10ELj8EfEEvi20rocsparse_direction_NS_24const_host_device_scalarIT2_EEPKiS6_PKS3_S8_S4_PS3_21rocsparse_index_base_b,@function
_ZN9rocsparseL19gebsrmvn_1xn_kernelILj128ELj10ELj8EfEEvi20rocsparse_direction_NS_24const_host_device_scalarIT2_EEPKiS6_PKS3_S8_S4_PS3_21rocsparse_index_base_b: ; @_ZN9rocsparseL19gebsrmvn_1xn_kernelILj128ELj10ELj8EfEEvi20rocsparse_direction_NS_24const_host_device_scalarIT2_EEPKiS6_PKS3_S8_S4_PS3_21rocsparse_index_base_b
; %bb.0:
	s_clause 0x2
	s_load_dwordx2 s[12:13], s[4:5], 0x40
	s_load_dwordx2 s[10:11], s[4:5], 0x8
	;; [unrolled: 1-line block ×3, first 2 shown]
	s_waitcnt lgkmcnt(0)
	s_bitcmp1_b32 s13, 0
	s_cselect_b32 s0, -1, 0
	s_and_b32 vcc_lo, exec_lo, s0
	s_xor_b32 s0, s0, -1
	s_cbranch_vccnz .LBB41_2
; %bb.1:
	s_load_dword s10, s[10:11], 0x0
.LBB41_2:
	s_andn2_b32 vcc_lo, exec_lo, s0
	s_cbranch_vccnz .LBB41_4
; %bb.3:
	s_load_dword s8, s[8:9], 0x0
.LBB41_4:
	s_waitcnt lgkmcnt(0)
	v_cmp_eq_f32_e64 s0, s10, 0
	v_cmp_eq_f32_e64 s1, s8, 1.0
	s_and_b32 s0, s0, s1
	s_and_b32 vcc_lo, exec_lo, s0
	s_cbranch_vccnz .LBB41_15
; %bb.5:
	s_load_dword s0, s[4:5], 0x0
	v_lshrrev_b32_e32 v1, 3, v0
	v_lshl_or_b32 v1, s6, 4, v1
	s_waitcnt lgkmcnt(0)
	v_cmp_gt_i32_e32 vcc_lo, s0, v1
	s_and_saveexec_b32 s0, vcc_lo
	s_cbranch_execz .LBB41_15
; %bb.6:
	s_clause 0x1
	s_load_dwordx2 s[0:1], s[4:5], 0x10
	s_load_dwordx2 s[6:7], s[4:5], 0x38
	v_ashrrev_i32_e32 v2, 31, v1
	v_and_b32_e32 v0, 7, v0
	v_mov_b32_e32 v9, 0
	s_mov_b32 s9, exec_lo
	v_lshlrev_b64 v[1:2], 2, v[1:2]
	v_subrev_nc_u32_e32 v5, s12, v0
	s_waitcnt lgkmcnt(0)
	v_add_co_u32 v3, vcc_lo, s0, v1
	v_add_co_ci_u32_e64 v4, null, s1, v2, vcc_lo
	global_load_dwordx2 v[3:4], v[3:4], off
	s_waitcnt vmcnt(0)
	v_subrev_nc_u32_e32 v10, s12, v4
	v_add_nc_u32_e32 v3, v3, v5
	v_cmpx_lt_i32_e64 v3, v10
	s_cbranch_execz .LBB41_10
; %bb.7:
	s_clause 0x1
	s_load_dwordx4 s[0:3], s[4:5], 0x18
	s_load_dwordx2 s[4:5], s[4:5], 0x28
	v_mad_u64_u32 v[5:6], null, v3, 10, 9
	v_mov_b32_e32 v8, 0
	v_mov_b32_e32 v9, 0
	s_mov_b32 s11, 0
.LBB41_8:                               ; =>This Inner Loop Header: Depth=1
	v_ashrrev_i32_e32 v4, 31, v3
	v_mov_b32_e32 v12, v8
	v_lshlrev_b64 v[6:7], 2, v[3:4]
	v_add_nc_u32_e32 v3, 8, v3
	s_waitcnt lgkmcnt(0)
	v_add_co_u32 v6, vcc_lo, s0, v6
	v_add_co_ci_u32_e64 v7, null, s1, v7, vcc_lo
	global_load_dword v4, v[6:7], off
	v_add_nc_u32_e32 v7, -9, v5
	v_mov_b32_e32 v6, v8
	v_lshlrev_b64 v[13:14], 2, v[7:8]
	v_add_nc_u32_e32 v7, -7, v5
	v_lshlrev_b64 v[15:16], 2, v[5:6]
	v_lshlrev_b64 v[6:7], 2, v[7:8]
	v_add_co_u32 v13, vcc_lo, s2, v13
	v_add_co_ci_u32_e64 v14, null, s3, v14, vcc_lo
	v_add_co_u32 v6, vcc_lo, s2, v6
	v_add_co_ci_u32_e64 v7, null, s3, v7, vcc_lo
	s_clause 0x1
	global_load_dwordx2 v[13:14], v[13:14], off
	global_load_dword v29, v[6:7], off
	s_waitcnt vmcnt(2)
	v_subrev_nc_u32_e32 v4, s12, v4
	v_mul_lo_u32 v11, v4, 10
	v_add_nc_u32_e32 v7, 2, v11
	v_lshlrev_b64 v[17:18], 2, v[11:12]
	v_lshlrev_b64 v[19:20], 2, v[7:8]
	v_add_nc_u32_e32 v7, -6, v5
	v_add_co_u32 v17, vcc_lo, s4, v17
	v_add_co_ci_u32_e64 v18, null, s5, v18, vcc_lo
	v_lshlrev_b64 v[21:22], 2, v[7:8]
	v_add_nc_u32_e32 v7, -5, v5
	v_add_co_u32 v19, vcc_lo, s4, v19
	v_add_co_ci_u32_e64 v20, null, s5, v20, vcc_lo
	v_lshlrev_b64 v[23:24], 2, v[7:8]
	v_add_nc_u32_e32 v7, 4, v11
	v_add_co_u32 v21, vcc_lo, s2, v21
	v_add_co_ci_u32_e64 v22, null, s3, v22, vcc_lo
	v_lshlrev_b64 v[25:26], 2, v[7:8]
	v_add_nc_u32_e32 v7, -4, v5
	s_clause 0x1
	global_load_dwordx2 v[17:18], v[17:18], off
	global_load_dwordx2 v[19:20], v[19:20], off
	global_load_dword v4, v[21:22], off
	v_add_co_u32 v21, vcc_lo, s2, v23
	v_add_co_ci_u32_e64 v22, null, s3, v24, vcc_lo
	v_lshlrev_b64 v[23:24], 2, v[7:8]
	v_add_co_u32 v25, vcc_lo, s4, v25
	v_add_co_ci_u32_e64 v26, null, s5, v26, vcc_lo
	v_add_nc_u32_e32 v7, -3, v5
	v_add_co_u32 v23, vcc_lo, s2, v23
	v_add_co_ci_u32_e64 v24, null, s3, v24, vcc_lo
	global_load_dword v30, v[21:22], off
	global_load_dwordx2 v[25:26], v[25:26], off
	global_load_dword v31, v[23:24], off
	v_lshlrev_b64 v[21:22], 2, v[7:8]
	v_add_nc_u32_e32 v7, 6, v11
	v_lshlrev_b64 v[27:28], 2, v[7:8]
	v_add_nc_u32_e32 v7, -2, v5
	v_add_co_u32 v21, vcc_lo, s2, v21
	v_add_co_ci_u32_e64 v22, null, s3, v22, vcc_lo
	v_lshlrev_b64 v[23:24], 2, v[7:8]
	v_add_nc_u32_e32 v7, -1, v5
	v_add_nc_u32_e32 v5, 0x50, v5
	global_load_dword v32, v[21:22], off
	v_add_co_u32 v21, vcc_lo, s4, v27
	v_add_co_ci_u32_e64 v22, null, s5, v28, vcc_lo
	v_lshlrev_b64 v[27:28], 2, v[7:8]
	v_add_nc_u32_e32 v7, 8, v11
	v_add_co_u32 v11, vcc_lo, s2, v23
	v_add_co_ci_u32_e64 v12, null, s3, v24, vcc_lo
	v_lshlrev_b64 v[6:7], 2, v[7:8]
	global_load_dwordx2 v[21:22], v[21:22], off
	global_load_dword v23, v[11:12], off
	v_add_co_u32 v11, vcc_lo, s2, v27
	v_add_co_ci_u32_e64 v12, null, s3, v28, vcc_lo
	v_add_co_u32 v6, vcc_lo, s4, v6
	v_add_co_ci_u32_e64 v7, null, s5, v7, vcc_lo
	;; [unrolled: 2-line block ×3, first 2 shown]
	global_load_dword v11, v[11:12], off
	global_load_dwordx2 v[6:7], v[6:7], off
	global_load_dword v12, v[15:16], off
	v_cmp_ge_i32_e32 vcc_lo, v3, v10
	s_or_b32 s11, vcc_lo, s11
	s_waitcnt vmcnt(11)
	v_fmac_f32_e32 v9, v13, v17
	v_fmac_f32_e32 v9, v14, v18
	s_waitcnt vmcnt(10)
	v_fmac_f32_e32 v9, v29, v19
	s_waitcnt vmcnt(9)
	;; [unrolled: 2-line block ×8, first 2 shown]
	v_fmac_f32_e32 v9, v12, v7
	s_andn2_b32 exec_lo, exec_lo, s11
	s_cbranch_execnz .LBB41_8
; %bb.9:
	s_or_b32 exec_lo, exec_lo, s11
.LBB41_10:
	s_or_b32 exec_lo, exec_lo, s9
	v_mbcnt_lo_u32_b32 v3, -1, 0
	s_mov_b32 s0, -1
	v_xor_b32_e32 v4, 4, v3
	v_xor_b32_e32 v5, 2, v3
	;; [unrolled: 1-line block ×3, first 2 shown]
	v_cmp_gt_i32_e32 vcc_lo, 32, v4
	v_cndmask_b32_e32 v4, v3, v4, vcc_lo
	v_cmp_gt_i32_e32 vcc_lo, 32, v5
	v_lshlrev_b32_e32 v4, 2, v4
	v_cndmask_b32_e32 v5, v3, v5, vcc_lo
	v_cmp_gt_i32_e32 vcc_lo, 32, v6
	ds_bpermute_b32 v4, v4, v9
	v_lshlrev_b32_e32 v5, 2, v5
	v_cndmask_b32_e32 v6, v3, v6, vcc_lo
	v_cmp_eq_u32_e32 vcc_lo, 7, v0
	s_waitcnt lgkmcnt(0)
	v_add_f32_e32 v4, v9, v4
	ds_bpermute_b32 v5, v5, v4
	s_waitcnt lgkmcnt(0)
	v_add_f32_e32 v3, v4, v5
	v_lshlrev_b32_e32 v4, 2, v6
	ds_bpermute_b32 v4, v4, v3
	s_and_b32 exec_lo, exec_lo, vcc_lo
	s_cbranch_execz .LBB41_15
; %bb.11:
	s_waitcnt lgkmcnt(0)
	v_add_f32_e32 v0, v3, v4
	v_cmp_eq_f32_e64 s1, s8, 0
	v_mul_f32_e32 v0, s10, v0
	s_and_b32 vcc_lo, exec_lo, s1
	s_cbranch_vccz .LBB41_13
; %bb.12:
	v_add_co_u32 v3, vcc_lo, s6, v1
	v_add_co_ci_u32_e64 v4, null, s7, v2, vcc_lo
	s_mov_b32 s0, 0
	global_store_dword v[3:4], v0, off
.LBB41_13:
	s_andn2_b32 vcc_lo, exec_lo, s0
	s_cbranch_vccnz .LBB41_15
; %bb.14:
	v_add_co_u32 v1, vcc_lo, s6, v1
	v_add_co_ci_u32_e64 v2, null, s7, v2, vcc_lo
	global_load_dword v3, v[1:2], off
	s_waitcnt vmcnt(0)
	v_fmac_f32_e32 v0, s8, v3
	global_store_dword v[1:2], v0, off
.LBB41_15:
	s_endpgm
	.section	.rodata,"a",@progbits
	.p2align	6, 0x0
	.amdhsa_kernel _ZN9rocsparseL19gebsrmvn_1xn_kernelILj128ELj10ELj8EfEEvi20rocsparse_direction_NS_24const_host_device_scalarIT2_EEPKiS6_PKS3_S8_S4_PS3_21rocsparse_index_base_b
		.amdhsa_group_segment_fixed_size 0
		.amdhsa_private_segment_fixed_size 0
		.amdhsa_kernarg_size 72
		.amdhsa_user_sgpr_count 6
		.amdhsa_user_sgpr_private_segment_buffer 1
		.amdhsa_user_sgpr_dispatch_ptr 0
		.amdhsa_user_sgpr_queue_ptr 0
		.amdhsa_user_sgpr_kernarg_segment_ptr 1
		.amdhsa_user_sgpr_dispatch_id 0
		.amdhsa_user_sgpr_flat_scratch_init 0
		.amdhsa_user_sgpr_private_segment_size 0
		.amdhsa_wavefront_size32 1
		.amdhsa_uses_dynamic_stack 0
		.amdhsa_system_sgpr_private_segment_wavefront_offset 0
		.amdhsa_system_sgpr_workgroup_id_x 1
		.amdhsa_system_sgpr_workgroup_id_y 0
		.amdhsa_system_sgpr_workgroup_id_z 0
		.amdhsa_system_sgpr_workgroup_info 0
		.amdhsa_system_vgpr_workitem_id 0
		.amdhsa_next_free_vgpr 33
		.amdhsa_next_free_sgpr 14
		.amdhsa_reserve_vcc 1
		.amdhsa_reserve_flat_scratch 0
		.amdhsa_float_round_mode_32 0
		.amdhsa_float_round_mode_16_64 0
		.amdhsa_float_denorm_mode_32 3
		.amdhsa_float_denorm_mode_16_64 3
		.amdhsa_dx10_clamp 1
		.amdhsa_ieee_mode 1
		.amdhsa_fp16_overflow 0
		.amdhsa_workgroup_processor_mode 1
		.amdhsa_memory_ordered 1
		.amdhsa_forward_progress 1
		.amdhsa_shared_vgpr_count 0
		.amdhsa_exception_fp_ieee_invalid_op 0
		.amdhsa_exception_fp_denorm_src 0
		.amdhsa_exception_fp_ieee_div_zero 0
		.amdhsa_exception_fp_ieee_overflow 0
		.amdhsa_exception_fp_ieee_underflow 0
		.amdhsa_exception_fp_ieee_inexact 0
		.amdhsa_exception_int_div_zero 0
	.end_amdhsa_kernel
	.section	.text._ZN9rocsparseL19gebsrmvn_1xn_kernelILj128ELj10ELj8EfEEvi20rocsparse_direction_NS_24const_host_device_scalarIT2_EEPKiS6_PKS3_S8_S4_PS3_21rocsparse_index_base_b,"axG",@progbits,_ZN9rocsparseL19gebsrmvn_1xn_kernelILj128ELj10ELj8EfEEvi20rocsparse_direction_NS_24const_host_device_scalarIT2_EEPKiS6_PKS3_S8_S4_PS3_21rocsparse_index_base_b,comdat
.Lfunc_end41:
	.size	_ZN9rocsparseL19gebsrmvn_1xn_kernelILj128ELj10ELj8EfEEvi20rocsparse_direction_NS_24const_host_device_scalarIT2_EEPKiS6_PKS3_S8_S4_PS3_21rocsparse_index_base_b, .Lfunc_end41-_ZN9rocsparseL19gebsrmvn_1xn_kernelILj128ELj10ELj8EfEEvi20rocsparse_direction_NS_24const_host_device_scalarIT2_EEPKiS6_PKS3_S8_S4_PS3_21rocsparse_index_base_b
                                        ; -- End function
	.set _ZN9rocsparseL19gebsrmvn_1xn_kernelILj128ELj10ELj8EfEEvi20rocsparse_direction_NS_24const_host_device_scalarIT2_EEPKiS6_PKS3_S8_S4_PS3_21rocsparse_index_base_b.num_vgpr, 33
	.set _ZN9rocsparseL19gebsrmvn_1xn_kernelILj128ELj10ELj8EfEEvi20rocsparse_direction_NS_24const_host_device_scalarIT2_EEPKiS6_PKS3_S8_S4_PS3_21rocsparse_index_base_b.num_agpr, 0
	.set _ZN9rocsparseL19gebsrmvn_1xn_kernelILj128ELj10ELj8EfEEvi20rocsparse_direction_NS_24const_host_device_scalarIT2_EEPKiS6_PKS3_S8_S4_PS3_21rocsparse_index_base_b.numbered_sgpr, 14
	.set _ZN9rocsparseL19gebsrmvn_1xn_kernelILj128ELj10ELj8EfEEvi20rocsparse_direction_NS_24const_host_device_scalarIT2_EEPKiS6_PKS3_S8_S4_PS3_21rocsparse_index_base_b.num_named_barrier, 0
	.set _ZN9rocsparseL19gebsrmvn_1xn_kernelILj128ELj10ELj8EfEEvi20rocsparse_direction_NS_24const_host_device_scalarIT2_EEPKiS6_PKS3_S8_S4_PS3_21rocsparse_index_base_b.private_seg_size, 0
	.set _ZN9rocsparseL19gebsrmvn_1xn_kernelILj128ELj10ELj8EfEEvi20rocsparse_direction_NS_24const_host_device_scalarIT2_EEPKiS6_PKS3_S8_S4_PS3_21rocsparse_index_base_b.uses_vcc, 1
	.set _ZN9rocsparseL19gebsrmvn_1xn_kernelILj128ELj10ELj8EfEEvi20rocsparse_direction_NS_24const_host_device_scalarIT2_EEPKiS6_PKS3_S8_S4_PS3_21rocsparse_index_base_b.uses_flat_scratch, 0
	.set _ZN9rocsparseL19gebsrmvn_1xn_kernelILj128ELj10ELj8EfEEvi20rocsparse_direction_NS_24const_host_device_scalarIT2_EEPKiS6_PKS3_S8_S4_PS3_21rocsparse_index_base_b.has_dyn_sized_stack, 0
	.set _ZN9rocsparseL19gebsrmvn_1xn_kernelILj128ELj10ELj8EfEEvi20rocsparse_direction_NS_24const_host_device_scalarIT2_EEPKiS6_PKS3_S8_S4_PS3_21rocsparse_index_base_b.has_recursion, 0
	.set _ZN9rocsparseL19gebsrmvn_1xn_kernelILj128ELj10ELj8EfEEvi20rocsparse_direction_NS_24const_host_device_scalarIT2_EEPKiS6_PKS3_S8_S4_PS3_21rocsparse_index_base_b.has_indirect_call, 0
	.section	.AMDGPU.csdata,"",@progbits
; Kernel info:
; codeLenInByte = 1184
; TotalNumSgprs: 16
; NumVgprs: 33
; ScratchSize: 0
; MemoryBound: 0
; FloatMode: 240
; IeeeMode: 1
; LDSByteSize: 0 bytes/workgroup (compile time only)
; SGPRBlocks: 0
; VGPRBlocks: 4
; NumSGPRsForWavesPerEU: 16
; NumVGPRsForWavesPerEU: 33
; Occupancy: 16
; WaveLimiterHint : 1
; COMPUTE_PGM_RSRC2:SCRATCH_EN: 0
; COMPUTE_PGM_RSRC2:USER_SGPR: 6
; COMPUTE_PGM_RSRC2:TRAP_HANDLER: 0
; COMPUTE_PGM_RSRC2:TGID_X_EN: 1
; COMPUTE_PGM_RSRC2:TGID_Y_EN: 0
; COMPUTE_PGM_RSRC2:TGID_Z_EN: 0
; COMPUTE_PGM_RSRC2:TIDIG_COMP_CNT: 0
	.section	.text._ZN9rocsparseL19gebsrmvn_1xn_kernelILj128ELj10ELj16EfEEvi20rocsparse_direction_NS_24const_host_device_scalarIT2_EEPKiS6_PKS3_S8_S4_PS3_21rocsparse_index_base_b,"axG",@progbits,_ZN9rocsparseL19gebsrmvn_1xn_kernelILj128ELj10ELj16EfEEvi20rocsparse_direction_NS_24const_host_device_scalarIT2_EEPKiS6_PKS3_S8_S4_PS3_21rocsparse_index_base_b,comdat
	.globl	_ZN9rocsparseL19gebsrmvn_1xn_kernelILj128ELj10ELj16EfEEvi20rocsparse_direction_NS_24const_host_device_scalarIT2_EEPKiS6_PKS3_S8_S4_PS3_21rocsparse_index_base_b ; -- Begin function _ZN9rocsparseL19gebsrmvn_1xn_kernelILj128ELj10ELj16EfEEvi20rocsparse_direction_NS_24const_host_device_scalarIT2_EEPKiS6_PKS3_S8_S4_PS3_21rocsparse_index_base_b
	.p2align	8
	.type	_ZN9rocsparseL19gebsrmvn_1xn_kernelILj128ELj10ELj16EfEEvi20rocsparse_direction_NS_24const_host_device_scalarIT2_EEPKiS6_PKS3_S8_S4_PS3_21rocsparse_index_base_b,@function
_ZN9rocsparseL19gebsrmvn_1xn_kernelILj128ELj10ELj16EfEEvi20rocsparse_direction_NS_24const_host_device_scalarIT2_EEPKiS6_PKS3_S8_S4_PS3_21rocsparse_index_base_b: ; @_ZN9rocsparseL19gebsrmvn_1xn_kernelILj128ELj10ELj16EfEEvi20rocsparse_direction_NS_24const_host_device_scalarIT2_EEPKiS6_PKS3_S8_S4_PS3_21rocsparse_index_base_b
; %bb.0:
	s_clause 0x2
	s_load_dwordx2 s[12:13], s[4:5], 0x40
	s_load_dwordx2 s[10:11], s[4:5], 0x8
	;; [unrolled: 1-line block ×3, first 2 shown]
	s_waitcnt lgkmcnt(0)
	s_bitcmp1_b32 s13, 0
	s_cselect_b32 s0, -1, 0
	s_and_b32 vcc_lo, exec_lo, s0
	s_xor_b32 s0, s0, -1
	s_cbranch_vccnz .LBB42_2
; %bb.1:
	s_load_dword s10, s[10:11], 0x0
.LBB42_2:
	s_andn2_b32 vcc_lo, exec_lo, s0
	s_cbranch_vccnz .LBB42_4
; %bb.3:
	s_load_dword s8, s[8:9], 0x0
.LBB42_4:
	s_waitcnt lgkmcnt(0)
	v_cmp_eq_f32_e64 s0, s10, 0
	v_cmp_eq_f32_e64 s1, s8, 1.0
	s_and_b32 s0, s0, s1
	s_and_b32 vcc_lo, exec_lo, s0
	s_cbranch_vccnz .LBB42_15
; %bb.5:
	s_load_dword s0, s[4:5], 0x0
	v_lshrrev_b32_e32 v1, 4, v0
	v_lshl_or_b32 v1, s6, 3, v1
	s_waitcnt lgkmcnt(0)
	v_cmp_gt_i32_e32 vcc_lo, s0, v1
	s_and_saveexec_b32 s0, vcc_lo
	s_cbranch_execz .LBB42_15
; %bb.6:
	s_clause 0x1
	s_load_dwordx2 s[0:1], s[4:5], 0x10
	s_load_dwordx2 s[6:7], s[4:5], 0x38
	v_ashrrev_i32_e32 v2, 31, v1
	v_and_b32_e32 v0, 15, v0
	v_mov_b32_e32 v9, 0
	s_mov_b32 s9, exec_lo
	v_lshlrev_b64 v[1:2], 2, v[1:2]
	v_subrev_nc_u32_e32 v5, s12, v0
	s_waitcnt lgkmcnt(0)
	v_add_co_u32 v3, vcc_lo, s0, v1
	v_add_co_ci_u32_e64 v4, null, s1, v2, vcc_lo
	global_load_dwordx2 v[3:4], v[3:4], off
	s_waitcnt vmcnt(0)
	v_subrev_nc_u32_e32 v10, s12, v4
	v_add_nc_u32_e32 v3, v3, v5
	v_cmpx_lt_i32_e64 v3, v10
	s_cbranch_execz .LBB42_10
; %bb.7:
	s_clause 0x1
	s_load_dwordx4 s[0:3], s[4:5], 0x18
	s_load_dwordx2 s[4:5], s[4:5], 0x28
	v_mad_u64_u32 v[5:6], null, v3, 10, 9
	v_mov_b32_e32 v8, 0
	v_mov_b32_e32 v9, 0
	s_mov_b32 s11, 0
.LBB42_8:                               ; =>This Inner Loop Header: Depth=1
	v_ashrrev_i32_e32 v4, 31, v3
	v_mov_b32_e32 v12, v8
	v_lshlrev_b64 v[6:7], 2, v[3:4]
	v_add_nc_u32_e32 v3, 16, v3
	s_waitcnt lgkmcnt(0)
	v_add_co_u32 v6, vcc_lo, s0, v6
	v_add_co_ci_u32_e64 v7, null, s1, v7, vcc_lo
	global_load_dword v4, v[6:7], off
	v_add_nc_u32_e32 v7, -9, v5
	v_mov_b32_e32 v6, v8
	v_lshlrev_b64 v[13:14], 2, v[7:8]
	v_add_nc_u32_e32 v7, -7, v5
	v_lshlrev_b64 v[15:16], 2, v[5:6]
	v_lshlrev_b64 v[6:7], 2, v[7:8]
	v_add_co_u32 v13, vcc_lo, s2, v13
	v_add_co_ci_u32_e64 v14, null, s3, v14, vcc_lo
	v_add_co_u32 v6, vcc_lo, s2, v6
	v_add_co_ci_u32_e64 v7, null, s3, v7, vcc_lo
	s_clause 0x1
	global_load_dwordx2 v[13:14], v[13:14], off
	global_load_dword v29, v[6:7], off
	s_waitcnt vmcnt(2)
	v_subrev_nc_u32_e32 v4, s12, v4
	v_mul_lo_u32 v11, v4, 10
	v_add_nc_u32_e32 v7, 2, v11
	v_lshlrev_b64 v[17:18], 2, v[11:12]
	v_lshlrev_b64 v[19:20], 2, v[7:8]
	v_add_nc_u32_e32 v7, -6, v5
	v_add_co_u32 v17, vcc_lo, s4, v17
	v_add_co_ci_u32_e64 v18, null, s5, v18, vcc_lo
	v_lshlrev_b64 v[21:22], 2, v[7:8]
	v_add_nc_u32_e32 v7, -5, v5
	v_add_co_u32 v19, vcc_lo, s4, v19
	v_add_co_ci_u32_e64 v20, null, s5, v20, vcc_lo
	v_lshlrev_b64 v[23:24], 2, v[7:8]
	v_add_nc_u32_e32 v7, 4, v11
	v_add_co_u32 v21, vcc_lo, s2, v21
	v_add_co_ci_u32_e64 v22, null, s3, v22, vcc_lo
	v_lshlrev_b64 v[25:26], 2, v[7:8]
	v_add_nc_u32_e32 v7, -4, v5
	s_clause 0x1
	global_load_dwordx2 v[17:18], v[17:18], off
	global_load_dwordx2 v[19:20], v[19:20], off
	global_load_dword v4, v[21:22], off
	v_add_co_u32 v21, vcc_lo, s2, v23
	v_add_co_ci_u32_e64 v22, null, s3, v24, vcc_lo
	v_lshlrev_b64 v[23:24], 2, v[7:8]
	v_add_co_u32 v25, vcc_lo, s4, v25
	v_add_co_ci_u32_e64 v26, null, s5, v26, vcc_lo
	v_add_nc_u32_e32 v7, -3, v5
	v_add_co_u32 v23, vcc_lo, s2, v23
	v_add_co_ci_u32_e64 v24, null, s3, v24, vcc_lo
	global_load_dword v30, v[21:22], off
	global_load_dwordx2 v[25:26], v[25:26], off
	global_load_dword v31, v[23:24], off
	v_lshlrev_b64 v[21:22], 2, v[7:8]
	v_add_nc_u32_e32 v7, 6, v11
	v_lshlrev_b64 v[27:28], 2, v[7:8]
	v_add_nc_u32_e32 v7, -2, v5
	v_add_co_u32 v21, vcc_lo, s2, v21
	v_add_co_ci_u32_e64 v22, null, s3, v22, vcc_lo
	v_lshlrev_b64 v[23:24], 2, v[7:8]
	v_add_nc_u32_e32 v7, -1, v5
	v_add_nc_u32_e32 v5, 0xa0, v5
	global_load_dword v32, v[21:22], off
	v_add_co_u32 v21, vcc_lo, s4, v27
	v_add_co_ci_u32_e64 v22, null, s5, v28, vcc_lo
	v_lshlrev_b64 v[27:28], 2, v[7:8]
	v_add_nc_u32_e32 v7, 8, v11
	v_add_co_u32 v11, vcc_lo, s2, v23
	v_add_co_ci_u32_e64 v12, null, s3, v24, vcc_lo
	v_lshlrev_b64 v[6:7], 2, v[7:8]
	global_load_dwordx2 v[21:22], v[21:22], off
	global_load_dword v23, v[11:12], off
	v_add_co_u32 v11, vcc_lo, s2, v27
	v_add_co_ci_u32_e64 v12, null, s3, v28, vcc_lo
	v_add_co_u32 v6, vcc_lo, s4, v6
	v_add_co_ci_u32_e64 v7, null, s5, v7, vcc_lo
	;; [unrolled: 2-line block ×3, first 2 shown]
	global_load_dword v11, v[11:12], off
	global_load_dwordx2 v[6:7], v[6:7], off
	global_load_dword v12, v[15:16], off
	v_cmp_ge_i32_e32 vcc_lo, v3, v10
	s_or_b32 s11, vcc_lo, s11
	s_waitcnt vmcnt(11)
	v_fmac_f32_e32 v9, v13, v17
	v_fmac_f32_e32 v9, v14, v18
	s_waitcnt vmcnt(10)
	v_fmac_f32_e32 v9, v29, v19
	s_waitcnt vmcnt(9)
	v_fmac_f32_e32 v9, v4, v20
	s_waitcnt vmcnt(7)
	v_fmac_f32_e32 v9, v30, v25
	s_waitcnt vmcnt(6)
	v_fmac_f32_e32 v9, v31, v26
	s_waitcnt vmcnt(4)
	v_fmac_f32_e32 v9, v32, v21
	s_waitcnt vmcnt(3)
	v_fmac_f32_e32 v9, v23, v22
	s_waitcnt vmcnt(1)
	v_fmac_f32_e32 v9, v11, v6
	s_waitcnt vmcnt(0)
	v_fmac_f32_e32 v9, v12, v7
	s_andn2_b32 exec_lo, exec_lo, s11
	s_cbranch_execnz .LBB42_8
; %bb.9:
	s_or_b32 exec_lo, exec_lo, s11
.LBB42_10:
	s_or_b32 exec_lo, exec_lo, s9
	v_mbcnt_lo_u32_b32 v3, -1, 0
	s_mov_b32 s0, -1
	v_xor_b32_e32 v4, 8, v3
	v_xor_b32_e32 v5, 4, v3
	;; [unrolled: 1-line block ×3, first 2 shown]
	v_cmp_gt_i32_e32 vcc_lo, 32, v4
	v_cndmask_b32_e32 v4, v3, v4, vcc_lo
	v_cmp_gt_i32_e32 vcc_lo, 32, v5
	v_lshlrev_b32_e32 v4, 2, v4
	v_cndmask_b32_e32 v5, v3, v5, vcc_lo
	v_cmp_gt_i32_e32 vcc_lo, 32, v6
	ds_bpermute_b32 v4, v4, v9
	v_lshlrev_b32_e32 v5, 2, v5
	v_cndmask_b32_e32 v6, v3, v6, vcc_lo
	v_lshlrev_b32_e32 v6, 2, v6
	s_waitcnt lgkmcnt(0)
	v_add_f32_e32 v4, v9, v4
	ds_bpermute_b32 v5, v5, v4
	s_waitcnt lgkmcnt(0)
	v_add_f32_e32 v4, v4, v5
	ds_bpermute_b32 v5, v6, v4
	v_xor_b32_e32 v6, 1, v3
	v_cmp_gt_i32_e32 vcc_lo, 32, v6
	v_cndmask_b32_e32 v6, v3, v6, vcc_lo
	v_cmp_eq_u32_e32 vcc_lo, 15, v0
	s_waitcnt lgkmcnt(0)
	v_add_f32_e32 v3, v4, v5
	v_lshlrev_b32_e32 v4, 2, v6
	ds_bpermute_b32 v4, v4, v3
	s_and_b32 exec_lo, exec_lo, vcc_lo
	s_cbranch_execz .LBB42_15
; %bb.11:
	s_waitcnt lgkmcnt(0)
	v_add_f32_e32 v0, v3, v4
	v_cmp_eq_f32_e64 s1, s8, 0
	v_mul_f32_e32 v0, s10, v0
	s_and_b32 vcc_lo, exec_lo, s1
	s_cbranch_vccz .LBB42_13
; %bb.12:
	v_add_co_u32 v3, vcc_lo, s6, v1
	v_add_co_ci_u32_e64 v4, null, s7, v2, vcc_lo
	s_mov_b32 s0, 0
	global_store_dword v[3:4], v0, off
.LBB42_13:
	s_andn2_b32 vcc_lo, exec_lo, s0
	s_cbranch_vccnz .LBB42_15
; %bb.14:
	v_add_co_u32 v1, vcc_lo, s6, v1
	v_add_co_ci_u32_e64 v2, null, s7, v2, vcc_lo
	global_load_dword v3, v[1:2], off
	s_waitcnt vmcnt(0)
	v_fmac_f32_e32 v0, s8, v3
	global_store_dword v[1:2], v0, off
.LBB42_15:
	s_endpgm
	.section	.rodata,"a",@progbits
	.p2align	6, 0x0
	.amdhsa_kernel _ZN9rocsparseL19gebsrmvn_1xn_kernelILj128ELj10ELj16EfEEvi20rocsparse_direction_NS_24const_host_device_scalarIT2_EEPKiS6_PKS3_S8_S4_PS3_21rocsparse_index_base_b
		.amdhsa_group_segment_fixed_size 0
		.amdhsa_private_segment_fixed_size 0
		.amdhsa_kernarg_size 72
		.amdhsa_user_sgpr_count 6
		.amdhsa_user_sgpr_private_segment_buffer 1
		.amdhsa_user_sgpr_dispatch_ptr 0
		.amdhsa_user_sgpr_queue_ptr 0
		.amdhsa_user_sgpr_kernarg_segment_ptr 1
		.amdhsa_user_sgpr_dispatch_id 0
		.amdhsa_user_sgpr_flat_scratch_init 0
		.amdhsa_user_sgpr_private_segment_size 0
		.amdhsa_wavefront_size32 1
		.amdhsa_uses_dynamic_stack 0
		.amdhsa_system_sgpr_private_segment_wavefront_offset 0
		.amdhsa_system_sgpr_workgroup_id_x 1
		.amdhsa_system_sgpr_workgroup_id_y 0
		.amdhsa_system_sgpr_workgroup_id_z 0
		.amdhsa_system_sgpr_workgroup_info 0
		.amdhsa_system_vgpr_workitem_id 0
		.amdhsa_next_free_vgpr 33
		.amdhsa_next_free_sgpr 14
		.amdhsa_reserve_vcc 1
		.amdhsa_reserve_flat_scratch 0
		.amdhsa_float_round_mode_32 0
		.amdhsa_float_round_mode_16_64 0
		.amdhsa_float_denorm_mode_32 3
		.amdhsa_float_denorm_mode_16_64 3
		.amdhsa_dx10_clamp 1
		.amdhsa_ieee_mode 1
		.amdhsa_fp16_overflow 0
		.amdhsa_workgroup_processor_mode 1
		.amdhsa_memory_ordered 1
		.amdhsa_forward_progress 1
		.amdhsa_shared_vgpr_count 0
		.amdhsa_exception_fp_ieee_invalid_op 0
		.amdhsa_exception_fp_denorm_src 0
		.amdhsa_exception_fp_ieee_div_zero 0
		.amdhsa_exception_fp_ieee_overflow 0
		.amdhsa_exception_fp_ieee_underflow 0
		.amdhsa_exception_fp_ieee_inexact 0
		.amdhsa_exception_int_div_zero 0
	.end_amdhsa_kernel
	.section	.text._ZN9rocsparseL19gebsrmvn_1xn_kernelILj128ELj10ELj16EfEEvi20rocsparse_direction_NS_24const_host_device_scalarIT2_EEPKiS6_PKS3_S8_S4_PS3_21rocsparse_index_base_b,"axG",@progbits,_ZN9rocsparseL19gebsrmvn_1xn_kernelILj128ELj10ELj16EfEEvi20rocsparse_direction_NS_24const_host_device_scalarIT2_EEPKiS6_PKS3_S8_S4_PS3_21rocsparse_index_base_b,comdat
.Lfunc_end42:
	.size	_ZN9rocsparseL19gebsrmvn_1xn_kernelILj128ELj10ELj16EfEEvi20rocsparse_direction_NS_24const_host_device_scalarIT2_EEPKiS6_PKS3_S8_S4_PS3_21rocsparse_index_base_b, .Lfunc_end42-_ZN9rocsparseL19gebsrmvn_1xn_kernelILj128ELj10ELj16EfEEvi20rocsparse_direction_NS_24const_host_device_scalarIT2_EEPKiS6_PKS3_S8_S4_PS3_21rocsparse_index_base_b
                                        ; -- End function
	.set _ZN9rocsparseL19gebsrmvn_1xn_kernelILj128ELj10ELj16EfEEvi20rocsparse_direction_NS_24const_host_device_scalarIT2_EEPKiS6_PKS3_S8_S4_PS3_21rocsparse_index_base_b.num_vgpr, 33
	.set _ZN9rocsparseL19gebsrmvn_1xn_kernelILj128ELj10ELj16EfEEvi20rocsparse_direction_NS_24const_host_device_scalarIT2_EEPKiS6_PKS3_S8_S4_PS3_21rocsparse_index_base_b.num_agpr, 0
	.set _ZN9rocsparseL19gebsrmvn_1xn_kernelILj128ELj10ELj16EfEEvi20rocsparse_direction_NS_24const_host_device_scalarIT2_EEPKiS6_PKS3_S8_S4_PS3_21rocsparse_index_base_b.numbered_sgpr, 14
	.set _ZN9rocsparseL19gebsrmvn_1xn_kernelILj128ELj10ELj16EfEEvi20rocsparse_direction_NS_24const_host_device_scalarIT2_EEPKiS6_PKS3_S8_S4_PS3_21rocsparse_index_base_b.num_named_barrier, 0
	.set _ZN9rocsparseL19gebsrmvn_1xn_kernelILj128ELj10ELj16EfEEvi20rocsparse_direction_NS_24const_host_device_scalarIT2_EEPKiS6_PKS3_S8_S4_PS3_21rocsparse_index_base_b.private_seg_size, 0
	.set _ZN9rocsparseL19gebsrmvn_1xn_kernelILj128ELj10ELj16EfEEvi20rocsparse_direction_NS_24const_host_device_scalarIT2_EEPKiS6_PKS3_S8_S4_PS3_21rocsparse_index_base_b.uses_vcc, 1
	.set _ZN9rocsparseL19gebsrmvn_1xn_kernelILj128ELj10ELj16EfEEvi20rocsparse_direction_NS_24const_host_device_scalarIT2_EEPKiS6_PKS3_S8_S4_PS3_21rocsparse_index_base_b.uses_flat_scratch, 0
	.set _ZN9rocsparseL19gebsrmvn_1xn_kernelILj128ELj10ELj16EfEEvi20rocsparse_direction_NS_24const_host_device_scalarIT2_EEPKiS6_PKS3_S8_S4_PS3_21rocsparse_index_base_b.has_dyn_sized_stack, 0
	.set _ZN9rocsparseL19gebsrmvn_1xn_kernelILj128ELj10ELj16EfEEvi20rocsparse_direction_NS_24const_host_device_scalarIT2_EEPKiS6_PKS3_S8_S4_PS3_21rocsparse_index_base_b.has_recursion, 0
	.set _ZN9rocsparseL19gebsrmvn_1xn_kernelILj128ELj10ELj16EfEEvi20rocsparse_direction_NS_24const_host_device_scalarIT2_EEPKiS6_PKS3_S8_S4_PS3_21rocsparse_index_base_b.has_indirect_call, 0
	.section	.AMDGPU.csdata,"",@progbits
; Kernel info:
; codeLenInByte = 1216
; TotalNumSgprs: 16
; NumVgprs: 33
; ScratchSize: 0
; MemoryBound: 0
; FloatMode: 240
; IeeeMode: 1
; LDSByteSize: 0 bytes/workgroup (compile time only)
; SGPRBlocks: 0
; VGPRBlocks: 4
; NumSGPRsForWavesPerEU: 16
; NumVGPRsForWavesPerEU: 33
; Occupancy: 16
; WaveLimiterHint : 1
; COMPUTE_PGM_RSRC2:SCRATCH_EN: 0
; COMPUTE_PGM_RSRC2:USER_SGPR: 6
; COMPUTE_PGM_RSRC2:TRAP_HANDLER: 0
; COMPUTE_PGM_RSRC2:TGID_X_EN: 1
; COMPUTE_PGM_RSRC2:TGID_Y_EN: 0
; COMPUTE_PGM_RSRC2:TGID_Z_EN: 0
; COMPUTE_PGM_RSRC2:TIDIG_COMP_CNT: 0
	.section	.text._ZN9rocsparseL19gebsrmvn_1xn_kernelILj128ELj10ELj32EfEEvi20rocsparse_direction_NS_24const_host_device_scalarIT2_EEPKiS6_PKS3_S8_S4_PS3_21rocsparse_index_base_b,"axG",@progbits,_ZN9rocsparseL19gebsrmvn_1xn_kernelILj128ELj10ELj32EfEEvi20rocsparse_direction_NS_24const_host_device_scalarIT2_EEPKiS6_PKS3_S8_S4_PS3_21rocsparse_index_base_b,comdat
	.globl	_ZN9rocsparseL19gebsrmvn_1xn_kernelILj128ELj10ELj32EfEEvi20rocsparse_direction_NS_24const_host_device_scalarIT2_EEPKiS6_PKS3_S8_S4_PS3_21rocsparse_index_base_b ; -- Begin function _ZN9rocsparseL19gebsrmvn_1xn_kernelILj128ELj10ELj32EfEEvi20rocsparse_direction_NS_24const_host_device_scalarIT2_EEPKiS6_PKS3_S8_S4_PS3_21rocsparse_index_base_b
	.p2align	8
	.type	_ZN9rocsparseL19gebsrmvn_1xn_kernelILj128ELj10ELj32EfEEvi20rocsparse_direction_NS_24const_host_device_scalarIT2_EEPKiS6_PKS3_S8_S4_PS3_21rocsparse_index_base_b,@function
_ZN9rocsparseL19gebsrmvn_1xn_kernelILj128ELj10ELj32EfEEvi20rocsparse_direction_NS_24const_host_device_scalarIT2_EEPKiS6_PKS3_S8_S4_PS3_21rocsparse_index_base_b: ; @_ZN9rocsparseL19gebsrmvn_1xn_kernelILj128ELj10ELj32EfEEvi20rocsparse_direction_NS_24const_host_device_scalarIT2_EEPKiS6_PKS3_S8_S4_PS3_21rocsparse_index_base_b
; %bb.0:
	s_clause 0x2
	s_load_dwordx2 s[12:13], s[4:5], 0x40
	s_load_dwordx2 s[10:11], s[4:5], 0x8
	;; [unrolled: 1-line block ×3, first 2 shown]
	s_waitcnt lgkmcnt(0)
	s_bitcmp1_b32 s13, 0
	s_cselect_b32 s0, -1, 0
	s_and_b32 vcc_lo, exec_lo, s0
	s_xor_b32 s0, s0, -1
	s_cbranch_vccnz .LBB43_2
; %bb.1:
	s_load_dword s10, s[10:11], 0x0
.LBB43_2:
	s_andn2_b32 vcc_lo, exec_lo, s0
	s_cbranch_vccnz .LBB43_4
; %bb.3:
	s_load_dword s8, s[8:9], 0x0
.LBB43_4:
	s_waitcnt lgkmcnt(0)
	v_cmp_eq_f32_e64 s0, s10, 0
	v_cmp_eq_f32_e64 s1, s8, 1.0
	s_and_b32 s0, s0, s1
	s_and_b32 vcc_lo, exec_lo, s0
	s_cbranch_vccnz .LBB43_15
; %bb.5:
	s_load_dword s0, s[4:5], 0x0
	v_lshrrev_b32_e32 v1, 5, v0
	v_lshl_or_b32 v1, s6, 2, v1
	s_waitcnt lgkmcnt(0)
	v_cmp_gt_i32_e32 vcc_lo, s0, v1
	s_and_saveexec_b32 s0, vcc_lo
	s_cbranch_execz .LBB43_15
; %bb.6:
	s_clause 0x1
	s_load_dwordx2 s[0:1], s[4:5], 0x10
	s_load_dwordx2 s[6:7], s[4:5], 0x38
	v_ashrrev_i32_e32 v2, 31, v1
	v_and_b32_e32 v0, 31, v0
	v_mov_b32_e32 v9, 0
	s_mov_b32 s9, exec_lo
	v_lshlrev_b64 v[1:2], 2, v[1:2]
	v_subrev_nc_u32_e32 v5, s12, v0
	s_waitcnt lgkmcnt(0)
	v_add_co_u32 v3, vcc_lo, s0, v1
	v_add_co_ci_u32_e64 v4, null, s1, v2, vcc_lo
	global_load_dwordx2 v[3:4], v[3:4], off
	s_waitcnt vmcnt(0)
	v_subrev_nc_u32_e32 v10, s12, v4
	v_add_nc_u32_e32 v3, v3, v5
	v_cmpx_lt_i32_e64 v3, v10
	s_cbranch_execz .LBB43_10
; %bb.7:
	s_clause 0x1
	s_load_dwordx4 s[0:3], s[4:5], 0x18
	s_load_dwordx2 s[4:5], s[4:5], 0x28
	v_mad_u64_u32 v[5:6], null, v3, 10, 9
	v_mov_b32_e32 v8, 0
	v_mov_b32_e32 v9, 0
	s_mov_b32 s11, 0
.LBB43_8:                               ; =>This Inner Loop Header: Depth=1
	v_ashrrev_i32_e32 v4, 31, v3
	v_mov_b32_e32 v12, v8
	v_lshlrev_b64 v[6:7], 2, v[3:4]
	v_add_nc_u32_e32 v3, 32, v3
	s_waitcnt lgkmcnt(0)
	v_add_co_u32 v6, vcc_lo, s0, v6
	v_add_co_ci_u32_e64 v7, null, s1, v7, vcc_lo
	global_load_dword v4, v[6:7], off
	v_add_nc_u32_e32 v7, -9, v5
	v_mov_b32_e32 v6, v8
	v_lshlrev_b64 v[13:14], 2, v[7:8]
	v_add_nc_u32_e32 v7, -7, v5
	v_lshlrev_b64 v[15:16], 2, v[5:6]
	v_lshlrev_b64 v[6:7], 2, v[7:8]
	v_add_co_u32 v13, vcc_lo, s2, v13
	v_add_co_ci_u32_e64 v14, null, s3, v14, vcc_lo
	v_add_co_u32 v6, vcc_lo, s2, v6
	v_add_co_ci_u32_e64 v7, null, s3, v7, vcc_lo
	s_clause 0x1
	global_load_dwordx2 v[13:14], v[13:14], off
	global_load_dword v29, v[6:7], off
	s_waitcnt vmcnt(2)
	v_subrev_nc_u32_e32 v4, s12, v4
	v_mul_lo_u32 v11, v4, 10
	v_add_nc_u32_e32 v7, 2, v11
	v_lshlrev_b64 v[17:18], 2, v[11:12]
	v_lshlrev_b64 v[19:20], 2, v[7:8]
	v_add_nc_u32_e32 v7, -6, v5
	v_add_co_u32 v17, vcc_lo, s4, v17
	v_add_co_ci_u32_e64 v18, null, s5, v18, vcc_lo
	v_lshlrev_b64 v[21:22], 2, v[7:8]
	v_add_nc_u32_e32 v7, -5, v5
	v_add_co_u32 v19, vcc_lo, s4, v19
	v_add_co_ci_u32_e64 v20, null, s5, v20, vcc_lo
	v_lshlrev_b64 v[23:24], 2, v[7:8]
	v_add_nc_u32_e32 v7, 4, v11
	v_add_co_u32 v21, vcc_lo, s2, v21
	v_add_co_ci_u32_e64 v22, null, s3, v22, vcc_lo
	v_lshlrev_b64 v[25:26], 2, v[7:8]
	v_add_nc_u32_e32 v7, -4, v5
	s_clause 0x1
	global_load_dwordx2 v[17:18], v[17:18], off
	global_load_dwordx2 v[19:20], v[19:20], off
	global_load_dword v4, v[21:22], off
	v_add_co_u32 v21, vcc_lo, s2, v23
	v_add_co_ci_u32_e64 v22, null, s3, v24, vcc_lo
	v_lshlrev_b64 v[23:24], 2, v[7:8]
	v_add_co_u32 v25, vcc_lo, s4, v25
	v_add_co_ci_u32_e64 v26, null, s5, v26, vcc_lo
	v_add_nc_u32_e32 v7, -3, v5
	v_add_co_u32 v23, vcc_lo, s2, v23
	v_add_co_ci_u32_e64 v24, null, s3, v24, vcc_lo
	global_load_dword v30, v[21:22], off
	global_load_dwordx2 v[25:26], v[25:26], off
	global_load_dword v31, v[23:24], off
	v_lshlrev_b64 v[21:22], 2, v[7:8]
	v_add_nc_u32_e32 v7, 6, v11
	v_lshlrev_b64 v[27:28], 2, v[7:8]
	v_add_nc_u32_e32 v7, -2, v5
	v_add_co_u32 v21, vcc_lo, s2, v21
	v_add_co_ci_u32_e64 v22, null, s3, v22, vcc_lo
	v_lshlrev_b64 v[23:24], 2, v[7:8]
	v_add_nc_u32_e32 v7, -1, v5
	v_add_nc_u32_e32 v5, 0x140, v5
	global_load_dword v32, v[21:22], off
	v_add_co_u32 v21, vcc_lo, s4, v27
	v_add_co_ci_u32_e64 v22, null, s5, v28, vcc_lo
	v_lshlrev_b64 v[27:28], 2, v[7:8]
	v_add_nc_u32_e32 v7, 8, v11
	v_add_co_u32 v11, vcc_lo, s2, v23
	v_add_co_ci_u32_e64 v12, null, s3, v24, vcc_lo
	v_lshlrev_b64 v[6:7], 2, v[7:8]
	global_load_dwordx2 v[21:22], v[21:22], off
	global_load_dword v23, v[11:12], off
	v_add_co_u32 v11, vcc_lo, s2, v27
	v_add_co_ci_u32_e64 v12, null, s3, v28, vcc_lo
	v_add_co_u32 v6, vcc_lo, s4, v6
	v_add_co_ci_u32_e64 v7, null, s5, v7, vcc_lo
	v_add_co_u32 v15, vcc_lo, s2, v15
	v_add_co_ci_u32_e64 v16, null, s3, v16, vcc_lo
	global_load_dword v11, v[11:12], off
	global_load_dwordx2 v[6:7], v[6:7], off
	global_load_dword v12, v[15:16], off
	v_cmp_ge_i32_e32 vcc_lo, v3, v10
	s_or_b32 s11, vcc_lo, s11
	s_waitcnt vmcnt(11)
	v_fmac_f32_e32 v9, v13, v17
	v_fmac_f32_e32 v9, v14, v18
	s_waitcnt vmcnt(10)
	v_fmac_f32_e32 v9, v29, v19
	s_waitcnt vmcnt(9)
	v_fmac_f32_e32 v9, v4, v20
	s_waitcnt vmcnt(7)
	v_fmac_f32_e32 v9, v30, v25
	s_waitcnt vmcnt(6)
	v_fmac_f32_e32 v9, v31, v26
	s_waitcnt vmcnt(4)
	v_fmac_f32_e32 v9, v32, v21
	s_waitcnt vmcnt(3)
	v_fmac_f32_e32 v9, v23, v22
	s_waitcnt vmcnt(1)
	v_fmac_f32_e32 v9, v11, v6
	s_waitcnt vmcnt(0)
	v_fmac_f32_e32 v9, v12, v7
	s_andn2_b32 exec_lo, exec_lo, s11
	s_cbranch_execnz .LBB43_8
; %bb.9:
	s_or_b32 exec_lo, exec_lo, s11
.LBB43_10:
	s_or_b32 exec_lo, exec_lo, s9
	v_mbcnt_lo_u32_b32 v3, -1, 0
	s_mov_b32 s0, -1
	v_xor_b32_e32 v4, 16, v3
	v_xor_b32_e32 v5, 8, v3
	;; [unrolled: 1-line block ×3, first 2 shown]
	v_cmp_gt_i32_e32 vcc_lo, 32, v4
	v_cndmask_b32_e32 v4, v3, v4, vcc_lo
	v_cmp_gt_i32_e32 vcc_lo, 32, v5
	v_lshlrev_b32_e32 v4, 2, v4
	v_cndmask_b32_e32 v5, v3, v5, vcc_lo
	v_cmp_gt_i32_e32 vcc_lo, 32, v6
	ds_bpermute_b32 v4, v4, v9
	v_lshlrev_b32_e32 v5, 2, v5
	v_cndmask_b32_e32 v6, v3, v6, vcc_lo
	v_lshlrev_b32_e32 v6, 2, v6
	s_waitcnt lgkmcnt(0)
	v_add_f32_e32 v4, v9, v4
	ds_bpermute_b32 v5, v5, v4
	s_waitcnt lgkmcnt(0)
	v_add_f32_e32 v4, v4, v5
	ds_bpermute_b32 v5, v6, v4
	v_xor_b32_e32 v6, 2, v3
	v_cmp_gt_i32_e32 vcc_lo, 32, v6
	v_cndmask_b32_e32 v6, v3, v6, vcc_lo
	v_lshlrev_b32_e32 v6, 2, v6
	s_waitcnt lgkmcnt(0)
	v_add_f32_e32 v4, v4, v5
	ds_bpermute_b32 v5, v6, v4
	v_xor_b32_e32 v6, 1, v3
	v_cmp_gt_i32_e32 vcc_lo, 32, v6
	v_cndmask_b32_e32 v6, v3, v6, vcc_lo
	v_cmp_eq_u32_e32 vcc_lo, 31, v0
	s_waitcnt lgkmcnt(0)
	v_add_f32_e32 v3, v4, v5
	v_lshlrev_b32_e32 v4, 2, v6
	ds_bpermute_b32 v4, v4, v3
	s_and_b32 exec_lo, exec_lo, vcc_lo
	s_cbranch_execz .LBB43_15
; %bb.11:
	s_waitcnt lgkmcnt(0)
	v_add_f32_e32 v0, v3, v4
	v_cmp_eq_f32_e64 s1, s8, 0
	v_mul_f32_e32 v0, s10, v0
	s_and_b32 vcc_lo, exec_lo, s1
	s_cbranch_vccz .LBB43_13
; %bb.12:
	v_add_co_u32 v3, vcc_lo, s6, v1
	v_add_co_ci_u32_e64 v4, null, s7, v2, vcc_lo
	s_mov_b32 s0, 0
	global_store_dword v[3:4], v0, off
.LBB43_13:
	s_andn2_b32 vcc_lo, exec_lo, s0
	s_cbranch_vccnz .LBB43_15
; %bb.14:
	v_add_co_u32 v1, vcc_lo, s6, v1
	v_add_co_ci_u32_e64 v2, null, s7, v2, vcc_lo
	global_load_dword v3, v[1:2], off
	s_waitcnt vmcnt(0)
	v_fmac_f32_e32 v0, s8, v3
	global_store_dword v[1:2], v0, off
.LBB43_15:
	s_endpgm
	.section	.rodata,"a",@progbits
	.p2align	6, 0x0
	.amdhsa_kernel _ZN9rocsparseL19gebsrmvn_1xn_kernelILj128ELj10ELj32EfEEvi20rocsparse_direction_NS_24const_host_device_scalarIT2_EEPKiS6_PKS3_S8_S4_PS3_21rocsparse_index_base_b
		.amdhsa_group_segment_fixed_size 0
		.amdhsa_private_segment_fixed_size 0
		.amdhsa_kernarg_size 72
		.amdhsa_user_sgpr_count 6
		.amdhsa_user_sgpr_private_segment_buffer 1
		.amdhsa_user_sgpr_dispatch_ptr 0
		.amdhsa_user_sgpr_queue_ptr 0
		.amdhsa_user_sgpr_kernarg_segment_ptr 1
		.amdhsa_user_sgpr_dispatch_id 0
		.amdhsa_user_sgpr_flat_scratch_init 0
		.amdhsa_user_sgpr_private_segment_size 0
		.amdhsa_wavefront_size32 1
		.amdhsa_uses_dynamic_stack 0
		.amdhsa_system_sgpr_private_segment_wavefront_offset 0
		.amdhsa_system_sgpr_workgroup_id_x 1
		.amdhsa_system_sgpr_workgroup_id_y 0
		.amdhsa_system_sgpr_workgroup_id_z 0
		.amdhsa_system_sgpr_workgroup_info 0
		.amdhsa_system_vgpr_workitem_id 0
		.amdhsa_next_free_vgpr 33
		.amdhsa_next_free_sgpr 14
		.amdhsa_reserve_vcc 1
		.amdhsa_reserve_flat_scratch 0
		.amdhsa_float_round_mode_32 0
		.amdhsa_float_round_mode_16_64 0
		.amdhsa_float_denorm_mode_32 3
		.amdhsa_float_denorm_mode_16_64 3
		.amdhsa_dx10_clamp 1
		.amdhsa_ieee_mode 1
		.amdhsa_fp16_overflow 0
		.amdhsa_workgroup_processor_mode 1
		.amdhsa_memory_ordered 1
		.amdhsa_forward_progress 1
		.amdhsa_shared_vgpr_count 0
		.amdhsa_exception_fp_ieee_invalid_op 0
		.amdhsa_exception_fp_denorm_src 0
		.amdhsa_exception_fp_ieee_div_zero 0
		.amdhsa_exception_fp_ieee_overflow 0
		.amdhsa_exception_fp_ieee_underflow 0
		.amdhsa_exception_fp_ieee_inexact 0
		.amdhsa_exception_int_div_zero 0
	.end_amdhsa_kernel
	.section	.text._ZN9rocsparseL19gebsrmvn_1xn_kernelILj128ELj10ELj32EfEEvi20rocsparse_direction_NS_24const_host_device_scalarIT2_EEPKiS6_PKS3_S8_S4_PS3_21rocsparse_index_base_b,"axG",@progbits,_ZN9rocsparseL19gebsrmvn_1xn_kernelILj128ELj10ELj32EfEEvi20rocsparse_direction_NS_24const_host_device_scalarIT2_EEPKiS6_PKS3_S8_S4_PS3_21rocsparse_index_base_b,comdat
.Lfunc_end43:
	.size	_ZN9rocsparseL19gebsrmvn_1xn_kernelILj128ELj10ELj32EfEEvi20rocsparse_direction_NS_24const_host_device_scalarIT2_EEPKiS6_PKS3_S8_S4_PS3_21rocsparse_index_base_b, .Lfunc_end43-_ZN9rocsparseL19gebsrmvn_1xn_kernelILj128ELj10ELj32EfEEvi20rocsparse_direction_NS_24const_host_device_scalarIT2_EEPKiS6_PKS3_S8_S4_PS3_21rocsparse_index_base_b
                                        ; -- End function
	.set _ZN9rocsparseL19gebsrmvn_1xn_kernelILj128ELj10ELj32EfEEvi20rocsparse_direction_NS_24const_host_device_scalarIT2_EEPKiS6_PKS3_S8_S4_PS3_21rocsparse_index_base_b.num_vgpr, 33
	.set _ZN9rocsparseL19gebsrmvn_1xn_kernelILj128ELj10ELj32EfEEvi20rocsparse_direction_NS_24const_host_device_scalarIT2_EEPKiS6_PKS3_S8_S4_PS3_21rocsparse_index_base_b.num_agpr, 0
	.set _ZN9rocsparseL19gebsrmvn_1xn_kernelILj128ELj10ELj32EfEEvi20rocsparse_direction_NS_24const_host_device_scalarIT2_EEPKiS6_PKS3_S8_S4_PS3_21rocsparse_index_base_b.numbered_sgpr, 14
	.set _ZN9rocsparseL19gebsrmvn_1xn_kernelILj128ELj10ELj32EfEEvi20rocsparse_direction_NS_24const_host_device_scalarIT2_EEPKiS6_PKS3_S8_S4_PS3_21rocsparse_index_base_b.num_named_barrier, 0
	.set _ZN9rocsparseL19gebsrmvn_1xn_kernelILj128ELj10ELj32EfEEvi20rocsparse_direction_NS_24const_host_device_scalarIT2_EEPKiS6_PKS3_S8_S4_PS3_21rocsparse_index_base_b.private_seg_size, 0
	.set _ZN9rocsparseL19gebsrmvn_1xn_kernelILj128ELj10ELj32EfEEvi20rocsparse_direction_NS_24const_host_device_scalarIT2_EEPKiS6_PKS3_S8_S4_PS3_21rocsparse_index_base_b.uses_vcc, 1
	.set _ZN9rocsparseL19gebsrmvn_1xn_kernelILj128ELj10ELj32EfEEvi20rocsparse_direction_NS_24const_host_device_scalarIT2_EEPKiS6_PKS3_S8_S4_PS3_21rocsparse_index_base_b.uses_flat_scratch, 0
	.set _ZN9rocsparseL19gebsrmvn_1xn_kernelILj128ELj10ELj32EfEEvi20rocsparse_direction_NS_24const_host_device_scalarIT2_EEPKiS6_PKS3_S8_S4_PS3_21rocsparse_index_base_b.has_dyn_sized_stack, 0
	.set _ZN9rocsparseL19gebsrmvn_1xn_kernelILj128ELj10ELj32EfEEvi20rocsparse_direction_NS_24const_host_device_scalarIT2_EEPKiS6_PKS3_S8_S4_PS3_21rocsparse_index_base_b.has_recursion, 0
	.set _ZN9rocsparseL19gebsrmvn_1xn_kernelILj128ELj10ELj32EfEEvi20rocsparse_direction_NS_24const_host_device_scalarIT2_EEPKiS6_PKS3_S8_S4_PS3_21rocsparse_index_base_b.has_indirect_call, 0
	.section	.AMDGPU.csdata,"",@progbits
; Kernel info:
; codeLenInByte = 1248
; TotalNumSgprs: 16
; NumVgprs: 33
; ScratchSize: 0
; MemoryBound: 0
; FloatMode: 240
; IeeeMode: 1
; LDSByteSize: 0 bytes/workgroup (compile time only)
; SGPRBlocks: 0
; VGPRBlocks: 4
; NumSGPRsForWavesPerEU: 16
; NumVGPRsForWavesPerEU: 33
; Occupancy: 16
; WaveLimiterHint : 1
; COMPUTE_PGM_RSRC2:SCRATCH_EN: 0
; COMPUTE_PGM_RSRC2:USER_SGPR: 6
; COMPUTE_PGM_RSRC2:TRAP_HANDLER: 0
; COMPUTE_PGM_RSRC2:TGID_X_EN: 1
; COMPUTE_PGM_RSRC2:TGID_Y_EN: 0
; COMPUTE_PGM_RSRC2:TGID_Z_EN: 0
; COMPUTE_PGM_RSRC2:TIDIG_COMP_CNT: 0
	.section	.text._ZN9rocsparseL19gebsrmvn_1xn_kernelILj128ELj10ELj64EfEEvi20rocsparse_direction_NS_24const_host_device_scalarIT2_EEPKiS6_PKS3_S8_S4_PS3_21rocsparse_index_base_b,"axG",@progbits,_ZN9rocsparseL19gebsrmvn_1xn_kernelILj128ELj10ELj64EfEEvi20rocsparse_direction_NS_24const_host_device_scalarIT2_EEPKiS6_PKS3_S8_S4_PS3_21rocsparse_index_base_b,comdat
	.globl	_ZN9rocsparseL19gebsrmvn_1xn_kernelILj128ELj10ELj64EfEEvi20rocsparse_direction_NS_24const_host_device_scalarIT2_EEPKiS6_PKS3_S8_S4_PS3_21rocsparse_index_base_b ; -- Begin function _ZN9rocsparseL19gebsrmvn_1xn_kernelILj128ELj10ELj64EfEEvi20rocsparse_direction_NS_24const_host_device_scalarIT2_EEPKiS6_PKS3_S8_S4_PS3_21rocsparse_index_base_b
	.p2align	8
	.type	_ZN9rocsparseL19gebsrmvn_1xn_kernelILj128ELj10ELj64EfEEvi20rocsparse_direction_NS_24const_host_device_scalarIT2_EEPKiS6_PKS3_S8_S4_PS3_21rocsparse_index_base_b,@function
_ZN9rocsparseL19gebsrmvn_1xn_kernelILj128ELj10ELj64EfEEvi20rocsparse_direction_NS_24const_host_device_scalarIT2_EEPKiS6_PKS3_S8_S4_PS3_21rocsparse_index_base_b: ; @_ZN9rocsparseL19gebsrmvn_1xn_kernelILj128ELj10ELj64EfEEvi20rocsparse_direction_NS_24const_host_device_scalarIT2_EEPKiS6_PKS3_S8_S4_PS3_21rocsparse_index_base_b
; %bb.0:
	s_clause 0x2
	s_load_dwordx2 s[12:13], s[4:5], 0x40
	s_load_dwordx2 s[10:11], s[4:5], 0x8
	s_load_dwordx2 s[8:9], s[4:5], 0x30
	s_waitcnt lgkmcnt(0)
	s_bitcmp1_b32 s13, 0
	s_cselect_b32 s0, -1, 0
	s_and_b32 vcc_lo, exec_lo, s0
	s_xor_b32 s0, s0, -1
	s_cbranch_vccnz .LBB44_2
; %bb.1:
	s_load_dword s10, s[10:11], 0x0
.LBB44_2:
	s_andn2_b32 vcc_lo, exec_lo, s0
	s_cbranch_vccnz .LBB44_4
; %bb.3:
	s_load_dword s8, s[8:9], 0x0
.LBB44_4:
	s_waitcnt lgkmcnt(0)
	v_cmp_eq_f32_e64 s0, s10, 0
	v_cmp_eq_f32_e64 s1, s8, 1.0
	s_and_b32 s0, s0, s1
	s_and_b32 vcc_lo, exec_lo, s0
	s_cbranch_vccnz .LBB44_15
; %bb.5:
	s_load_dword s0, s[4:5], 0x0
	v_lshrrev_b32_e32 v1, 6, v0
	v_lshl_or_b32 v1, s6, 1, v1
	s_waitcnt lgkmcnt(0)
	v_cmp_gt_i32_e32 vcc_lo, s0, v1
	s_and_saveexec_b32 s0, vcc_lo
	s_cbranch_execz .LBB44_15
; %bb.6:
	s_clause 0x1
	s_load_dwordx2 s[0:1], s[4:5], 0x10
	s_load_dwordx2 s[6:7], s[4:5], 0x38
	v_ashrrev_i32_e32 v2, 31, v1
	v_and_b32_e32 v0, 63, v0
	v_mov_b32_e32 v9, 0
	s_mov_b32 s9, exec_lo
	v_lshlrev_b64 v[1:2], 2, v[1:2]
	v_subrev_nc_u32_e32 v5, s12, v0
	s_waitcnt lgkmcnt(0)
	v_add_co_u32 v3, vcc_lo, s0, v1
	v_add_co_ci_u32_e64 v4, null, s1, v2, vcc_lo
	global_load_dwordx2 v[3:4], v[3:4], off
	s_waitcnt vmcnt(0)
	v_subrev_nc_u32_e32 v10, s12, v4
	v_add_nc_u32_e32 v3, v3, v5
	v_cmpx_lt_i32_e64 v3, v10
	s_cbranch_execz .LBB44_10
; %bb.7:
	s_clause 0x1
	s_load_dwordx4 s[0:3], s[4:5], 0x18
	s_load_dwordx2 s[4:5], s[4:5], 0x28
	v_mad_u64_u32 v[5:6], null, v3, 10, 9
	v_mov_b32_e32 v8, 0
	v_mov_b32_e32 v9, 0
	s_mov_b32 s11, 0
.LBB44_8:                               ; =>This Inner Loop Header: Depth=1
	v_ashrrev_i32_e32 v4, 31, v3
	v_mov_b32_e32 v12, v8
	v_lshlrev_b64 v[6:7], 2, v[3:4]
	v_add_nc_u32_e32 v3, 64, v3
	s_waitcnt lgkmcnt(0)
	v_add_co_u32 v6, vcc_lo, s0, v6
	v_add_co_ci_u32_e64 v7, null, s1, v7, vcc_lo
	global_load_dword v4, v[6:7], off
	v_add_nc_u32_e32 v7, -9, v5
	v_mov_b32_e32 v6, v8
	v_lshlrev_b64 v[13:14], 2, v[7:8]
	v_add_nc_u32_e32 v7, -7, v5
	v_lshlrev_b64 v[15:16], 2, v[5:6]
	v_lshlrev_b64 v[6:7], 2, v[7:8]
	v_add_co_u32 v13, vcc_lo, s2, v13
	v_add_co_ci_u32_e64 v14, null, s3, v14, vcc_lo
	v_add_co_u32 v6, vcc_lo, s2, v6
	v_add_co_ci_u32_e64 v7, null, s3, v7, vcc_lo
	s_clause 0x1
	global_load_dwordx2 v[13:14], v[13:14], off
	global_load_dword v29, v[6:7], off
	s_waitcnt vmcnt(2)
	v_subrev_nc_u32_e32 v4, s12, v4
	v_mul_lo_u32 v11, v4, 10
	v_add_nc_u32_e32 v7, 2, v11
	v_lshlrev_b64 v[17:18], 2, v[11:12]
	v_lshlrev_b64 v[19:20], 2, v[7:8]
	v_add_nc_u32_e32 v7, -6, v5
	v_add_co_u32 v17, vcc_lo, s4, v17
	v_add_co_ci_u32_e64 v18, null, s5, v18, vcc_lo
	v_lshlrev_b64 v[21:22], 2, v[7:8]
	v_add_nc_u32_e32 v7, -5, v5
	v_add_co_u32 v19, vcc_lo, s4, v19
	v_add_co_ci_u32_e64 v20, null, s5, v20, vcc_lo
	v_lshlrev_b64 v[23:24], 2, v[7:8]
	v_add_nc_u32_e32 v7, 4, v11
	v_add_co_u32 v21, vcc_lo, s2, v21
	v_add_co_ci_u32_e64 v22, null, s3, v22, vcc_lo
	v_lshlrev_b64 v[25:26], 2, v[7:8]
	v_add_nc_u32_e32 v7, -4, v5
	s_clause 0x1
	global_load_dwordx2 v[17:18], v[17:18], off
	global_load_dwordx2 v[19:20], v[19:20], off
	global_load_dword v4, v[21:22], off
	v_add_co_u32 v21, vcc_lo, s2, v23
	v_add_co_ci_u32_e64 v22, null, s3, v24, vcc_lo
	v_lshlrev_b64 v[23:24], 2, v[7:8]
	v_add_co_u32 v25, vcc_lo, s4, v25
	v_add_co_ci_u32_e64 v26, null, s5, v26, vcc_lo
	v_add_nc_u32_e32 v7, -3, v5
	v_add_co_u32 v23, vcc_lo, s2, v23
	v_add_co_ci_u32_e64 v24, null, s3, v24, vcc_lo
	global_load_dword v30, v[21:22], off
	global_load_dwordx2 v[25:26], v[25:26], off
	global_load_dword v31, v[23:24], off
	v_lshlrev_b64 v[21:22], 2, v[7:8]
	v_add_nc_u32_e32 v7, 6, v11
	v_lshlrev_b64 v[27:28], 2, v[7:8]
	v_add_nc_u32_e32 v7, -2, v5
	v_add_co_u32 v21, vcc_lo, s2, v21
	v_add_co_ci_u32_e64 v22, null, s3, v22, vcc_lo
	v_lshlrev_b64 v[23:24], 2, v[7:8]
	v_add_nc_u32_e32 v7, -1, v5
	v_add_nc_u32_e32 v5, 0x280, v5
	global_load_dword v32, v[21:22], off
	v_add_co_u32 v21, vcc_lo, s4, v27
	v_add_co_ci_u32_e64 v22, null, s5, v28, vcc_lo
	v_lshlrev_b64 v[27:28], 2, v[7:8]
	v_add_nc_u32_e32 v7, 8, v11
	v_add_co_u32 v11, vcc_lo, s2, v23
	v_add_co_ci_u32_e64 v12, null, s3, v24, vcc_lo
	v_lshlrev_b64 v[6:7], 2, v[7:8]
	global_load_dwordx2 v[21:22], v[21:22], off
	global_load_dword v23, v[11:12], off
	v_add_co_u32 v11, vcc_lo, s2, v27
	v_add_co_ci_u32_e64 v12, null, s3, v28, vcc_lo
	v_add_co_u32 v6, vcc_lo, s4, v6
	v_add_co_ci_u32_e64 v7, null, s5, v7, vcc_lo
	;; [unrolled: 2-line block ×3, first 2 shown]
	global_load_dword v11, v[11:12], off
	global_load_dwordx2 v[6:7], v[6:7], off
	global_load_dword v12, v[15:16], off
	v_cmp_ge_i32_e32 vcc_lo, v3, v10
	s_or_b32 s11, vcc_lo, s11
	s_waitcnt vmcnt(11)
	v_fmac_f32_e32 v9, v13, v17
	v_fmac_f32_e32 v9, v14, v18
	s_waitcnt vmcnt(10)
	v_fmac_f32_e32 v9, v29, v19
	s_waitcnt vmcnt(9)
	;; [unrolled: 2-line block ×8, first 2 shown]
	v_fmac_f32_e32 v9, v12, v7
	s_andn2_b32 exec_lo, exec_lo, s11
	s_cbranch_execnz .LBB44_8
; %bb.9:
	s_or_b32 exec_lo, exec_lo, s11
.LBB44_10:
	s_or_b32 exec_lo, exec_lo, s9
	v_mbcnt_lo_u32_b32 v3, -1, 0
	s_mov_b32 s0, -1
	v_or_b32_e32 v4, 32, v3
	v_xor_b32_e32 v5, 16, v3
	v_xor_b32_e32 v6, 8, v3
	v_cmp_gt_i32_e32 vcc_lo, 32, v4
	v_cndmask_b32_e32 v4, v3, v4, vcc_lo
	v_cmp_gt_i32_e32 vcc_lo, 32, v5
	v_lshlrev_b32_e32 v4, 2, v4
	v_cndmask_b32_e32 v5, v3, v5, vcc_lo
	v_cmp_gt_i32_e32 vcc_lo, 32, v6
	ds_bpermute_b32 v4, v4, v9
	v_lshlrev_b32_e32 v5, 2, v5
	v_cndmask_b32_e32 v6, v3, v6, vcc_lo
	v_lshlrev_b32_e32 v6, 2, v6
	s_waitcnt lgkmcnt(0)
	v_add_f32_e32 v4, v9, v4
	ds_bpermute_b32 v5, v5, v4
	s_waitcnt lgkmcnt(0)
	v_add_f32_e32 v4, v4, v5
	ds_bpermute_b32 v5, v6, v4
	v_xor_b32_e32 v6, 4, v3
	v_cmp_gt_i32_e32 vcc_lo, 32, v6
	v_cndmask_b32_e32 v6, v3, v6, vcc_lo
	v_lshlrev_b32_e32 v6, 2, v6
	s_waitcnt lgkmcnt(0)
	v_add_f32_e32 v4, v4, v5
	ds_bpermute_b32 v5, v6, v4
	v_xor_b32_e32 v6, 2, v3
	v_cmp_gt_i32_e32 vcc_lo, 32, v6
	v_cndmask_b32_e32 v6, v3, v6, vcc_lo
	v_lshlrev_b32_e32 v6, 2, v6
	s_waitcnt lgkmcnt(0)
	v_add_f32_e32 v4, v4, v5
	ds_bpermute_b32 v5, v6, v4
	v_xor_b32_e32 v6, 1, v3
	v_cmp_gt_i32_e32 vcc_lo, 32, v6
	v_cndmask_b32_e32 v6, v3, v6, vcc_lo
	v_cmp_eq_u32_e32 vcc_lo, 63, v0
	s_waitcnt lgkmcnt(0)
	v_add_f32_e32 v3, v4, v5
	v_lshlrev_b32_e32 v4, 2, v6
	ds_bpermute_b32 v4, v4, v3
	s_and_b32 exec_lo, exec_lo, vcc_lo
	s_cbranch_execz .LBB44_15
; %bb.11:
	s_waitcnt lgkmcnt(0)
	v_add_f32_e32 v0, v3, v4
	v_cmp_eq_f32_e64 s1, s8, 0
	v_mul_f32_e32 v0, s10, v0
	s_and_b32 vcc_lo, exec_lo, s1
	s_cbranch_vccz .LBB44_13
; %bb.12:
	v_add_co_u32 v3, vcc_lo, s6, v1
	v_add_co_ci_u32_e64 v4, null, s7, v2, vcc_lo
	s_mov_b32 s0, 0
	global_store_dword v[3:4], v0, off
.LBB44_13:
	s_andn2_b32 vcc_lo, exec_lo, s0
	s_cbranch_vccnz .LBB44_15
; %bb.14:
	v_add_co_u32 v1, vcc_lo, s6, v1
	v_add_co_ci_u32_e64 v2, null, s7, v2, vcc_lo
	global_load_dword v3, v[1:2], off
	s_waitcnt vmcnt(0)
	v_fmac_f32_e32 v0, s8, v3
	global_store_dword v[1:2], v0, off
.LBB44_15:
	s_endpgm
	.section	.rodata,"a",@progbits
	.p2align	6, 0x0
	.amdhsa_kernel _ZN9rocsparseL19gebsrmvn_1xn_kernelILj128ELj10ELj64EfEEvi20rocsparse_direction_NS_24const_host_device_scalarIT2_EEPKiS6_PKS3_S8_S4_PS3_21rocsparse_index_base_b
		.amdhsa_group_segment_fixed_size 0
		.amdhsa_private_segment_fixed_size 0
		.amdhsa_kernarg_size 72
		.amdhsa_user_sgpr_count 6
		.amdhsa_user_sgpr_private_segment_buffer 1
		.amdhsa_user_sgpr_dispatch_ptr 0
		.amdhsa_user_sgpr_queue_ptr 0
		.amdhsa_user_sgpr_kernarg_segment_ptr 1
		.amdhsa_user_sgpr_dispatch_id 0
		.amdhsa_user_sgpr_flat_scratch_init 0
		.amdhsa_user_sgpr_private_segment_size 0
		.amdhsa_wavefront_size32 1
		.amdhsa_uses_dynamic_stack 0
		.amdhsa_system_sgpr_private_segment_wavefront_offset 0
		.amdhsa_system_sgpr_workgroup_id_x 1
		.amdhsa_system_sgpr_workgroup_id_y 0
		.amdhsa_system_sgpr_workgroup_id_z 0
		.amdhsa_system_sgpr_workgroup_info 0
		.amdhsa_system_vgpr_workitem_id 0
		.amdhsa_next_free_vgpr 33
		.amdhsa_next_free_sgpr 14
		.amdhsa_reserve_vcc 1
		.amdhsa_reserve_flat_scratch 0
		.amdhsa_float_round_mode_32 0
		.amdhsa_float_round_mode_16_64 0
		.amdhsa_float_denorm_mode_32 3
		.amdhsa_float_denorm_mode_16_64 3
		.amdhsa_dx10_clamp 1
		.amdhsa_ieee_mode 1
		.amdhsa_fp16_overflow 0
		.amdhsa_workgroup_processor_mode 1
		.amdhsa_memory_ordered 1
		.amdhsa_forward_progress 1
		.amdhsa_shared_vgpr_count 0
		.amdhsa_exception_fp_ieee_invalid_op 0
		.amdhsa_exception_fp_denorm_src 0
		.amdhsa_exception_fp_ieee_div_zero 0
		.amdhsa_exception_fp_ieee_overflow 0
		.amdhsa_exception_fp_ieee_underflow 0
		.amdhsa_exception_fp_ieee_inexact 0
		.amdhsa_exception_int_div_zero 0
	.end_amdhsa_kernel
	.section	.text._ZN9rocsparseL19gebsrmvn_1xn_kernelILj128ELj10ELj64EfEEvi20rocsparse_direction_NS_24const_host_device_scalarIT2_EEPKiS6_PKS3_S8_S4_PS3_21rocsparse_index_base_b,"axG",@progbits,_ZN9rocsparseL19gebsrmvn_1xn_kernelILj128ELj10ELj64EfEEvi20rocsparse_direction_NS_24const_host_device_scalarIT2_EEPKiS6_PKS3_S8_S4_PS3_21rocsparse_index_base_b,comdat
.Lfunc_end44:
	.size	_ZN9rocsparseL19gebsrmvn_1xn_kernelILj128ELj10ELj64EfEEvi20rocsparse_direction_NS_24const_host_device_scalarIT2_EEPKiS6_PKS3_S8_S4_PS3_21rocsparse_index_base_b, .Lfunc_end44-_ZN9rocsparseL19gebsrmvn_1xn_kernelILj128ELj10ELj64EfEEvi20rocsparse_direction_NS_24const_host_device_scalarIT2_EEPKiS6_PKS3_S8_S4_PS3_21rocsparse_index_base_b
                                        ; -- End function
	.set _ZN9rocsparseL19gebsrmvn_1xn_kernelILj128ELj10ELj64EfEEvi20rocsparse_direction_NS_24const_host_device_scalarIT2_EEPKiS6_PKS3_S8_S4_PS3_21rocsparse_index_base_b.num_vgpr, 33
	.set _ZN9rocsparseL19gebsrmvn_1xn_kernelILj128ELj10ELj64EfEEvi20rocsparse_direction_NS_24const_host_device_scalarIT2_EEPKiS6_PKS3_S8_S4_PS3_21rocsparse_index_base_b.num_agpr, 0
	.set _ZN9rocsparseL19gebsrmvn_1xn_kernelILj128ELj10ELj64EfEEvi20rocsparse_direction_NS_24const_host_device_scalarIT2_EEPKiS6_PKS3_S8_S4_PS3_21rocsparse_index_base_b.numbered_sgpr, 14
	.set _ZN9rocsparseL19gebsrmvn_1xn_kernelILj128ELj10ELj64EfEEvi20rocsparse_direction_NS_24const_host_device_scalarIT2_EEPKiS6_PKS3_S8_S4_PS3_21rocsparse_index_base_b.num_named_barrier, 0
	.set _ZN9rocsparseL19gebsrmvn_1xn_kernelILj128ELj10ELj64EfEEvi20rocsparse_direction_NS_24const_host_device_scalarIT2_EEPKiS6_PKS3_S8_S4_PS3_21rocsparse_index_base_b.private_seg_size, 0
	.set _ZN9rocsparseL19gebsrmvn_1xn_kernelILj128ELj10ELj64EfEEvi20rocsparse_direction_NS_24const_host_device_scalarIT2_EEPKiS6_PKS3_S8_S4_PS3_21rocsparse_index_base_b.uses_vcc, 1
	.set _ZN9rocsparseL19gebsrmvn_1xn_kernelILj128ELj10ELj64EfEEvi20rocsparse_direction_NS_24const_host_device_scalarIT2_EEPKiS6_PKS3_S8_S4_PS3_21rocsparse_index_base_b.uses_flat_scratch, 0
	.set _ZN9rocsparseL19gebsrmvn_1xn_kernelILj128ELj10ELj64EfEEvi20rocsparse_direction_NS_24const_host_device_scalarIT2_EEPKiS6_PKS3_S8_S4_PS3_21rocsparse_index_base_b.has_dyn_sized_stack, 0
	.set _ZN9rocsparseL19gebsrmvn_1xn_kernelILj128ELj10ELj64EfEEvi20rocsparse_direction_NS_24const_host_device_scalarIT2_EEPKiS6_PKS3_S8_S4_PS3_21rocsparse_index_base_b.has_recursion, 0
	.set _ZN9rocsparseL19gebsrmvn_1xn_kernelILj128ELj10ELj64EfEEvi20rocsparse_direction_NS_24const_host_device_scalarIT2_EEPKiS6_PKS3_S8_S4_PS3_21rocsparse_index_base_b.has_indirect_call, 0
	.section	.AMDGPU.csdata,"",@progbits
; Kernel info:
; codeLenInByte = 1280
; TotalNumSgprs: 16
; NumVgprs: 33
; ScratchSize: 0
; MemoryBound: 0
; FloatMode: 240
; IeeeMode: 1
; LDSByteSize: 0 bytes/workgroup (compile time only)
; SGPRBlocks: 0
; VGPRBlocks: 4
; NumSGPRsForWavesPerEU: 16
; NumVGPRsForWavesPerEU: 33
; Occupancy: 16
; WaveLimiterHint : 1
; COMPUTE_PGM_RSRC2:SCRATCH_EN: 0
; COMPUTE_PGM_RSRC2:USER_SGPR: 6
; COMPUTE_PGM_RSRC2:TRAP_HANDLER: 0
; COMPUTE_PGM_RSRC2:TGID_X_EN: 1
; COMPUTE_PGM_RSRC2:TGID_Y_EN: 0
; COMPUTE_PGM_RSRC2:TGID_Z_EN: 0
; COMPUTE_PGM_RSRC2:TIDIG_COMP_CNT: 0
	.section	.text._ZN9rocsparseL19gebsrmvn_1xn_kernelILj128ELj11ELj4EfEEvi20rocsparse_direction_NS_24const_host_device_scalarIT2_EEPKiS6_PKS3_S8_S4_PS3_21rocsparse_index_base_b,"axG",@progbits,_ZN9rocsparseL19gebsrmvn_1xn_kernelILj128ELj11ELj4EfEEvi20rocsparse_direction_NS_24const_host_device_scalarIT2_EEPKiS6_PKS3_S8_S4_PS3_21rocsparse_index_base_b,comdat
	.globl	_ZN9rocsparseL19gebsrmvn_1xn_kernelILj128ELj11ELj4EfEEvi20rocsparse_direction_NS_24const_host_device_scalarIT2_EEPKiS6_PKS3_S8_S4_PS3_21rocsparse_index_base_b ; -- Begin function _ZN9rocsparseL19gebsrmvn_1xn_kernelILj128ELj11ELj4EfEEvi20rocsparse_direction_NS_24const_host_device_scalarIT2_EEPKiS6_PKS3_S8_S4_PS3_21rocsparse_index_base_b
	.p2align	8
	.type	_ZN9rocsparseL19gebsrmvn_1xn_kernelILj128ELj11ELj4EfEEvi20rocsparse_direction_NS_24const_host_device_scalarIT2_EEPKiS6_PKS3_S8_S4_PS3_21rocsparse_index_base_b,@function
_ZN9rocsparseL19gebsrmvn_1xn_kernelILj128ELj11ELj4EfEEvi20rocsparse_direction_NS_24const_host_device_scalarIT2_EEPKiS6_PKS3_S8_S4_PS3_21rocsparse_index_base_b: ; @_ZN9rocsparseL19gebsrmvn_1xn_kernelILj128ELj11ELj4EfEEvi20rocsparse_direction_NS_24const_host_device_scalarIT2_EEPKiS6_PKS3_S8_S4_PS3_21rocsparse_index_base_b
; %bb.0:
	s_clause 0x2
	s_load_dwordx2 s[12:13], s[4:5], 0x40
	s_load_dwordx2 s[10:11], s[4:5], 0x8
	;; [unrolled: 1-line block ×3, first 2 shown]
	s_waitcnt lgkmcnt(0)
	s_bitcmp1_b32 s13, 0
	s_cselect_b32 s0, -1, 0
	s_and_b32 vcc_lo, exec_lo, s0
	s_xor_b32 s0, s0, -1
	s_cbranch_vccnz .LBB45_2
; %bb.1:
	s_load_dword s10, s[10:11], 0x0
.LBB45_2:
	s_andn2_b32 vcc_lo, exec_lo, s0
	s_cbranch_vccnz .LBB45_4
; %bb.3:
	s_load_dword s8, s[8:9], 0x0
.LBB45_4:
	s_waitcnt lgkmcnt(0)
	v_cmp_eq_f32_e64 s0, s10, 0
	v_cmp_eq_f32_e64 s1, s8, 1.0
	s_and_b32 s0, s0, s1
	s_and_b32 vcc_lo, exec_lo, s0
	s_cbranch_vccnz .LBB45_15
; %bb.5:
	s_load_dword s0, s[4:5], 0x0
	v_lshrrev_b32_e32 v1, 2, v0
	v_lshl_or_b32 v1, s6, 5, v1
	s_waitcnt lgkmcnt(0)
	v_cmp_gt_i32_e32 vcc_lo, s0, v1
	s_and_saveexec_b32 s0, vcc_lo
	s_cbranch_execz .LBB45_15
; %bb.6:
	s_clause 0x1
	s_load_dwordx2 s[0:1], s[4:5], 0x10
	s_load_dwordx2 s[6:7], s[4:5], 0x38
	v_ashrrev_i32_e32 v2, 31, v1
	v_and_b32_e32 v0, 3, v0
	v_mov_b32_e32 v9, 0
	s_mov_b32 s9, exec_lo
	v_lshlrev_b64 v[1:2], 2, v[1:2]
	v_subrev_nc_u32_e32 v5, s12, v0
	s_waitcnt lgkmcnt(0)
	v_add_co_u32 v3, vcc_lo, s0, v1
	v_add_co_ci_u32_e64 v4, null, s1, v2, vcc_lo
	global_load_dwordx2 v[3:4], v[3:4], off
	s_waitcnt vmcnt(0)
	v_subrev_nc_u32_e32 v10, s12, v4
	v_add_nc_u32_e32 v3, v3, v5
	v_cmpx_lt_i32_e64 v3, v10
	s_cbranch_execz .LBB45_10
; %bb.7:
	s_clause 0x1
	s_load_dwordx4 s[0:3], s[4:5], 0x18
	s_load_dwordx2 s[4:5], s[4:5], 0x28
	v_mad_u64_u32 v[5:6], null, v3, 11, 10
	v_mov_b32_e32 v8, 0
	v_mov_b32_e32 v9, 0
	s_mov_b32 s11, 0
.LBB45_8:                               ; =>This Inner Loop Header: Depth=1
	v_ashrrev_i32_e32 v4, 31, v3
	v_mov_b32_e32 v12, v8
	v_lshlrev_b64 v[6:7], 2, v[3:4]
	v_add_nc_u32_e32 v3, 4, v3
	s_waitcnt lgkmcnt(0)
	v_add_co_u32 v6, vcc_lo, s0, v6
	v_add_co_ci_u32_e64 v7, null, s1, v7, vcc_lo
	global_load_dword v4, v[6:7], off
	v_add_nc_u32_e32 v7, -10, v5
	v_mov_b32_e32 v6, v8
	v_lshlrev_b64 v[13:14], 2, v[7:8]
	v_add_nc_u32_e32 v7, -9, v5
	v_lshlrev_b64 v[15:16], 2, v[5:6]
	v_lshlrev_b64 v[6:7], 2, v[7:8]
	v_add_co_u32 v13, vcc_lo, s2, v13
	v_add_co_ci_u32_e64 v14, null, s3, v14, vcc_lo
	v_add_co_u32 v15, vcc_lo, s2, v15
	v_add_co_ci_u32_e64 v16, null, s3, v16, vcc_lo
	v_add_co_u32 v6, vcc_lo, s2, v6
	v_add_co_ci_u32_e64 v7, null, s3, v7, vcc_lo
	s_clause 0x1
	global_load_dword v21, v[13:14], off
	global_load_dword v22, v[6:7], off
	s_waitcnt vmcnt(2)
	v_subrev_nc_u32_e32 v4, s12, v4
	v_mul_lo_u32 v11, v4, 11
	v_add_nc_u32_e32 v7, 1, v11
	v_lshlrev_b64 v[12:13], 2, v[11:12]
	v_lshlrev_b64 v[17:18], 2, v[7:8]
	v_add_nc_u32_e32 v7, -8, v5
	v_add_co_u32 v12, vcc_lo, s4, v12
	v_add_co_ci_u32_e64 v13, null, s5, v13, vcc_lo
	v_add_co_u32 v17, vcc_lo, s4, v17
	v_lshlrev_b64 v[19:20], 2, v[7:8]
	v_add_nc_u32_e32 v7, 2, v11
	v_add_co_ci_u32_e64 v18, null, s5, v18, vcc_lo
	s_clause 0x1
	global_load_dword v4, v[12:13], off
	global_load_dword v23, v[17:18], off
	v_lshlrev_b64 v[12:13], 2, v[7:8]
	v_add_nc_u32_e32 v7, -7, v5
	v_add_co_u32 v17, vcc_lo, s2, v19
	v_add_co_ci_u32_e64 v18, null, s3, v20, vcc_lo
	v_add_co_u32 v12, vcc_lo, s4, v12
	v_lshlrev_b64 v[19:20], 2, v[7:8]
	v_add_co_ci_u32_e64 v13, null, s5, v13, vcc_lo
	v_add_nc_u32_e32 v7, 3, v11
	global_load_dword v24, v[17:18], off
	global_load_dword v25, v[12:13], off
	v_add_co_u32 v12, vcc_lo, s2, v19
	v_add_co_ci_u32_e64 v13, null, s3, v20, vcc_lo
	global_load_dword v26, v[12:13], off
	v_lshlrev_b64 v[17:18], 2, v[7:8]
	v_add_nc_u32_e32 v7, -6, v5
	v_lshlrev_b64 v[19:20], 2, v[7:8]
	v_add_nc_u32_e32 v7, 4, v11
	v_add_co_u32 v17, vcc_lo, s4, v17
	v_add_co_ci_u32_e64 v18, null, s5, v18, vcc_lo
	v_lshlrev_b64 v[12:13], 2, v[7:8]
	v_add_nc_u32_e32 v7, -5, v5
	global_load_dword v27, v[17:18], off
	v_add_co_u32 v17, vcc_lo, s2, v19
	v_add_co_ci_u32_e64 v18, null, s3, v20, vcc_lo
	v_add_co_u32 v12, vcc_lo, s4, v12
	v_lshlrev_b64 v[19:20], 2, v[7:8]
	v_add_co_ci_u32_e64 v13, null, s5, v13, vcc_lo
	v_add_nc_u32_e32 v7, 5, v11
	global_load_dword v28, v[17:18], off
	global_load_dword v29, v[12:13], off
	v_add_co_u32 v12, vcc_lo, s2, v19
	v_add_co_ci_u32_e64 v13, null, s3, v20, vcc_lo
	global_load_dword v30, v[12:13], off
	v_lshlrev_b64 v[17:18], 2, v[7:8]
	v_add_nc_u32_e32 v7, -4, v5
	v_lshlrev_b64 v[19:20], 2, v[7:8]
	v_add_nc_u32_e32 v7, 6, v11
	v_add_co_u32 v17, vcc_lo, s4, v17
	v_add_co_ci_u32_e64 v18, null, s5, v18, vcc_lo
	v_lshlrev_b64 v[12:13], 2, v[7:8]
	v_add_nc_u32_e32 v7, -3, v5
	global_load_dword v31, v[17:18], off
	v_add_co_u32 v17, vcc_lo, s2, v19
	v_add_co_ci_u32_e64 v18, null, s3, v20, vcc_lo
	v_add_co_u32 v12, vcc_lo, s4, v12
	v_lshlrev_b64 v[19:20], 2, v[7:8]
	v_add_co_ci_u32_e64 v13, null, s5, v13, vcc_lo
	v_add_nc_u32_e32 v7, 7, v11
	global_load_dword v32, v[17:18], off
	global_load_dword v33, v[12:13], off
	v_add_co_u32 v12, vcc_lo, s2, v19
	v_add_co_ci_u32_e64 v13, null, s3, v20, vcc_lo
	global_load_dword v34, v[12:13], off
	v_lshlrev_b64 v[17:18], 2, v[7:8]
	v_add_nc_u32_e32 v7, -2, v5
	v_lshlrev_b64 v[19:20], 2, v[7:8]
	v_add_nc_u32_e32 v7, 8, v11
	v_add_co_u32 v17, vcc_lo, s4, v17
	v_add_co_ci_u32_e64 v18, null, s5, v18, vcc_lo
	v_lshlrev_b64 v[12:13], 2, v[7:8]
	v_add_nc_u32_e32 v7, -1, v5
	v_add_nc_u32_e32 v5, 44, v5
	global_load_dword v35, v[17:18], off
	v_add_co_u32 v17, vcc_lo, s2, v19
	v_add_co_ci_u32_e64 v18, null, s3, v20, vcc_lo
	v_lshlrev_b64 v[19:20], 2, v[7:8]
	v_add_nc_u32_e32 v7, 9, v11
	v_add_co_u32 v12, vcc_lo, s4, v12
	global_load_dword v36, v[17:18], off
	v_add_co_ci_u32_e64 v13, null, s5, v13, vcc_lo
	v_lshlrev_b64 v[17:18], 2, v[7:8]
	v_add_nc_u32_e32 v7, 10, v11
	v_add_co_u32 v11, vcc_lo, s2, v19
	global_load_dword v37, v[12:13], off
	v_add_co_ci_u32_e64 v12, null, s3, v20, vcc_lo
	v_lshlrev_b64 v[6:7], 2, v[7:8]
	v_add_co_u32 v13, vcc_lo, s4, v17
	v_add_co_ci_u32_e64 v14, null, s5, v18, vcc_lo
	global_load_dword v11, v[11:12], off
	global_load_dword v12, v[13:14], off
	v_add_co_u32 v6, vcc_lo, s4, v6
	v_add_co_ci_u32_e64 v7, null, s5, v7, vcc_lo
	global_load_dword v13, v[15:16], off
	global_load_dword v6, v[6:7], off
	v_cmp_ge_i32_e32 vcc_lo, v3, v10
	s_or_b32 s11, vcc_lo, s11
	s_waitcnt vmcnt(19)
	v_fmac_f32_e32 v9, v21, v4
	s_waitcnt vmcnt(18)
	v_fmac_f32_e32 v9, v22, v23
	;; [unrolled: 2-line block ×11, first 2 shown]
	s_andn2_b32 exec_lo, exec_lo, s11
	s_cbranch_execnz .LBB45_8
; %bb.9:
	s_or_b32 exec_lo, exec_lo, s11
.LBB45_10:
	s_or_b32 exec_lo, exec_lo, s9
	v_mbcnt_lo_u32_b32 v3, -1, 0
	s_mov_b32 s0, -1
	v_xor_b32_e32 v4, 2, v3
	v_xor_b32_e32 v5, 1, v3
	v_cmp_gt_i32_e32 vcc_lo, 32, v4
	v_cndmask_b32_e32 v4, v3, v4, vcc_lo
	v_cmp_gt_i32_e32 vcc_lo, 32, v5
	v_lshlrev_b32_e32 v4, 2, v4
	v_cndmask_b32_e32 v5, v3, v5, vcc_lo
	v_cmp_eq_u32_e32 vcc_lo, 3, v0
	ds_bpermute_b32 v4, v4, v9
	s_waitcnt lgkmcnt(0)
	v_add_f32_e32 v3, v9, v4
	v_lshlrev_b32_e32 v4, 2, v5
	ds_bpermute_b32 v4, v4, v3
	s_and_b32 exec_lo, exec_lo, vcc_lo
	s_cbranch_execz .LBB45_15
; %bb.11:
	s_waitcnt lgkmcnt(0)
	v_add_f32_e32 v0, v3, v4
	v_cmp_eq_f32_e64 s1, s8, 0
	v_mul_f32_e32 v0, s10, v0
	s_and_b32 vcc_lo, exec_lo, s1
	s_cbranch_vccz .LBB45_13
; %bb.12:
	v_add_co_u32 v3, vcc_lo, s6, v1
	v_add_co_ci_u32_e64 v4, null, s7, v2, vcc_lo
	s_mov_b32 s0, 0
	global_store_dword v[3:4], v0, off
.LBB45_13:
	s_andn2_b32 vcc_lo, exec_lo, s0
	s_cbranch_vccnz .LBB45_15
; %bb.14:
	v_add_co_u32 v1, vcc_lo, s6, v1
	v_add_co_ci_u32_e64 v2, null, s7, v2, vcc_lo
	global_load_dword v3, v[1:2], off
	s_waitcnt vmcnt(0)
	v_fmac_f32_e32 v0, s8, v3
	global_store_dword v[1:2], v0, off
.LBB45_15:
	s_endpgm
	.section	.rodata,"a",@progbits
	.p2align	6, 0x0
	.amdhsa_kernel _ZN9rocsparseL19gebsrmvn_1xn_kernelILj128ELj11ELj4EfEEvi20rocsparse_direction_NS_24const_host_device_scalarIT2_EEPKiS6_PKS3_S8_S4_PS3_21rocsparse_index_base_b
		.amdhsa_group_segment_fixed_size 0
		.amdhsa_private_segment_fixed_size 0
		.amdhsa_kernarg_size 72
		.amdhsa_user_sgpr_count 6
		.amdhsa_user_sgpr_private_segment_buffer 1
		.amdhsa_user_sgpr_dispatch_ptr 0
		.amdhsa_user_sgpr_queue_ptr 0
		.amdhsa_user_sgpr_kernarg_segment_ptr 1
		.amdhsa_user_sgpr_dispatch_id 0
		.amdhsa_user_sgpr_flat_scratch_init 0
		.amdhsa_user_sgpr_private_segment_size 0
		.amdhsa_wavefront_size32 1
		.amdhsa_uses_dynamic_stack 0
		.amdhsa_system_sgpr_private_segment_wavefront_offset 0
		.amdhsa_system_sgpr_workgroup_id_x 1
		.amdhsa_system_sgpr_workgroup_id_y 0
		.amdhsa_system_sgpr_workgroup_id_z 0
		.amdhsa_system_sgpr_workgroup_info 0
		.amdhsa_system_vgpr_workitem_id 0
		.amdhsa_next_free_vgpr 38
		.amdhsa_next_free_sgpr 14
		.amdhsa_reserve_vcc 1
		.amdhsa_reserve_flat_scratch 0
		.amdhsa_float_round_mode_32 0
		.amdhsa_float_round_mode_16_64 0
		.amdhsa_float_denorm_mode_32 3
		.amdhsa_float_denorm_mode_16_64 3
		.amdhsa_dx10_clamp 1
		.amdhsa_ieee_mode 1
		.amdhsa_fp16_overflow 0
		.amdhsa_workgroup_processor_mode 1
		.amdhsa_memory_ordered 1
		.amdhsa_forward_progress 1
		.amdhsa_shared_vgpr_count 0
		.amdhsa_exception_fp_ieee_invalid_op 0
		.amdhsa_exception_fp_denorm_src 0
		.amdhsa_exception_fp_ieee_div_zero 0
		.amdhsa_exception_fp_ieee_overflow 0
		.amdhsa_exception_fp_ieee_underflow 0
		.amdhsa_exception_fp_ieee_inexact 0
		.amdhsa_exception_int_div_zero 0
	.end_amdhsa_kernel
	.section	.text._ZN9rocsparseL19gebsrmvn_1xn_kernelILj128ELj11ELj4EfEEvi20rocsparse_direction_NS_24const_host_device_scalarIT2_EEPKiS6_PKS3_S8_S4_PS3_21rocsparse_index_base_b,"axG",@progbits,_ZN9rocsparseL19gebsrmvn_1xn_kernelILj128ELj11ELj4EfEEvi20rocsparse_direction_NS_24const_host_device_scalarIT2_EEPKiS6_PKS3_S8_S4_PS3_21rocsparse_index_base_b,comdat
.Lfunc_end45:
	.size	_ZN9rocsparseL19gebsrmvn_1xn_kernelILj128ELj11ELj4EfEEvi20rocsparse_direction_NS_24const_host_device_scalarIT2_EEPKiS6_PKS3_S8_S4_PS3_21rocsparse_index_base_b, .Lfunc_end45-_ZN9rocsparseL19gebsrmvn_1xn_kernelILj128ELj11ELj4EfEEvi20rocsparse_direction_NS_24const_host_device_scalarIT2_EEPKiS6_PKS3_S8_S4_PS3_21rocsparse_index_base_b
                                        ; -- End function
	.set _ZN9rocsparseL19gebsrmvn_1xn_kernelILj128ELj11ELj4EfEEvi20rocsparse_direction_NS_24const_host_device_scalarIT2_EEPKiS6_PKS3_S8_S4_PS3_21rocsparse_index_base_b.num_vgpr, 38
	.set _ZN9rocsparseL19gebsrmvn_1xn_kernelILj128ELj11ELj4EfEEvi20rocsparse_direction_NS_24const_host_device_scalarIT2_EEPKiS6_PKS3_S8_S4_PS3_21rocsparse_index_base_b.num_agpr, 0
	.set _ZN9rocsparseL19gebsrmvn_1xn_kernelILj128ELj11ELj4EfEEvi20rocsparse_direction_NS_24const_host_device_scalarIT2_EEPKiS6_PKS3_S8_S4_PS3_21rocsparse_index_base_b.numbered_sgpr, 14
	.set _ZN9rocsparseL19gebsrmvn_1xn_kernelILj128ELj11ELj4EfEEvi20rocsparse_direction_NS_24const_host_device_scalarIT2_EEPKiS6_PKS3_S8_S4_PS3_21rocsparse_index_base_b.num_named_barrier, 0
	.set _ZN9rocsparseL19gebsrmvn_1xn_kernelILj128ELj11ELj4EfEEvi20rocsparse_direction_NS_24const_host_device_scalarIT2_EEPKiS6_PKS3_S8_S4_PS3_21rocsparse_index_base_b.private_seg_size, 0
	.set _ZN9rocsparseL19gebsrmvn_1xn_kernelILj128ELj11ELj4EfEEvi20rocsparse_direction_NS_24const_host_device_scalarIT2_EEPKiS6_PKS3_S8_S4_PS3_21rocsparse_index_base_b.uses_vcc, 1
	.set _ZN9rocsparseL19gebsrmvn_1xn_kernelILj128ELj11ELj4EfEEvi20rocsparse_direction_NS_24const_host_device_scalarIT2_EEPKiS6_PKS3_S8_S4_PS3_21rocsparse_index_base_b.uses_flat_scratch, 0
	.set _ZN9rocsparseL19gebsrmvn_1xn_kernelILj128ELj11ELj4EfEEvi20rocsparse_direction_NS_24const_host_device_scalarIT2_EEPKiS6_PKS3_S8_S4_PS3_21rocsparse_index_base_b.has_dyn_sized_stack, 0
	.set _ZN9rocsparseL19gebsrmvn_1xn_kernelILj128ELj11ELj4EfEEvi20rocsparse_direction_NS_24const_host_device_scalarIT2_EEPKiS6_PKS3_S8_S4_PS3_21rocsparse_index_base_b.has_recursion, 0
	.set _ZN9rocsparseL19gebsrmvn_1xn_kernelILj128ELj11ELj4EfEEvi20rocsparse_direction_NS_24const_host_device_scalarIT2_EEPKiS6_PKS3_S8_S4_PS3_21rocsparse_index_base_b.has_indirect_call, 0
	.section	.AMDGPU.csdata,"",@progbits
; Kernel info:
; codeLenInByte = 1448
; TotalNumSgprs: 16
; NumVgprs: 38
; ScratchSize: 0
; MemoryBound: 0
; FloatMode: 240
; IeeeMode: 1
; LDSByteSize: 0 bytes/workgroup (compile time only)
; SGPRBlocks: 0
; VGPRBlocks: 4
; NumSGPRsForWavesPerEU: 16
; NumVGPRsForWavesPerEU: 38
; Occupancy: 16
; WaveLimiterHint : 1
; COMPUTE_PGM_RSRC2:SCRATCH_EN: 0
; COMPUTE_PGM_RSRC2:USER_SGPR: 6
; COMPUTE_PGM_RSRC2:TRAP_HANDLER: 0
; COMPUTE_PGM_RSRC2:TGID_X_EN: 1
; COMPUTE_PGM_RSRC2:TGID_Y_EN: 0
; COMPUTE_PGM_RSRC2:TGID_Z_EN: 0
; COMPUTE_PGM_RSRC2:TIDIG_COMP_CNT: 0
	.section	.text._ZN9rocsparseL19gebsrmvn_1xn_kernelILj128ELj11ELj8EfEEvi20rocsparse_direction_NS_24const_host_device_scalarIT2_EEPKiS6_PKS3_S8_S4_PS3_21rocsparse_index_base_b,"axG",@progbits,_ZN9rocsparseL19gebsrmvn_1xn_kernelILj128ELj11ELj8EfEEvi20rocsparse_direction_NS_24const_host_device_scalarIT2_EEPKiS6_PKS3_S8_S4_PS3_21rocsparse_index_base_b,comdat
	.globl	_ZN9rocsparseL19gebsrmvn_1xn_kernelILj128ELj11ELj8EfEEvi20rocsparse_direction_NS_24const_host_device_scalarIT2_EEPKiS6_PKS3_S8_S4_PS3_21rocsparse_index_base_b ; -- Begin function _ZN9rocsparseL19gebsrmvn_1xn_kernelILj128ELj11ELj8EfEEvi20rocsparse_direction_NS_24const_host_device_scalarIT2_EEPKiS6_PKS3_S8_S4_PS3_21rocsparse_index_base_b
	.p2align	8
	.type	_ZN9rocsparseL19gebsrmvn_1xn_kernelILj128ELj11ELj8EfEEvi20rocsparse_direction_NS_24const_host_device_scalarIT2_EEPKiS6_PKS3_S8_S4_PS3_21rocsparse_index_base_b,@function
_ZN9rocsparseL19gebsrmvn_1xn_kernelILj128ELj11ELj8EfEEvi20rocsparse_direction_NS_24const_host_device_scalarIT2_EEPKiS6_PKS3_S8_S4_PS3_21rocsparse_index_base_b: ; @_ZN9rocsparseL19gebsrmvn_1xn_kernelILj128ELj11ELj8EfEEvi20rocsparse_direction_NS_24const_host_device_scalarIT2_EEPKiS6_PKS3_S8_S4_PS3_21rocsparse_index_base_b
; %bb.0:
	s_clause 0x2
	s_load_dwordx2 s[12:13], s[4:5], 0x40
	s_load_dwordx2 s[10:11], s[4:5], 0x8
	;; [unrolled: 1-line block ×3, first 2 shown]
	s_waitcnt lgkmcnt(0)
	s_bitcmp1_b32 s13, 0
	s_cselect_b32 s0, -1, 0
	s_and_b32 vcc_lo, exec_lo, s0
	s_xor_b32 s0, s0, -1
	s_cbranch_vccnz .LBB46_2
; %bb.1:
	s_load_dword s10, s[10:11], 0x0
.LBB46_2:
	s_andn2_b32 vcc_lo, exec_lo, s0
	s_cbranch_vccnz .LBB46_4
; %bb.3:
	s_load_dword s8, s[8:9], 0x0
.LBB46_4:
	s_waitcnt lgkmcnt(0)
	v_cmp_eq_f32_e64 s0, s10, 0
	v_cmp_eq_f32_e64 s1, s8, 1.0
	s_and_b32 s0, s0, s1
	s_and_b32 vcc_lo, exec_lo, s0
	s_cbranch_vccnz .LBB46_15
; %bb.5:
	s_load_dword s0, s[4:5], 0x0
	v_lshrrev_b32_e32 v1, 3, v0
	v_lshl_or_b32 v1, s6, 4, v1
	s_waitcnt lgkmcnt(0)
	v_cmp_gt_i32_e32 vcc_lo, s0, v1
	s_and_saveexec_b32 s0, vcc_lo
	s_cbranch_execz .LBB46_15
; %bb.6:
	s_clause 0x1
	s_load_dwordx2 s[0:1], s[4:5], 0x10
	s_load_dwordx2 s[6:7], s[4:5], 0x38
	v_ashrrev_i32_e32 v2, 31, v1
	v_and_b32_e32 v0, 7, v0
	v_mov_b32_e32 v9, 0
	s_mov_b32 s9, exec_lo
	v_lshlrev_b64 v[1:2], 2, v[1:2]
	v_subrev_nc_u32_e32 v5, s12, v0
	s_waitcnt lgkmcnt(0)
	v_add_co_u32 v3, vcc_lo, s0, v1
	v_add_co_ci_u32_e64 v4, null, s1, v2, vcc_lo
	global_load_dwordx2 v[3:4], v[3:4], off
	s_waitcnt vmcnt(0)
	v_subrev_nc_u32_e32 v10, s12, v4
	v_add_nc_u32_e32 v3, v3, v5
	v_cmpx_lt_i32_e64 v3, v10
	s_cbranch_execz .LBB46_10
; %bb.7:
	s_clause 0x1
	s_load_dwordx4 s[0:3], s[4:5], 0x18
	s_load_dwordx2 s[4:5], s[4:5], 0x28
	v_mad_u64_u32 v[5:6], null, v3, 11, 10
	v_mov_b32_e32 v8, 0
	v_mov_b32_e32 v9, 0
	s_mov_b32 s11, 0
.LBB46_8:                               ; =>This Inner Loop Header: Depth=1
	v_ashrrev_i32_e32 v4, 31, v3
	v_mov_b32_e32 v12, v8
	v_lshlrev_b64 v[6:7], 2, v[3:4]
	v_add_nc_u32_e32 v3, 8, v3
	s_waitcnt lgkmcnt(0)
	v_add_co_u32 v6, vcc_lo, s0, v6
	v_add_co_ci_u32_e64 v7, null, s1, v7, vcc_lo
	global_load_dword v4, v[6:7], off
	v_add_nc_u32_e32 v7, -10, v5
	v_mov_b32_e32 v6, v8
	v_lshlrev_b64 v[13:14], 2, v[7:8]
	v_add_nc_u32_e32 v7, -9, v5
	v_lshlrev_b64 v[15:16], 2, v[5:6]
	v_lshlrev_b64 v[6:7], 2, v[7:8]
	v_add_co_u32 v13, vcc_lo, s2, v13
	v_add_co_ci_u32_e64 v14, null, s3, v14, vcc_lo
	v_add_co_u32 v15, vcc_lo, s2, v15
	v_add_co_ci_u32_e64 v16, null, s3, v16, vcc_lo
	;; [unrolled: 2-line block ×3, first 2 shown]
	s_clause 0x1
	global_load_dword v21, v[13:14], off
	global_load_dword v22, v[6:7], off
	s_waitcnt vmcnt(2)
	v_subrev_nc_u32_e32 v4, s12, v4
	v_mul_lo_u32 v11, v4, 11
	v_add_nc_u32_e32 v7, 1, v11
	v_lshlrev_b64 v[12:13], 2, v[11:12]
	v_lshlrev_b64 v[17:18], 2, v[7:8]
	v_add_nc_u32_e32 v7, -8, v5
	v_add_co_u32 v12, vcc_lo, s4, v12
	v_add_co_ci_u32_e64 v13, null, s5, v13, vcc_lo
	v_add_co_u32 v17, vcc_lo, s4, v17
	v_lshlrev_b64 v[19:20], 2, v[7:8]
	v_add_nc_u32_e32 v7, 2, v11
	v_add_co_ci_u32_e64 v18, null, s5, v18, vcc_lo
	s_clause 0x1
	global_load_dword v4, v[12:13], off
	global_load_dword v23, v[17:18], off
	v_lshlrev_b64 v[12:13], 2, v[7:8]
	v_add_nc_u32_e32 v7, -7, v5
	v_add_co_u32 v17, vcc_lo, s2, v19
	v_add_co_ci_u32_e64 v18, null, s3, v20, vcc_lo
	v_add_co_u32 v12, vcc_lo, s4, v12
	v_lshlrev_b64 v[19:20], 2, v[7:8]
	v_add_co_ci_u32_e64 v13, null, s5, v13, vcc_lo
	v_add_nc_u32_e32 v7, 3, v11
	global_load_dword v24, v[17:18], off
	global_load_dword v25, v[12:13], off
	v_add_co_u32 v12, vcc_lo, s2, v19
	v_add_co_ci_u32_e64 v13, null, s3, v20, vcc_lo
	global_load_dword v26, v[12:13], off
	v_lshlrev_b64 v[17:18], 2, v[7:8]
	v_add_nc_u32_e32 v7, -6, v5
	v_lshlrev_b64 v[19:20], 2, v[7:8]
	v_add_nc_u32_e32 v7, 4, v11
	v_add_co_u32 v17, vcc_lo, s4, v17
	v_add_co_ci_u32_e64 v18, null, s5, v18, vcc_lo
	v_lshlrev_b64 v[12:13], 2, v[7:8]
	v_add_nc_u32_e32 v7, -5, v5
	global_load_dword v27, v[17:18], off
	v_add_co_u32 v17, vcc_lo, s2, v19
	v_add_co_ci_u32_e64 v18, null, s3, v20, vcc_lo
	v_add_co_u32 v12, vcc_lo, s4, v12
	v_lshlrev_b64 v[19:20], 2, v[7:8]
	v_add_co_ci_u32_e64 v13, null, s5, v13, vcc_lo
	v_add_nc_u32_e32 v7, 5, v11
	global_load_dword v28, v[17:18], off
	global_load_dword v29, v[12:13], off
	v_add_co_u32 v12, vcc_lo, s2, v19
	v_add_co_ci_u32_e64 v13, null, s3, v20, vcc_lo
	global_load_dword v30, v[12:13], off
	v_lshlrev_b64 v[17:18], 2, v[7:8]
	v_add_nc_u32_e32 v7, -4, v5
	v_lshlrev_b64 v[19:20], 2, v[7:8]
	v_add_nc_u32_e32 v7, 6, v11
	v_add_co_u32 v17, vcc_lo, s4, v17
	v_add_co_ci_u32_e64 v18, null, s5, v18, vcc_lo
	v_lshlrev_b64 v[12:13], 2, v[7:8]
	v_add_nc_u32_e32 v7, -3, v5
	global_load_dword v31, v[17:18], off
	v_add_co_u32 v17, vcc_lo, s2, v19
	v_add_co_ci_u32_e64 v18, null, s3, v20, vcc_lo
	v_add_co_u32 v12, vcc_lo, s4, v12
	v_lshlrev_b64 v[19:20], 2, v[7:8]
	v_add_co_ci_u32_e64 v13, null, s5, v13, vcc_lo
	v_add_nc_u32_e32 v7, 7, v11
	global_load_dword v32, v[17:18], off
	global_load_dword v33, v[12:13], off
	v_add_co_u32 v12, vcc_lo, s2, v19
	v_add_co_ci_u32_e64 v13, null, s3, v20, vcc_lo
	global_load_dword v34, v[12:13], off
	v_lshlrev_b64 v[17:18], 2, v[7:8]
	v_add_nc_u32_e32 v7, -2, v5
	v_lshlrev_b64 v[19:20], 2, v[7:8]
	v_add_nc_u32_e32 v7, 8, v11
	v_add_co_u32 v17, vcc_lo, s4, v17
	v_add_co_ci_u32_e64 v18, null, s5, v18, vcc_lo
	v_lshlrev_b64 v[12:13], 2, v[7:8]
	v_add_nc_u32_e32 v7, -1, v5
	v_add_nc_u32_e32 v5, 0x58, v5
	global_load_dword v35, v[17:18], off
	v_add_co_u32 v17, vcc_lo, s2, v19
	v_add_co_ci_u32_e64 v18, null, s3, v20, vcc_lo
	v_lshlrev_b64 v[19:20], 2, v[7:8]
	v_add_nc_u32_e32 v7, 9, v11
	v_add_co_u32 v12, vcc_lo, s4, v12
	global_load_dword v36, v[17:18], off
	v_add_co_ci_u32_e64 v13, null, s5, v13, vcc_lo
	v_lshlrev_b64 v[17:18], 2, v[7:8]
	v_add_nc_u32_e32 v7, 10, v11
	v_add_co_u32 v11, vcc_lo, s2, v19
	global_load_dword v37, v[12:13], off
	v_add_co_ci_u32_e64 v12, null, s3, v20, vcc_lo
	v_lshlrev_b64 v[6:7], 2, v[7:8]
	v_add_co_u32 v13, vcc_lo, s4, v17
	v_add_co_ci_u32_e64 v14, null, s5, v18, vcc_lo
	global_load_dword v11, v[11:12], off
	global_load_dword v12, v[13:14], off
	v_add_co_u32 v6, vcc_lo, s4, v6
	v_add_co_ci_u32_e64 v7, null, s5, v7, vcc_lo
	global_load_dword v13, v[15:16], off
	global_load_dword v6, v[6:7], off
	v_cmp_ge_i32_e32 vcc_lo, v3, v10
	s_or_b32 s11, vcc_lo, s11
	s_waitcnt vmcnt(19)
	v_fmac_f32_e32 v9, v21, v4
	s_waitcnt vmcnt(18)
	v_fmac_f32_e32 v9, v22, v23
	s_waitcnt vmcnt(16)
	v_fmac_f32_e32 v9, v24, v25
	s_waitcnt vmcnt(14)
	v_fmac_f32_e32 v9, v26, v27
	s_waitcnt vmcnt(12)
	v_fmac_f32_e32 v9, v28, v29
	s_waitcnt vmcnt(10)
	v_fmac_f32_e32 v9, v30, v31
	s_waitcnt vmcnt(8)
	v_fmac_f32_e32 v9, v32, v33
	s_waitcnt vmcnt(6)
	v_fmac_f32_e32 v9, v34, v35
	s_waitcnt vmcnt(4)
	v_fmac_f32_e32 v9, v36, v37
	s_waitcnt vmcnt(2)
	v_fmac_f32_e32 v9, v11, v12
	s_waitcnt vmcnt(0)
	v_fmac_f32_e32 v9, v13, v6
	s_andn2_b32 exec_lo, exec_lo, s11
	s_cbranch_execnz .LBB46_8
; %bb.9:
	s_or_b32 exec_lo, exec_lo, s11
.LBB46_10:
	s_or_b32 exec_lo, exec_lo, s9
	v_mbcnt_lo_u32_b32 v3, -1, 0
	s_mov_b32 s0, -1
	v_xor_b32_e32 v4, 4, v3
	v_xor_b32_e32 v5, 2, v3
	;; [unrolled: 1-line block ×3, first 2 shown]
	v_cmp_gt_i32_e32 vcc_lo, 32, v4
	v_cndmask_b32_e32 v4, v3, v4, vcc_lo
	v_cmp_gt_i32_e32 vcc_lo, 32, v5
	v_lshlrev_b32_e32 v4, 2, v4
	v_cndmask_b32_e32 v5, v3, v5, vcc_lo
	v_cmp_gt_i32_e32 vcc_lo, 32, v6
	ds_bpermute_b32 v4, v4, v9
	v_lshlrev_b32_e32 v5, 2, v5
	v_cndmask_b32_e32 v6, v3, v6, vcc_lo
	v_cmp_eq_u32_e32 vcc_lo, 7, v0
	s_waitcnt lgkmcnt(0)
	v_add_f32_e32 v4, v9, v4
	ds_bpermute_b32 v5, v5, v4
	s_waitcnt lgkmcnt(0)
	v_add_f32_e32 v3, v4, v5
	v_lshlrev_b32_e32 v4, 2, v6
	ds_bpermute_b32 v4, v4, v3
	s_and_b32 exec_lo, exec_lo, vcc_lo
	s_cbranch_execz .LBB46_15
; %bb.11:
	s_waitcnt lgkmcnt(0)
	v_add_f32_e32 v0, v3, v4
	v_cmp_eq_f32_e64 s1, s8, 0
	v_mul_f32_e32 v0, s10, v0
	s_and_b32 vcc_lo, exec_lo, s1
	s_cbranch_vccz .LBB46_13
; %bb.12:
	v_add_co_u32 v3, vcc_lo, s6, v1
	v_add_co_ci_u32_e64 v4, null, s7, v2, vcc_lo
	s_mov_b32 s0, 0
	global_store_dword v[3:4], v0, off
.LBB46_13:
	s_andn2_b32 vcc_lo, exec_lo, s0
	s_cbranch_vccnz .LBB46_15
; %bb.14:
	v_add_co_u32 v1, vcc_lo, s6, v1
	v_add_co_ci_u32_e64 v2, null, s7, v2, vcc_lo
	global_load_dword v3, v[1:2], off
	s_waitcnt vmcnt(0)
	v_fmac_f32_e32 v0, s8, v3
	global_store_dword v[1:2], v0, off
.LBB46_15:
	s_endpgm
	.section	.rodata,"a",@progbits
	.p2align	6, 0x0
	.amdhsa_kernel _ZN9rocsparseL19gebsrmvn_1xn_kernelILj128ELj11ELj8EfEEvi20rocsparse_direction_NS_24const_host_device_scalarIT2_EEPKiS6_PKS3_S8_S4_PS3_21rocsparse_index_base_b
		.amdhsa_group_segment_fixed_size 0
		.amdhsa_private_segment_fixed_size 0
		.amdhsa_kernarg_size 72
		.amdhsa_user_sgpr_count 6
		.amdhsa_user_sgpr_private_segment_buffer 1
		.amdhsa_user_sgpr_dispatch_ptr 0
		.amdhsa_user_sgpr_queue_ptr 0
		.amdhsa_user_sgpr_kernarg_segment_ptr 1
		.amdhsa_user_sgpr_dispatch_id 0
		.amdhsa_user_sgpr_flat_scratch_init 0
		.amdhsa_user_sgpr_private_segment_size 0
		.amdhsa_wavefront_size32 1
		.amdhsa_uses_dynamic_stack 0
		.amdhsa_system_sgpr_private_segment_wavefront_offset 0
		.amdhsa_system_sgpr_workgroup_id_x 1
		.amdhsa_system_sgpr_workgroup_id_y 0
		.amdhsa_system_sgpr_workgroup_id_z 0
		.amdhsa_system_sgpr_workgroup_info 0
		.amdhsa_system_vgpr_workitem_id 0
		.amdhsa_next_free_vgpr 38
		.amdhsa_next_free_sgpr 14
		.amdhsa_reserve_vcc 1
		.amdhsa_reserve_flat_scratch 0
		.amdhsa_float_round_mode_32 0
		.amdhsa_float_round_mode_16_64 0
		.amdhsa_float_denorm_mode_32 3
		.amdhsa_float_denorm_mode_16_64 3
		.amdhsa_dx10_clamp 1
		.amdhsa_ieee_mode 1
		.amdhsa_fp16_overflow 0
		.amdhsa_workgroup_processor_mode 1
		.amdhsa_memory_ordered 1
		.amdhsa_forward_progress 1
		.amdhsa_shared_vgpr_count 0
		.amdhsa_exception_fp_ieee_invalid_op 0
		.amdhsa_exception_fp_denorm_src 0
		.amdhsa_exception_fp_ieee_div_zero 0
		.amdhsa_exception_fp_ieee_overflow 0
		.amdhsa_exception_fp_ieee_underflow 0
		.amdhsa_exception_fp_ieee_inexact 0
		.amdhsa_exception_int_div_zero 0
	.end_amdhsa_kernel
	.section	.text._ZN9rocsparseL19gebsrmvn_1xn_kernelILj128ELj11ELj8EfEEvi20rocsparse_direction_NS_24const_host_device_scalarIT2_EEPKiS6_PKS3_S8_S4_PS3_21rocsparse_index_base_b,"axG",@progbits,_ZN9rocsparseL19gebsrmvn_1xn_kernelILj128ELj11ELj8EfEEvi20rocsparse_direction_NS_24const_host_device_scalarIT2_EEPKiS6_PKS3_S8_S4_PS3_21rocsparse_index_base_b,comdat
.Lfunc_end46:
	.size	_ZN9rocsparseL19gebsrmvn_1xn_kernelILj128ELj11ELj8EfEEvi20rocsparse_direction_NS_24const_host_device_scalarIT2_EEPKiS6_PKS3_S8_S4_PS3_21rocsparse_index_base_b, .Lfunc_end46-_ZN9rocsparseL19gebsrmvn_1xn_kernelILj128ELj11ELj8EfEEvi20rocsparse_direction_NS_24const_host_device_scalarIT2_EEPKiS6_PKS3_S8_S4_PS3_21rocsparse_index_base_b
                                        ; -- End function
	.set _ZN9rocsparseL19gebsrmvn_1xn_kernelILj128ELj11ELj8EfEEvi20rocsparse_direction_NS_24const_host_device_scalarIT2_EEPKiS6_PKS3_S8_S4_PS3_21rocsparse_index_base_b.num_vgpr, 38
	.set _ZN9rocsparseL19gebsrmvn_1xn_kernelILj128ELj11ELj8EfEEvi20rocsparse_direction_NS_24const_host_device_scalarIT2_EEPKiS6_PKS3_S8_S4_PS3_21rocsparse_index_base_b.num_agpr, 0
	.set _ZN9rocsparseL19gebsrmvn_1xn_kernelILj128ELj11ELj8EfEEvi20rocsparse_direction_NS_24const_host_device_scalarIT2_EEPKiS6_PKS3_S8_S4_PS3_21rocsparse_index_base_b.numbered_sgpr, 14
	.set _ZN9rocsparseL19gebsrmvn_1xn_kernelILj128ELj11ELj8EfEEvi20rocsparse_direction_NS_24const_host_device_scalarIT2_EEPKiS6_PKS3_S8_S4_PS3_21rocsparse_index_base_b.num_named_barrier, 0
	.set _ZN9rocsparseL19gebsrmvn_1xn_kernelILj128ELj11ELj8EfEEvi20rocsparse_direction_NS_24const_host_device_scalarIT2_EEPKiS6_PKS3_S8_S4_PS3_21rocsparse_index_base_b.private_seg_size, 0
	.set _ZN9rocsparseL19gebsrmvn_1xn_kernelILj128ELj11ELj8EfEEvi20rocsparse_direction_NS_24const_host_device_scalarIT2_EEPKiS6_PKS3_S8_S4_PS3_21rocsparse_index_base_b.uses_vcc, 1
	.set _ZN9rocsparseL19gebsrmvn_1xn_kernelILj128ELj11ELj8EfEEvi20rocsparse_direction_NS_24const_host_device_scalarIT2_EEPKiS6_PKS3_S8_S4_PS3_21rocsparse_index_base_b.uses_flat_scratch, 0
	.set _ZN9rocsparseL19gebsrmvn_1xn_kernelILj128ELj11ELj8EfEEvi20rocsparse_direction_NS_24const_host_device_scalarIT2_EEPKiS6_PKS3_S8_S4_PS3_21rocsparse_index_base_b.has_dyn_sized_stack, 0
	.set _ZN9rocsparseL19gebsrmvn_1xn_kernelILj128ELj11ELj8EfEEvi20rocsparse_direction_NS_24const_host_device_scalarIT2_EEPKiS6_PKS3_S8_S4_PS3_21rocsparse_index_base_b.has_recursion, 0
	.set _ZN9rocsparseL19gebsrmvn_1xn_kernelILj128ELj11ELj8EfEEvi20rocsparse_direction_NS_24const_host_device_scalarIT2_EEPKiS6_PKS3_S8_S4_PS3_21rocsparse_index_base_b.has_indirect_call, 0
	.section	.AMDGPU.csdata,"",@progbits
; Kernel info:
; codeLenInByte = 1484
; TotalNumSgprs: 16
; NumVgprs: 38
; ScratchSize: 0
; MemoryBound: 0
; FloatMode: 240
; IeeeMode: 1
; LDSByteSize: 0 bytes/workgroup (compile time only)
; SGPRBlocks: 0
; VGPRBlocks: 4
; NumSGPRsForWavesPerEU: 16
; NumVGPRsForWavesPerEU: 38
; Occupancy: 16
; WaveLimiterHint : 1
; COMPUTE_PGM_RSRC2:SCRATCH_EN: 0
; COMPUTE_PGM_RSRC2:USER_SGPR: 6
; COMPUTE_PGM_RSRC2:TRAP_HANDLER: 0
; COMPUTE_PGM_RSRC2:TGID_X_EN: 1
; COMPUTE_PGM_RSRC2:TGID_Y_EN: 0
; COMPUTE_PGM_RSRC2:TGID_Z_EN: 0
; COMPUTE_PGM_RSRC2:TIDIG_COMP_CNT: 0
	.section	.text._ZN9rocsparseL19gebsrmvn_1xn_kernelILj128ELj11ELj16EfEEvi20rocsparse_direction_NS_24const_host_device_scalarIT2_EEPKiS6_PKS3_S8_S4_PS3_21rocsparse_index_base_b,"axG",@progbits,_ZN9rocsparseL19gebsrmvn_1xn_kernelILj128ELj11ELj16EfEEvi20rocsparse_direction_NS_24const_host_device_scalarIT2_EEPKiS6_PKS3_S8_S4_PS3_21rocsparse_index_base_b,comdat
	.globl	_ZN9rocsparseL19gebsrmvn_1xn_kernelILj128ELj11ELj16EfEEvi20rocsparse_direction_NS_24const_host_device_scalarIT2_EEPKiS6_PKS3_S8_S4_PS3_21rocsparse_index_base_b ; -- Begin function _ZN9rocsparseL19gebsrmvn_1xn_kernelILj128ELj11ELj16EfEEvi20rocsparse_direction_NS_24const_host_device_scalarIT2_EEPKiS6_PKS3_S8_S4_PS3_21rocsparse_index_base_b
	.p2align	8
	.type	_ZN9rocsparseL19gebsrmvn_1xn_kernelILj128ELj11ELj16EfEEvi20rocsparse_direction_NS_24const_host_device_scalarIT2_EEPKiS6_PKS3_S8_S4_PS3_21rocsparse_index_base_b,@function
_ZN9rocsparseL19gebsrmvn_1xn_kernelILj128ELj11ELj16EfEEvi20rocsparse_direction_NS_24const_host_device_scalarIT2_EEPKiS6_PKS3_S8_S4_PS3_21rocsparse_index_base_b: ; @_ZN9rocsparseL19gebsrmvn_1xn_kernelILj128ELj11ELj16EfEEvi20rocsparse_direction_NS_24const_host_device_scalarIT2_EEPKiS6_PKS3_S8_S4_PS3_21rocsparse_index_base_b
; %bb.0:
	s_clause 0x2
	s_load_dwordx2 s[12:13], s[4:5], 0x40
	s_load_dwordx2 s[10:11], s[4:5], 0x8
	;; [unrolled: 1-line block ×3, first 2 shown]
	s_waitcnt lgkmcnt(0)
	s_bitcmp1_b32 s13, 0
	s_cselect_b32 s0, -1, 0
	s_and_b32 vcc_lo, exec_lo, s0
	s_xor_b32 s0, s0, -1
	s_cbranch_vccnz .LBB47_2
; %bb.1:
	s_load_dword s10, s[10:11], 0x0
.LBB47_2:
	s_andn2_b32 vcc_lo, exec_lo, s0
	s_cbranch_vccnz .LBB47_4
; %bb.3:
	s_load_dword s8, s[8:9], 0x0
.LBB47_4:
	s_waitcnt lgkmcnt(0)
	v_cmp_eq_f32_e64 s0, s10, 0
	v_cmp_eq_f32_e64 s1, s8, 1.0
	s_and_b32 s0, s0, s1
	s_and_b32 vcc_lo, exec_lo, s0
	s_cbranch_vccnz .LBB47_15
; %bb.5:
	s_load_dword s0, s[4:5], 0x0
	v_lshrrev_b32_e32 v1, 4, v0
	v_lshl_or_b32 v1, s6, 3, v1
	s_waitcnt lgkmcnt(0)
	v_cmp_gt_i32_e32 vcc_lo, s0, v1
	s_and_saveexec_b32 s0, vcc_lo
	s_cbranch_execz .LBB47_15
; %bb.6:
	s_clause 0x1
	s_load_dwordx2 s[0:1], s[4:5], 0x10
	s_load_dwordx2 s[6:7], s[4:5], 0x38
	v_ashrrev_i32_e32 v2, 31, v1
	v_and_b32_e32 v0, 15, v0
	v_mov_b32_e32 v9, 0
	s_mov_b32 s9, exec_lo
	v_lshlrev_b64 v[1:2], 2, v[1:2]
	v_subrev_nc_u32_e32 v5, s12, v0
	s_waitcnt lgkmcnt(0)
	v_add_co_u32 v3, vcc_lo, s0, v1
	v_add_co_ci_u32_e64 v4, null, s1, v2, vcc_lo
	global_load_dwordx2 v[3:4], v[3:4], off
	s_waitcnt vmcnt(0)
	v_subrev_nc_u32_e32 v10, s12, v4
	v_add_nc_u32_e32 v3, v3, v5
	v_cmpx_lt_i32_e64 v3, v10
	s_cbranch_execz .LBB47_10
; %bb.7:
	s_clause 0x1
	s_load_dwordx4 s[0:3], s[4:5], 0x18
	s_load_dwordx2 s[4:5], s[4:5], 0x28
	v_mad_u64_u32 v[5:6], null, v3, 11, 10
	v_mov_b32_e32 v8, 0
	v_mov_b32_e32 v9, 0
	s_mov_b32 s11, 0
.LBB47_8:                               ; =>This Inner Loop Header: Depth=1
	v_ashrrev_i32_e32 v4, 31, v3
	v_mov_b32_e32 v12, v8
	v_lshlrev_b64 v[6:7], 2, v[3:4]
	v_add_nc_u32_e32 v3, 16, v3
	s_waitcnt lgkmcnt(0)
	v_add_co_u32 v6, vcc_lo, s0, v6
	v_add_co_ci_u32_e64 v7, null, s1, v7, vcc_lo
	global_load_dword v4, v[6:7], off
	v_add_nc_u32_e32 v7, -10, v5
	v_mov_b32_e32 v6, v8
	v_lshlrev_b64 v[13:14], 2, v[7:8]
	v_add_nc_u32_e32 v7, -9, v5
	v_lshlrev_b64 v[15:16], 2, v[5:6]
	v_lshlrev_b64 v[6:7], 2, v[7:8]
	v_add_co_u32 v13, vcc_lo, s2, v13
	v_add_co_ci_u32_e64 v14, null, s3, v14, vcc_lo
	v_add_co_u32 v15, vcc_lo, s2, v15
	v_add_co_ci_u32_e64 v16, null, s3, v16, vcc_lo
	;; [unrolled: 2-line block ×3, first 2 shown]
	s_clause 0x1
	global_load_dword v21, v[13:14], off
	global_load_dword v22, v[6:7], off
	s_waitcnt vmcnt(2)
	v_subrev_nc_u32_e32 v4, s12, v4
	v_mul_lo_u32 v11, v4, 11
	v_add_nc_u32_e32 v7, 1, v11
	v_lshlrev_b64 v[12:13], 2, v[11:12]
	v_lshlrev_b64 v[17:18], 2, v[7:8]
	v_add_nc_u32_e32 v7, -8, v5
	v_add_co_u32 v12, vcc_lo, s4, v12
	v_add_co_ci_u32_e64 v13, null, s5, v13, vcc_lo
	v_add_co_u32 v17, vcc_lo, s4, v17
	v_lshlrev_b64 v[19:20], 2, v[7:8]
	v_add_nc_u32_e32 v7, 2, v11
	v_add_co_ci_u32_e64 v18, null, s5, v18, vcc_lo
	s_clause 0x1
	global_load_dword v4, v[12:13], off
	global_load_dword v23, v[17:18], off
	v_lshlrev_b64 v[12:13], 2, v[7:8]
	v_add_nc_u32_e32 v7, -7, v5
	v_add_co_u32 v17, vcc_lo, s2, v19
	v_add_co_ci_u32_e64 v18, null, s3, v20, vcc_lo
	v_add_co_u32 v12, vcc_lo, s4, v12
	v_lshlrev_b64 v[19:20], 2, v[7:8]
	v_add_co_ci_u32_e64 v13, null, s5, v13, vcc_lo
	v_add_nc_u32_e32 v7, 3, v11
	global_load_dword v24, v[17:18], off
	global_load_dword v25, v[12:13], off
	v_add_co_u32 v12, vcc_lo, s2, v19
	v_add_co_ci_u32_e64 v13, null, s3, v20, vcc_lo
	global_load_dword v26, v[12:13], off
	v_lshlrev_b64 v[17:18], 2, v[7:8]
	v_add_nc_u32_e32 v7, -6, v5
	v_lshlrev_b64 v[19:20], 2, v[7:8]
	v_add_nc_u32_e32 v7, 4, v11
	v_add_co_u32 v17, vcc_lo, s4, v17
	v_add_co_ci_u32_e64 v18, null, s5, v18, vcc_lo
	v_lshlrev_b64 v[12:13], 2, v[7:8]
	v_add_nc_u32_e32 v7, -5, v5
	global_load_dword v27, v[17:18], off
	v_add_co_u32 v17, vcc_lo, s2, v19
	v_add_co_ci_u32_e64 v18, null, s3, v20, vcc_lo
	v_add_co_u32 v12, vcc_lo, s4, v12
	v_lshlrev_b64 v[19:20], 2, v[7:8]
	v_add_co_ci_u32_e64 v13, null, s5, v13, vcc_lo
	v_add_nc_u32_e32 v7, 5, v11
	global_load_dword v28, v[17:18], off
	global_load_dword v29, v[12:13], off
	v_add_co_u32 v12, vcc_lo, s2, v19
	v_add_co_ci_u32_e64 v13, null, s3, v20, vcc_lo
	global_load_dword v30, v[12:13], off
	v_lshlrev_b64 v[17:18], 2, v[7:8]
	v_add_nc_u32_e32 v7, -4, v5
	v_lshlrev_b64 v[19:20], 2, v[7:8]
	v_add_nc_u32_e32 v7, 6, v11
	v_add_co_u32 v17, vcc_lo, s4, v17
	v_add_co_ci_u32_e64 v18, null, s5, v18, vcc_lo
	v_lshlrev_b64 v[12:13], 2, v[7:8]
	v_add_nc_u32_e32 v7, -3, v5
	global_load_dword v31, v[17:18], off
	v_add_co_u32 v17, vcc_lo, s2, v19
	v_add_co_ci_u32_e64 v18, null, s3, v20, vcc_lo
	v_add_co_u32 v12, vcc_lo, s4, v12
	v_lshlrev_b64 v[19:20], 2, v[7:8]
	v_add_co_ci_u32_e64 v13, null, s5, v13, vcc_lo
	v_add_nc_u32_e32 v7, 7, v11
	global_load_dword v32, v[17:18], off
	global_load_dword v33, v[12:13], off
	v_add_co_u32 v12, vcc_lo, s2, v19
	v_add_co_ci_u32_e64 v13, null, s3, v20, vcc_lo
	global_load_dword v34, v[12:13], off
	v_lshlrev_b64 v[17:18], 2, v[7:8]
	v_add_nc_u32_e32 v7, -2, v5
	v_lshlrev_b64 v[19:20], 2, v[7:8]
	v_add_nc_u32_e32 v7, 8, v11
	v_add_co_u32 v17, vcc_lo, s4, v17
	v_add_co_ci_u32_e64 v18, null, s5, v18, vcc_lo
	v_lshlrev_b64 v[12:13], 2, v[7:8]
	v_add_nc_u32_e32 v7, -1, v5
	v_add_nc_u32_e32 v5, 0xb0, v5
	global_load_dword v35, v[17:18], off
	v_add_co_u32 v17, vcc_lo, s2, v19
	v_add_co_ci_u32_e64 v18, null, s3, v20, vcc_lo
	v_lshlrev_b64 v[19:20], 2, v[7:8]
	v_add_nc_u32_e32 v7, 9, v11
	v_add_co_u32 v12, vcc_lo, s4, v12
	global_load_dword v36, v[17:18], off
	v_add_co_ci_u32_e64 v13, null, s5, v13, vcc_lo
	v_lshlrev_b64 v[17:18], 2, v[7:8]
	v_add_nc_u32_e32 v7, 10, v11
	v_add_co_u32 v11, vcc_lo, s2, v19
	global_load_dword v37, v[12:13], off
	v_add_co_ci_u32_e64 v12, null, s3, v20, vcc_lo
	v_lshlrev_b64 v[6:7], 2, v[7:8]
	v_add_co_u32 v13, vcc_lo, s4, v17
	v_add_co_ci_u32_e64 v14, null, s5, v18, vcc_lo
	global_load_dword v11, v[11:12], off
	global_load_dword v12, v[13:14], off
	v_add_co_u32 v6, vcc_lo, s4, v6
	v_add_co_ci_u32_e64 v7, null, s5, v7, vcc_lo
	global_load_dword v13, v[15:16], off
	global_load_dword v6, v[6:7], off
	v_cmp_ge_i32_e32 vcc_lo, v3, v10
	s_or_b32 s11, vcc_lo, s11
	s_waitcnt vmcnt(19)
	v_fmac_f32_e32 v9, v21, v4
	s_waitcnt vmcnt(18)
	v_fmac_f32_e32 v9, v22, v23
	s_waitcnt vmcnt(16)
	v_fmac_f32_e32 v9, v24, v25
	s_waitcnt vmcnt(14)
	v_fmac_f32_e32 v9, v26, v27
	s_waitcnt vmcnt(12)
	v_fmac_f32_e32 v9, v28, v29
	s_waitcnt vmcnt(10)
	v_fmac_f32_e32 v9, v30, v31
	s_waitcnt vmcnt(8)
	v_fmac_f32_e32 v9, v32, v33
	s_waitcnt vmcnt(6)
	v_fmac_f32_e32 v9, v34, v35
	s_waitcnt vmcnt(4)
	v_fmac_f32_e32 v9, v36, v37
	s_waitcnt vmcnt(2)
	v_fmac_f32_e32 v9, v11, v12
	s_waitcnt vmcnt(0)
	v_fmac_f32_e32 v9, v13, v6
	s_andn2_b32 exec_lo, exec_lo, s11
	s_cbranch_execnz .LBB47_8
; %bb.9:
	s_or_b32 exec_lo, exec_lo, s11
.LBB47_10:
	s_or_b32 exec_lo, exec_lo, s9
	v_mbcnt_lo_u32_b32 v3, -1, 0
	s_mov_b32 s0, -1
	v_xor_b32_e32 v4, 8, v3
	v_xor_b32_e32 v5, 4, v3
	;; [unrolled: 1-line block ×3, first 2 shown]
	v_cmp_gt_i32_e32 vcc_lo, 32, v4
	v_cndmask_b32_e32 v4, v3, v4, vcc_lo
	v_cmp_gt_i32_e32 vcc_lo, 32, v5
	v_lshlrev_b32_e32 v4, 2, v4
	v_cndmask_b32_e32 v5, v3, v5, vcc_lo
	v_cmp_gt_i32_e32 vcc_lo, 32, v6
	ds_bpermute_b32 v4, v4, v9
	v_lshlrev_b32_e32 v5, 2, v5
	v_cndmask_b32_e32 v6, v3, v6, vcc_lo
	v_lshlrev_b32_e32 v6, 2, v6
	s_waitcnt lgkmcnt(0)
	v_add_f32_e32 v4, v9, v4
	ds_bpermute_b32 v5, v5, v4
	s_waitcnt lgkmcnt(0)
	v_add_f32_e32 v4, v4, v5
	ds_bpermute_b32 v5, v6, v4
	v_xor_b32_e32 v6, 1, v3
	v_cmp_gt_i32_e32 vcc_lo, 32, v6
	v_cndmask_b32_e32 v6, v3, v6, vcc_lo
	v_cmp_eq_u32_e32 vcc_lo, 15, v0
	s_waitcnt lgkmcnt(0)
	v_add_f32_e32 v3, v4, v5
	v_lshlrev_b32_e32 v4, 2, v6
	ds_bpermute_b32 v4, v4, v3
	s_and_b32 exec_lo, exec_lo, vcc_lo
	s_cbranch_execz .LBB47_15
; %bb.11:
	s_waitcnt lgkmcnt(0)
	v_add_f32_e32 v0, v3, v4
	v_cmp_eq_f32_e64 s1, s8, 0
	v_mul_f32_e32 v0, s10, v0
	s_and_b32 vcc_lo, exec_lo, s1
	s_cbranch_vccz .LBB47_13
; %bb.12:
	v_add_co_u32 v3, vcc_lo, s6, v1
	v_add_co_ci_u32_e64 v4, null, s7, v2, vcc_lo
	s_mov_b32 s0, 0
	global_store_dword v[3:4], v0, off
.LBB47_13:
	s_andn2_b32 vcc_lo, exec_lo, s0
	s_cbranch_vccnz .LBB47_15
; %bb.14:
	v_add_co_u32 v1, vcc_lo, s6, v1
	v_add_co_ci_u32_e64 v2, null, s7, v2, vcc_lo
	global_load_dword v3, v[1:2], off
	s_waitcnt vmcnt(0)
	v_fmac_f32_e32 v0, s8, v3
	global_store_dword v[1:2], v0, off
.LBB47_15:
	s_endpgm
	.section	.rodata,"a",@progbits
	.p2align	6, 0x0
	.amdhsa_kernel _ZN9rocsparseL19gebsrmvn_1xn_kernelILj128ELj11ELj16EfEEvi20rocsparse_direction_NS_24const_host_device_scalarIT2_EEPKiS6_PKS3_S8_S4_PS3_21rocsparse_index_base_b
		.amdhsa_group_segment_fixed_size 0
		.amdhsa_private_segment_fixed_size 0
		.amdhsa_kernarg_size 72
		.amdhsa_user_sgpr_count 6
		.amdhsa_user_sgpr_private_segment_buffer 1
		.amdhsa_user_sgpr_dispatch_ptr 0
		.amdhsa_user_sgpr_queue_ptr 0
		.amdhsa_user_sgpr_kernarg_segment_ptr 1
		.amdhsa_user_sgpr_dispatch_id 0
		.amdhsa_user_sgpr_flat_scratch_init 0
		.amdhsa_user_sgpr_private_segment_size 0
		.amdhsa_wavefront_size32 1
		.amdhsa_uses_dynamic_stack 0
		.amdhsa_system_sgpr_private_segment_wavefront_offset 0
		.amdhsa_system_sgpr_workgroup_id_x 1
		.amdhsa_system_sgpr_workgroup_id_y 0
		.amdhsa_system_sgpr_workgroup_id_z 0
		.amdhsa_system_sgpr_workgroup_info 0
		.amdhsa_system_vgpr_workitem_id 0
		.amdhsa_next_free_vgpr 38
		.amdhsa_next_free_sgpr 14
		.amdhsa_reserve_vcc 1
		.amdhsa_reserve_flat_scratch 0
		.amdhsa_float_round_mode_32 0
		.amdhsa_float_round_mode_16_64 0
		.amdhsa_float_denorm_mode_32 3
		.amdhsa_float_denorm_mode_16_64 3
		.amdhsa_dx10_clamp 1
		.amdhsa_ieee_mode 1
		.amdhsa_fp16_overflow 0
		.amdhsa_workgroup_processor_mode 1
		.amdhsa_memory_ordered 1
		.amdhsa_forward_progress 1
		.amdhsa_shared_vgpr_count 0
		.amdhsa_exception_fp_ieee_invalid_op 0
		.amdhsa_exception_fp_denorm_src 0
		.amdhsa_exception_fp_ieee_div_zero 0
		.amdhsa_exception_fp_ieee_overflow 0
		.amdhsa_exception_fp_ieee_underflow 0
		.amdhsa_exception_fp_ieee_inexact 0
		.amdhsa_exception_int_div_zero 0
	.end_amdhsa_kernel
	.section	.text._ZN9rocsparseL19gebsrmvn_1xn_kernelILj128ELj11ELj16EfEEvi20rocsparse_direction_NS_24const_host_device_scalarIT2_EEPKiS6_PKS3_S8_S4_PS3_21rocsparse_index_base_b,"axG",@progbits,_ZN9rocsparseL19gebsrmvn_1xn_kernelILj128ELj11ELj16EfEEvi20rocsparse_direction_NS_24const_host_device_scalarIT2_EEPKiS6_PKS3_S8_S4_PS3_21rocsparse_index_base_b,comdat
.Lfunc_end47:
	.size	_ZN9rocsparseL19gebsrmvn_1xn_kernelILj128ELj11ELj16EfEEvi20rocsparse_direction_NS_24const_host_device_scalarIT2_EEPKiS6_PKS3_S8_S4_PS3_21rocsparse_index_base_b, .Lfunc_end47-_ZN9rocsparseL19gebsrmvn_1xn_kernelILj128ELj11ELj16EfEEvi20rocsparse_direction_NS_24const_host_device_scalarIT2_EEPKiS6_PKS3_S8_S4_PS3_21rocsparse_index_base_b
                                        ; -- End function
	.set _ZN9rocsparseL19gebsrmvn_1xn_kernelILj128ELj11ELj16EfEEvi20rocsparse_direction_NS_24const_host_device_scalarIT2_EEPKiS6_PKS3_S8_S4_PS3_21rocsparse_index_base_b.num_vgpr, 38
	.set _ZN9rocsparseL19gebsrmvn_1xn_kernelILj128ELj11ELj16EfEEvi20rocsparse_direction_NS_24const_host_device_scalarIT2_EEPKiS6_PKS3_S8_S4_PS3_21rocsparse_index_base_b.num_agpr, 0
	.set _ZN9rocsparseL19gebsrmvn_1xn_kernelILj128ELj11ELj16EfEEvi20rocsparse_direction_NS_24const_host_device_scalarIT2_EEPKiS6_PKS3_S8_S4_PS3_21rocsparse_index_base_b.numbered_sgpr, 14
	.set _ZN9rocsparseL19gebsrmvn_1xn_kernelILj128ELj11ELj16EfEEvi20rocsparse_direction_NS_24const_host_device_scalarIT2_EEPKiS6_PKS3_S8_S4_PS3_21rocsparse_index_base_b.num_named_barrier, 0
	.set _ZN9rocsparseL19gebsrmvn_1xn_kernelILj128ELj11ELj16EfEEvi20rocsparse_direction_NS_24const_host_device_scalarIT2_EEPKiS6_PKS3_S8_S4_PS3_21rocsparse_index_base_b.private_seg_size, 0
	.set _ZN9rocsparseL19gebsrmvn_1xn_kernelILj128ELj11ELj16EfEEvi20rocsparse_direction_NS_24const_host_device_scalarIT2_EEPKiS6_PKS3_S8_S4_PS3_21rocsparse_index_base_b.uses_vcc, 1
	.set _ZN9rocsparseL19gebsrmvn_1xn_kernelILj128ELj11ELj16EfEEvi20rocsparse_direction_NS_24const_host_device_scalarIT2_EEPKiS6_PKS3_S8_S4_PS3_21rocsparse_index_base_b.uses_flat_scratch, 0
	.set _ZN9rocsparseL19gebsrmvn_1xn_kernelILj128ELj11ELj16EfEEvi20rocsparse_direction_NS_24const_host_device_scalarIT2_EEPKiS6_PKS3_S8_S4_PS3_21rocsparse_index_base_b.has_dyn_sized_stack, 0
	.set _ZN9rocsparseL19gebsrmvn_1xn_kernelILj128ELj11ELj16EfEEvi20rocsparse_direction_NS_24const_host_device_scalarIT2_EEPKiS6_PKS3_S8_S4_PS3_21rocsparse_index_base_b.has_recursion, 0
	.set _ZN9rocsparseL19gebsrmvn_1xn_kernelILj128ELj11ELj16EfEEvi20rocsparse_direction_NS_24const_host_device_scalarIT2_EEPKiS6_PKS3_S8_S4_PS3_21rocsparse_index_base_b.has_indirect_call, 0
	.section	.AMDGPU.csdata,"",@progbits
; Kernel info:
; codeLenInByte = 1516
; TotalNumSgprs: 16
; NumVgprs: 38
; ScratchSize: 0
; MemoryBound: 0
; FloatMode: 240
; IeeeMode: 1
; LDSByteSize: 0 bytes/workgroup (compile time only)
; SGPRBlocks: 0
; VGPRBlocks: 4
; NumSGPRsForWavesPerEU: 16
; NumVGPRsForWavesPerEU: 38
; Occupancy: 16
; WaveLimiterHint : 1
; COMPUTE_PGM_RSRC2:SCRATCH_EN: 0
; COMPUTE_PGM_RSRC2:USER_SGPR: 6
; COMPUTE_PGM_RSRC2:TRAP_HANDLER: 0
; COMPUTE_PGM_RSRC2:TGID_X_EN: 1
; COMPUTE_PGM_RSRC2:TGID_Y_EN: 0
; COMPUTE_PGM_RSRC2:TGID_Z_EN: 0
; COMPUTE_PGM_RSRC2:TIDIG_COMP_CNT: 0
	.section	.text._ZN9rocsparseL19gebsrmvn_1xn_kernelILj128ELj11ELj32EfEEvi20rocsparse_direction_NS_24const_host_device_scalarIT2_EEPKiS6_PKS3_S8_S4_PS3_21rocsparse_index_base_b,"axG",@progbits,_ZN9rocsparseL19gebsrmvn_1xn_kernelILj128ELj11ELj32EfEEvi20rocsparse_direction_NS_24const_host_device_scalarIT2_EEPKiS6_PKS3_S8_S4_PS3_21rocsparse_index_base_b,comdat
	.globl	_ZN9rocsparseL19gebsrmvn_1xn_kernelILj128ELj11ELj32EfEEvi20rocsparse_direction_NS_24const_host_device_scalarIT2_EEPKiS6_PKS3_S8_S4_PS3_21rocsparse_index_base_b ; -- Begin function _ZN9rocsparseL19gebsrmvn_1xn_kernelILj128ELj11ELj32EfEEvi20rocsparse_direction_NS_24const_host_device_scalarIT2_EEPKiS6_PKS3_S8_S4_PS3_21rocsparse_index_base_b
	.p2align	8
	.type	_ZN9rocsparseL19gebsrmvn_1xn_kernelILj128ELj11ELj32EfEEvi20rocsparse_direction_NS_24const_host_device_scalarIT2_EEPKiS6_PKS3_S8_S4_PS3_21rocsparse_index_base_b,@function
_ZN9rocsparseL19gebsrmvn_1xn_kernelILj128ELj11ELj32EfEEvi20rocsparse_direction_NS_24const_host_device_scalarIT2_EEPKiS6_PKS3_S8_S4_PS3_21rocsparse_index_base_b: ; @_ZN9rocsparseL19gebsrmvn_1xn_kernelILj128ELj11ELj32EfEEvi20rocsparse_direction_NS_24const_host_device_scalarIT2_EEPKiS6_PKS3_S8_S4_PS3_21rocsparse_index_base_b
; %bb.0:
	s_clause 0x2
	s_load_dwordx2 s[12:13], s[4:5], 0x40
	s_load_dwordx2 s[10:11], s[4:5], 0x8
	;; [unrolled: 1-line block ×3, first 2 shown]
	s_waitcnt lgkmcnt(0)
	s_bitcmp1_b32 s13, 0
	s_cselect_b32 s0, -1, 0
	s_and_b32 vcc_lo, exec_lo, s0
	s_xor_b32 s0, s0, -1
	s_cbranch_vccnz .LBB48_2
; %bb.1:
	s_load_dword s10, s[10:11], 0x0
.LBB48_2:
	s_andn2_b32 vcc_lo, exec_lo, s0
	s_cbranch_vccnz .LBB48_4
; %bb.3:
	s_load_dword s8, s[8:9], 0x0
.LBB48_4:
	s_waitcnt lgkmcnt(0)
	v_cmp_eq_f32_e64 s0, s10, 0
	v_cmp_eq_f32_e64 s1, s8, 1.0
	s_and_b32 s0, s0, s1
	s_and_b32 vcc_lo, exec_lo, s0
	s_cbranch_vccnz .LBB48_15
; %bb.5:
	s_load_dword s0, s[4:5], 0x0
	v_lshrrev_b32_e32 v1, 5, v0
	v_lshl_or_b32 v1, s6, 2, v1
	s_waitcnt lgkmcnt(0)
	v_cmp_gt_i32_e32 vcc_lo, s0, v1
	s_and_saveexec_b32 s0, vcc_lo
	s_cbranch_execz .LBB48_15
; %bb.6:
	s_clause 0x1
	s_load_dwordx2 s[0:1], s[4:5], 0x10
	s_load_dwordx2 s[6:7], s[4:5], 0x38
	v_ashrrev_i32_e32 v2, 31, v1
	v_and_b32_e32 v0, 31, v0
	v_mov_b32_e32 v9, 0
	s_mov_b32 s9, exec_lo
	v_lshlrev_b64 v[1:2], 2, v[1:2]
	v_subrev_nc_u32_e32 v5, s12, v0
	s_waitcnt lgkmcnt(0)
	v_add_co_u32 v3, vcc_lo, s0, v1
	v_add_co_ci_u32_e64 v4, null, s1, v2, vcc_lo
	global_load_dwordx2 v[3:4], v[3:4], off
	s_waitcnt vmcnt(0)
	v_subrev_nc_u32_e32 v10, s12, v4
	v_add_nc_u32_e32 v3, v3, v5
	v_cmpx_lt_i32_e64 v3, v10
	s_cbranch_execz .LBB48_10
; %bb.7:
	s_clause 0x1
	s_load_dwordx4 s[0:3], s[4:5], 0x18
	s_load_dwordx2 s[4:5], s[4:5], 0x28
	v_mad_u64_u32 v[5:6], null, v3, 11, 10
	v_mov_b32_e32 v8, 0
	v_mov_b32_e32 v9, 0
	s_mov_b32 s11, 0
.LBB48_8:                               ; =>This Inner Loop Header: Depth=1
	v_ashrrev_i32_e32 v4, 31, v3
	v_mov_b32_e32 v12, v8
	v_lshlrev_b64 v[6:7], 2, v[3:4]
	v_add_nc_u32_e32 v3, 32, v3
	s_waitcnt lgkmcnt(0)
	v_add_co_u32 v6, vcc_lo, s0, v6
	v_add_co_ci_u32_e64 v7, null, s1, v7, vcc_lo
	global_load_dword v4, v[6:7], off
	v_add_nc_u32_e32 v7, -10, v5
	v_mov_b32_e32 v6, v8
	v_lshlrev_b64 v[13:14], 2, v[7:8]
	v_add_nc_u32_e32 v7, -9, v5
	v_lshlrev_b64 v[15:16], 2, v[5:6]
	v_lshlrev_b64 v[6:7], 2, v[7:8]
	v_add_co_u32 v13, vcc_lo, s2, v13
	v_add_co_ci_u32_e64 v14, null, s3, v14, vcc_lo
	v_add_co_u32 v15, vcc_lo, s2, v15
	v_add_co_ci_u32_e64 v16, null, s3, v16, vcc_lo
	v_add_co_u32 v6, vcc_lo, s2, v6
	v_add_co_ci_u32_e64 v7, null, s3, v7, vcc_lo
	s_clause 0x1
	global_load_dword v21, v[13:14], off
	global_load_dword v22, v[6:7], off
	s_waitcnt vmcnt(2)
	v_subrev_nc_u32_e32 v4, s12, v4
	v_mul_lo_u32 v11, v4, 11
	v_add_nc_u32_e32 v7, 1, v11
	v_lshlrev_b64 v[12:13], 2, v[11:12]
	v_lshlrev_b64 v[17:18], 2, v[7:8]
	v_add_nc_u32_e32 v7, -8, v5
	v_add_co_u32 v12, vcc_lo, s4, v12
	v_add_co_ci_u32_e64 v13, null, s5, v13, vcc_lo
	v_add_co_u32 v17, vcc_lo, s4, v17
	v_lshlrev_b64 v[19:20], 2, v[7:8]
	v_add_nc_u32_e32 v7, 2, v11
	v_add_co_ci_u32_e64 v18, null, s5, v18, vcc_lo
	s_clause 0x1
	global_load_dword v4, v[12:13], off
	global_load_dword v23, v[17:18], off
	v_lshlrev_b64 v[12:13], 2, v[7:8]
	v_add_nc_u32_e32 v7, -7, v5
	v_add_co_u32 v17, vcc_lo, s2, v19
	v_add_co_ci_u32_e64 v18, null, s3, v20, vcc_lo
	v_add_co_u32 v12, vcc_lo, s4, v12
	v_lshlrev_b64 v[19:20], 2, v[7:8]
	v_add_co_ci_u32_e64 v13, null, s5, v13, vcc_lo
	v_add_nc_u32_e32 v7, 3, v11
	global_load_dword v24, v[17:18], off
	global_load_dword v25, v[12:13], off
	v_add_co_u32 v12, vcc_lo, s2, v19
	v_add_co_ci_u32_e64 v13, null, s3, v20, vcc_lo
	global_load_dword v26, v[12:13], off
	v_lshlrev_b64 v[17:18], 2, v[7:8]
	v_add_nc_u32_e32 v7, -6, v5
	v_lshlrev_b64 v[19:20], 2, v[7:8]
	v_add_nc_u32_e32 v7, 4, v11
	v_add_co_u32 v17, vcc_lo, s4, v17
	v_add_co_ci_u32_e64 v18, null, s5, v18, vcc_lo
	v_lshlrev_b64 v[12:13], 2, v[7:8]
	v_add_nc_u32_e32 v7, -5, v5
	global_load_dword v27, v[17:18], off
	v_add_co_u32 v17, vcc_lo, s2, v19
	v_add_co_ci_u32_e64 v18, null, s3, v20, vcc_lo
	v_add_co_u32 v12, vcc_lo, s4, v12
	v_lshlrev_b64 v[19:20], 2, v[7:8]
	v_add_co_ci_u32_e64 v13, null, s5, v13, vcc_lo
	v_add_nc_u32_e32 v7, 5, v11
	global_load_dword v28, v[17:18], off
	global_load_dword v29, v[12:13], off
	v_add_co_u32 v12, vcc_lo, s2, v19
	v_add_co_ci_u32_e64 v13, null, s3, v20, vcc_lo
	global_load_dword v30, v[12:13], off
	v_lshlrev_b64 v[17:18], 2, v[7:8]
	v_add_nc_u32_e32 v7, -4, v5
	v_lshlrev_b64 v[19:20], 2, v[7:8]
	v_add_nc_u32_e32 v7, 6, v11
	v_add_co_u32 v17, vcc_lo, s4, v17
	v_add_co_ci_u32_e64 v18, null, s5, v18, vcc_lo
	v_lshlrev_b64 v[12:13], 2, v[7:8]
	v_add_nc_u32_e32 v7, -3, v5
	global_load_dword v31, v[17:18], off
	v_add_co_u32 v17, vcc_lo, s2, v19
	v_add_co_ci_u32_e64 v18, null, s3, v20, vcc_lo
	v_add_co_u32 v12, vcc_lo, s4, v12
	v_lshlrev_b64 v[19:20], 2, v[7:8]
	v_add_co_ci_u32_e64 v13, null, s5, v13, vcc_lo
	v_add_nc_u32_e32 v7, 7, v11
	global_load_dword v32, v[17:18], off
	global_load_dword v33, v[12:13], off
	v_add_co_u32 v12, vcc_lo, s2, v19
	v_add_co_ci_u32_e64 v13, null, s3, v20, vcc_lo
	global_load_dword v34, v[12:13], off
	v_lshlrev_b64 v[17:18], 2, v[7:8]
	v_add_nc_u32_e32 v7, -2, v5
	v_lshlrev_b64 v[19:20], 2, v[7:8]
	v_add_nc_u32_e32 v7, 8, v11
	v_add_co_u32 v17, vcc_lo, s4, v17
	v_add_co_ci_u32_e64 v18, null, s5, v18, vcc_lo
	v_lshlrev_b64 v[12:13], 2, v[7:8]
	v_add_nc_u32_e32 v7, -1, v5
	v_add_nc_u32_e32 v5, 0x160, v5
	global_load_dword v35, v[17:18], off
	v_add_co_u32 v17, vcc_lo, s2, v19
	v_add_co_ci_u32_e64 v18, null, s3, v20, vcc_lo
	v_lshlrev_b64 v[19:20], 2, v[7:8]
	v_add_nc_u32_e32 v7, 9, v11
	v_add_co_u32 v12, vcc_lo, s4, v12
	global_load_dword v36, v[17:18], off
	v_add_co_ci_u32_e64 v13, null, s5, v13, vcc_lo
	v_lshlrev_b64 v[17:18], 2, v[7:8]
	v_add_nc_u32_e32 v7, 10, v11
	v_add_co_u32 v11, vcc_lo, s2, v19
	global_load_dword v37, v[12:13], off
	v_add_co_ci_u32_e64 v12, null, s3, v20, vcc_lo
	v_lshlrev_b64 v[6:7], 2, v[7:8]
	v_add_co_u32 v13, vcc_lo, s4, v17
	v_add_co_ci_u32_e64 v14, null, s5, v18, vcc_lo
	global_load_dword v11, v[11:12], off
	global_load_dword v12, v[13:14], off
	v_add_co_u32 v6, vcc_lo, s4, v6
	v_add_co_ci_u32_e64 v7, null, s5, v7, vcc_lo
	global_load_dword v13, v[15:16], off
	global_load_dword v6, v[6:7], off
	v_cmp_ge_i32_e32 vcc_lo, v3, v10
	s_or_b32 s11, vcc_lo, s11
	s_waitcnt vmcnt(19)
	v_fmac_f32_e32 v9, v21, v4
	s_waitcnt vmcnt(18)
	v_fmac_f32_e32 v9, v22, v23
	;; [unrolled: 2-line block ×11, first 2 shown]
	s_andn2_b32 exec_lo, exec_lo, s11
	s_cbranch_execnz .LBB48_8
; %bb.9:
	s_or_b32 exec_lo, exec_lo, s11
.LBB48_10:
	s_or_b32 exec_lo, exec_lo, s9
	v_mbcnt_lo_u32_b32 v3, -1, 0
	s_mov_b32 s0, -1
	v_xor_b32_e32 v4, 16, v3
	v_xor_b32_e32 v5, 8, v3
	;; [unrolled: 1-line block ×3, first 2 shown]
	v_cmp_gt_i32_e32 vcc_lo, 32, v4
	v_cndmask_b32_e32 v4, v3, v4, vcc_lo
	v_cmp_gt_i32_e32 vcc_lo, 32, v5
	v_lshlrev_b32_e32 v4, 2, v4
	v_cndmask_b32_e32 v5, v3, v5, vcc_lo
	v_cmp_gt_i32_e32 vcc_lo, 32, v6
	ds_bpermute_b32 v4, v4, v9
	v_lshlrev_b32_e32 v5, 2, v5
	v_cndmask_b32_e32 v6, v3, v6, vcc_lo
	v_lshlrev_b32_e32 v6, 2, v6
	s_waitcnt lgkmcnt(0)
	v_add_f32_e32 v4, v9, v4
	ds_bpermute_b32 v5, v5, v4
	s_waitcnt lgkmcnt(0)
	v_add_f32_e32 v4, v4, v5
	ds_bpermute_b32 v5, v6, v4
	v_xor_b32_e32 v6, 2, v3
	v_cmp_gt_i32_e32 vcc_lo, 32, v6
	v_cndmask_b32_e32 v6, v3, v6, vcc_lo
	v_lshlrev_b32_e32 v6, 2, v6
	s_waitcnt lgkmcnt(0)
	v_add_f32_e32 v4, v4, v5
	ds_bpermute_b32 v5, v6, v4
	v_xor_b32_e32 v6, 1, v3
	v_cmp_gt_i32_e32 vcc_lo, 32, v6
	v_cndmask_b32_e32 v6, v3, v6, vcc_lo
	v_cmp_eq_u32_e32 vcc_lo, 31, v0
	s_waitcnt lgkmcnt(0)
	v_add_f32_e32 v3, v4, v5
	v_lshlrev_b32_e32 v4, 2, v6
	ds_bpermute_b32 v4, v4, v3
	s_and_b32 exec_lo, exec_lo, vcc_lo
	s_cbranch_execz .LBB48_15
; %bb.11:
	s_waitcnt lgkmcnt(0)
	v_add_f32_e32 v0, v3, v4
	v_cmp_eq_f32_e64 s1, s8, 0
	v_mul_f32_e32 v0, s10, v0
	s_and_b32 vcc_lo, exec_lo, s1
	s_cbranch_vccz .LBB48_13
; %bb.12:
	v_add_co_u32 v3, vcc_lo, s6, v1
	v_add_co_ci_u32_e64 v4, null, s7, v2, vcc_lo
	s_mov_b32 s0, 0
	global_store_dword v[3:4], v0, off
.LBB48_13:
	s_andn2_b32 vcc_lo, exec_lo, s0
	s_cbranch_vccnz .LBB48_15
; %bb.14:
	v_add_co_u32 v1, vcc_lo, s6, v1
	v_add_co_ci_u32_e64 v2, null, s7, v2, vcc_lo
	global_load_dword v3, v[1:2], off
	s_waitcnt vmcnt(0)
	v_fmac_f32_e32 v0, s8, v3
	global_store_dword v[1:2], v0, off
.LBB48_15:
	s_endpgm
	.section	.rodata,"a",@progbits
	.p2align	6, 0x0
	.amdhsa_kernel _ZN9rocsparseL19gebsrmvn_1xn_kernelILj128ELj11ELj32EfEEvi20rocsparse_direction_NS_24const_host_device_scalarIT2_EEPKiS6_PKS3_S8_S4_PS3_21rocsparse_index_base_b
		.amdhsa_group_segment_fixed_size 0
		.amdhsa_private_segment_fixed_size 0
		.amdhsa_kernarg_size 72
		.amdhsa_user_sgpr_count 6
		.amdhsa_user_sgpr_private_segment_buffer 1
		.amdhsa_user_sgpr_dispatch_ptr 0
		.amdhsa_user_sgpr_queue_ptr 0
		.amdhsa_user_sgpr_kernarg_segment_ptr 1
		.amdhsa_user_sgpr_dispatch_id 0
		.amdhsa_user_sgpr_flat_scratch_init 0
		.amdhsa_user_sgpr_private_segment_size 0
		.amdhsa_wavefront_size32 1
		.amdhsa_uses_dynamic_stack 0
		.amdhsa_system_sgpr_private_segment_wavefront_offset 0
		.amdhsa_system_sgpr_workgroup_id_x 1
		.amdhsa_system_sgpr_workgroup_id_y 0
		.amdhsa_system_sgpr_workgroup_id_z 0
		.amdhsa_system_sgpr_workgroup_info 0
		.amdhsa_system_vgpr_workitem_id 0
		.amdhsa_next_free_vgpr 38
		.amdhsa_next_free_sgpr 14
		.amdhsa_reserve_vcc 1
		.amdhsa_reserve_flat_scratch 0
		.amdhsa_float_round_mode_32 0
		.amdhsa_float_round_mode_16_64 0
		.amdhsa_float_denorm_mode_32 3
		.amdhsa_float_denorm_mode_16_64 3
		.amdhsa_dx10_clamp 1
		.amdhsa_ieee_mode 1
		.amdhsa_fp16_overflow 0
		.amdhsa_workgroup_processor_mode 1
		.amdhsa_memory_ordered 1
		.amdhsa_forward_progress 1
		.amdhsa_shared_vgpr_count 0
		.amdhsa_exception_fp_ieee_invalid_op 0
		.amdhsa_exception_fp_denorm_src 0
		.amdhsa_exception_fp_ieee_div_zero 0
		.amdhsa_exception_fp_ieee_overflow 0
		.amdhsa_exception_fp_ieee_underflow 0
		.amdhsa_exception_fp_ieee_inexact 0
		.amdhsa_exception_int_div_zero 0
	.end_amdhsa_kernel
	.section	.text._ZN9rocsparseL19gebsrmvn_1xn_kernelILj128ELj11ELj32EfEEvi20rocsparse_direction_NS_24const_host_device_scalarIT2_EEPKiS6_PKS3_S8_S4_PS3_21rocsparse_index_base_b,"axG",@progbits,_ZN9rocsparseL19gebsrmvn_1xn_kernelILj128ELj11ELj32EfEEvi20rocsparse_direction_NS_24const_host_device_scalarIT2_EEPKiS6_PKS3_S8_S4_PS3_21rocsparse_index_base_b,comdat
.Lfunc_end48:
	.size	_ZN9rocsparseL19gebsrmvn_1xn_kernelILj128ELj11ELj32EfEEvi20rocsparse_direction_NS_24const_host_device_scalarIT2_EEPKiS6_PKS3_S8_S4_PS3_21rocsparse_index_base_b, .Lfunc_end48-_ZN9rocsparseL19gebsrmvn_1xn_kernelILj128ELj11ELj32EfEEvi20rocsparse_direction_NS_24const_host_device_scalarIT2_EEPKiS6_PKS3_S8_S4_PS3_21rocsparse_index_base_b
                                        ; -- End function
	.set _ZN9rocsparseL19gebsrmvn_1xn_kernelILj128ELj11ELj32EfEEvi20rocsparse_direction_NS_24const_host_device_scalarIT2_EEPKiS6_PKS3_S8_S4_PS3_21rocsparse_index_base_b.num_vgpr, 38
	.set _ZN9rocsparseL19gebsrmvn_1xn_kernelILj128ELj11ELj32EfEEvi20rocsparse_direction_NS_24const_host_device_scalarIT2_EEPKiS6_PKS3_S8_S4_PS3_21rocsparse_index_base_b.num_agpr, 0
	.set _ZN9rocsparseL19gebsrmvn_1xn_kernelILj128ELj11ELj32EfEEvi20rocsparse_direction_NS_24const_host_device_scalarIT2_EEPKiS6_PKS3_S8_S4_PS3_21rocsparse_index_base_b.numbered_sgpr, 14
	.set _ZN9rocsparseL19gebsrmvn_1xn_kernelILj128ELj11ELj32EfEEvi20rocsparse_direction_NS_24const_host_device_scalarIT2_EEPKiS6_PKS3_S8_S4_PS3_21rocsparse_index_base_b.num_named_barrier, 0
	.set _ZN9rocsparseL19gebsrmvn_1xn_kernelILj128ELj11ELj32EfEEvi20rocsparse_direction_NS_24const_host_device_scalarIT2_EEPKiS6_PKS3_S8_S4_PS3_21rocsparse_index_base_b.private_seg_size, 0
	.set _ZN9rocsparseL19gebsrmvn_1xn_kernelILj128ELj11ELj32EfEEvi20rocsparse_direction_NS_24const_host_device_scalarIT2_EEPKiS6_PKS3_S8_S4_PS3_21rocsparse_index_base_b.uses_vcc, 1
	.set _ZN9rocsparseL19gebsrmvn_1xn_kernelILj128ELj11ELj32EfEEvi20rocsparse_direction_NS_24const_host_device_scalarIT2_EEPKiS6_PKS3_S8_S4_PS3_21rocsparse_index_base_b.uses_flat_scratch, 0
	.set _ZN9rocsparseL19gebsrmvn_1xn_kernelILj128ELj11ELj32EfEEvi20rocsparse_direction_NS_24const_host_device_scalarIT2_EEPKiS6_PKS3_S8_S4_PS3_21rocsparse_index_base_b.has_dyn_sized_stack, 0
	.set _ZN9rocsparseL19gebsrmvn_1xn_kernelILj128ELj11ELj32EfEEvi20rocsparse_direction_NS_24const_host_device_scalarIT2_EEPKiS6_PKS3_S8_S4_PS3_21rocsparse_index_base_b.has_recursion, 0
	.set _ZN9rocsparseL19gebsrmvn_1xn_kernelILj128ELj11ELj32EfEEvi20rocsparse_direction_NS_24const_host_device_scalarIT2_EEPKiS6_PKS3_S8_S4_PS3_21rocsparse_index_base_b.has_indirect_call, 0
	.section	.AMDGPU.csdata,"",@progbits
; Kernel info:
; codeLenInByte = 1548
; TotalNumSgprs: 16
; NumVgprs: 38
; ScratchSize: 0
; MemoryBound: 0
; FloatMode: 240
; IeeeMode: 1
; LDSByteSize: 0 bytes/workgroup (compile time only)
; SGPRBlocks: 0
; VGPRBlocks: 4
; NumSGPRsForWavesPerEU: 16
; NumVGPRsForWavesPerEU: 38
; Occupancy: 16
; WaveLimiterHint : 1
; COMPUTE_PGM_RSRC2:SCRATCH_EN: 0
; COMPUTE_PGM_RSRC2:USER_SGPR: 6
; COMPUTE_PGM_RSRC2:TRAP_HANDLER: 0
; COMPUTE_PGM_RSRC2:TGID_X_EN: 1
; COMPUTE_PGM_RSRC2:TGID_Y_EN: 0
; COMPUTE_PGM_RSRC2:TGID_Z_EN: 0
; COMPUTE_PGM_RSRC2:TIDIG_COMP_CNT: 0
	.section	.text._ZN9rocsparseL19gebsrmvn_1xn_kernelILj128ELj11ELj64EfEEvi20rocsparse_direction_NS_24const_host_device_scalarIT2_EEPKiS6_PKS3_S8_S4_PS3_21rocsparse_index_base_b,"axG",@progbits,_ZN9rocsparseL19gebsrmvn_1xn_kernelILj128ELj11ELj64EfEEvi20rocsparse_direction_NS_24const_host_device_scalarIT2_EEPKiS6_PKS3_S8_S4_PS3_21rocsparse_index_base_b,comdat
	.globl	_ZN9rocsparseL19gebsrmvn_1xn_kernelILj128ELj11ELj64EfEEvi20rocsparse_direction_NS_24const_host_device_scalarIT2_EEPKiS6_PKS3_S8_S4_PS3_21rocsparse_index_base_b ; -- Begin function _ZN9rocsparseL19gebsrmvn_1xn_kernelILj128ELj11ELj64EfEEvi20rocsparse_direction_NS_24const_host_device_scalarIT2_EEPKiS6_PKS3_S8_S4_PS3_21rocsparse_index_base_b
	.p2align	8
	.type	_ZN9rocsparseL19gebsrmvn_1xn_kernelILj128ELj11ELj64EfEEvi20rocsparse_direction_NS_24const_host_device_scalarIT2_EEPKiS6_PKS3_S8_S4_PS3_21rocsparse_index_base_b,@function
_ZN9rocsparseL19gebsrmvn_1xn_kernelILj128ELj11ELj64EfEEvi20rocsparse_direction_NS_24const_host_device_scalarIT2_EEPKiS6_PKS3_S8_S4_PS3_21rocsparse_index_base_b: ; @_ZN9rocsparseL19gebsrmvn_1xn_kernelILj128ELj11ELj64EfEEvi20rocsparse_direction_NS_24const_host_device_scalarIT2_EEPKiS6_PKS3_S8_S4_PS3_21rocsparse_index_base_b
; %bb.0:
	s_clause 0x2
	s_load_dwordx2 s[12:13], s[4:5], 0x40
	s_load_dwordx2 s[10:11], s[4:5], 0x8
	;; [unrolled: 1-line block ×3, first 2 shown]
	s_waitcnt lgkmcnt(0)
	s_bitcmp1_b32 s13, 0
	s_cselect_b32 s0, -1, 0
	s_and_b32 vcc_lo, exec_lo, s0
	s_xor_b32 s0, s0, -1
	s_cbranch_vccnz .LBB49_2
; %bb.1:
	s_load_dword s10, s[10:11], 0x0
.LBB49_2:
	s_andn2_b32 vcc_lo, exec_lo, s0
	s_cbranch_vccnz .LBB49_4
; %bb.3:
	s_load_dword s8, s[8:9], 0x0
.LBB49_4:
	s_waitcnt lgkmcnt(0)
	v_cmp_eq_f32_e64 s0, s10, 0
	v_cmp_eq_f32_e64 s1, s8, 1.0
	s_and_b32 s0, s0, s1
	s_and_b32 vcc_lo, exec_lo, s0
	s_cbranch_vccnz .LBB49_15
; %bb.5:
	s_load_dword s0, s[4:5], 0x0
	v_lshrrev_b32_e32 v1, 6, v0
	v_lshl_or_b32 v1, s6, 1, v1
	s_waitcnt lgkmcnt(0)
	v_cmp_gt_i32_e32 vcc_lo, s0, v1
	s_and_saveexec_b32 s0, vcc_lo
	s_cbranch_execz .LBB49_15
; %bb.6:
	s_clause 0x1
	s_load_dwordx2 s[0:1], s[4:5], 0x10
	s_load_dwordx2 s[6:7], s[4:5], 0x38
	v_ashrrev_i32_e32 v2, 31, v1
	v_and_b32_e32 v0, 63, v0
	v_mov_b32_e32 v9, 0
	s_mov_b32 s9, exec_lo
	v_lshlrev_b64 v[1:2], 2, v[1:2]
	v_subrev_nc_u32_e32 v5, s12, v0
	s_waitcnt lgkmcnt(0)
	v_add_co_u32 v3, vcc_lo, s0, v1
	v_add_co_ci_u32_e64 v4, null, s1, v2, vcc_lo
	global_load_dwordx2 v[3:4], v[3:4], off
	s_waitcnt vmcnt(0)
	v_subrev_nc_u32_e32 v10, s12, v4
	v_add_nc_u32_e32 v3, v3, v5
	v_cmpx_lt_i32_e64 v3, v10
	s_cbranch_execz .LBB49_10
; %bb.7:
	s_clause 0x1
	s_load_dwordx4 s[0:3], s[4:5], 0x18
	s_load_dwordx2 s[4:5], s[4:5], 0x28
	v_mad_u64_u32 v[5:6], null, v3, 11, 10
	v_mov_b32_e32 v8, 0
	v_mov_b32_e32 v9, 0
	s_mov_b32 s11, 0
.LBB49_8:                               ; =>This Inner Loop Header: Depth=1
	v_ashrrev_i32_e32 v4, 31, v3
	v_mov_b32_e32 v12, v8
	v_lshlrev_b64 v[6:7], 2, v[3:4]
	v_add_nc_u32_e32 v3, 64, v3
	s_waitcnt lgkmcnt(0)
	v_add_co_u32 v6, vcc_lo, s0, v6
	v_add_co_ci_u32_e64 v7, null, s1, v7, vcc_lo
	global_load_dword v4, v[6:7], off
	v_add_nc_u32_e32 v7, -10, v5
	v_mov_b32_e32 v6, v8
	v_lshlrev_b64 v[13:14], 2, v[7:8]
	v_add_nc_u32_e32 v7, -9, v5
	v_lshlrev_b64 v[15:16], 2, v[5:6]
	v_lshlrev_b64 v[6:7], 2, v[7:8]
	v_add_co_u32 v13, vcc_lo, s2, v13
	v_add_co_ci_u32_e64 v14, null, s3, v14, vcc_lo
	v_add_co_u32 v15, vcc_lo, s2, v15
	v_add_co_ci_u32_e64 v16, null, s3, v16, vcc_lo
	;; [unrolled: 2-line block ×3, first 2 shown]
	s_clause 0x1
	global_load_dword v21, v[13:14], off
	global_load_dword v22, v[6:7], off
	s_waitcnt vmcnt(2)
	v_subrev_nc_u32_e32 v4, s12, v4
	v_mul_lo_u32 v11, v4, 11
	v_add_nc_u32_e32 v7, 1, v11
	v_lshlrev_b64 v[12:13], 2, v[11:12]
	v_lshlrev_b64 v[17:18], 2, v[7:8]
	v_add_nc_u32_e32 v7, -8, v5
	v_add_co_u32 v12, vcc_lo, s4, v12
	v_add_co_ci_u32_e64 v13, null, s5, v13, vcc_lo
	v_add_co_u32 v17, vcc_lo, s4, v17
	v_lshlrev_b64 v[19:20], 2, v[7:8]
	v_add_nc_u32_e32 v7, 2, v11
	v_add_co_ci_u32_e64 v18, null, s5, v18, vcc_lo
	s_clause 0x1
	global_load_dword v4, v[12:13], off
	global_load_dword v23, v[17:18], off
	v_lshlrev_b64 v[12:13], 2, v[7:8]
	v_add_nc_u32_e32 v7, -7, v5
	v_add_co_u32 v17, vcc_lo, s2, v19
	v_add_co_ci_u32_e64 v18, null, s3, v20, vcc_lo
	v_add_co_u32 v12, vcc_lo, s4, v12
	v_lshlrev_b64 v[19:20], 2, v[7:8]
	v_add_co_ci_u32_e64 v13, null, s5, v13, vcc_lo
	v_add_nc_u32_e32 v7, 3, v11
	global_load_dword v24, v[17:18], off
	global_load_dword v25, v[12:13], off
	v_add_co_u32 v12, vcc_lo, s2, v19
	v_add_co_ci_u32_e64 v13, null, s3, v20, vcc_lo
	global_load_dword v26, v[12:13], off
	v_lshlrev_b64 v[17:18], 2, v[7:8]
	v_add_nc_u32_e32 v7, -6, v5
	v_lshlrev_b64 v[19:20], 2, v[7:8]
	v_add_nc_u32_e32 v7, 4, v11
	v_add_co_u32 v17, vcc_lo, s4, v17
	v_add_co_ci_u32_e64 v18, null, s5, v18, vcc_lo
	v_lshlrev_b64 v[12:13], 2, v[7:8]
	v_add_nc_u32_e32 v7, -5, v5
	global_load_dword v27, v[17:18], off
	v_add_co_u32 v17, vcc_lo, s2, v19
	v_add_co_ci_u32_e64 v18, null, s3, v20, vcc_lo
	v_add_co_u32 v12, vcc_lo, s4, v12
	v_lshlrev_b64 v[19:20], 2, v[7:8]
	v_add_co_ci_u32_e64 v13, null, s5, v13, vcc_lo
	v_add_nc_u32_e32 v7, 5, v11
	global_load_dword v28, v[17:18], off
	global_load_dword v29, v[12:13], off
	v_add_co_u32 v12, vcc_lo, s2, v19
	v_add_co_ci_u32_e64 v13, null, s3, v20, vcc_lo
	global_load_dword v30, v[12:13], off
	v_lshlrev_b64 v[17:18], 2, v[7:8]
	v_add_nc_u32_e32 v7, -4, v5
	v_lshlrev_b64 v[19:20], 2, v[7:8]
	v_add_nc_u32_e32 v7, 6, v11
	v_add_co_u32 v17, vcc_lo, s4, v17
	v_add_co_ci_u32_e64 v18, null, s5, v18, vcc_lo
	v_lshlrev_b64 v[12:13], 2, v[7:8]
	v_add_nc_u32_e32 v7, -3, v5
	global_load_dword v31, v[17:18], off
	v_add_co_u32 v17, vcc_lo, s2, v19
	v_add_co_ci_u32_e64 v18, null, s3, v20, vcc_lo
	v_add_co_u32 v12, vcc_lo, s4, v12
	v_lshlrev_b64 v[19:20], 2, v[7:8]
	v_add_co_ci_u32_e64 v13, null, s5, v13, vcc_lo
	v_add_nc_u32_e32 v7, 7, v11
	global_load_dword v32, v[17:18], off
	global_load_dword v33, v[12:13], off
	v_add_co_u32 v12, vcc_lo, s2, v19
	v_add_co_ci_u32_e64 v13, null, s3, v20, vcc_lo
	global_load_dword v34, v[12:13], off
	v_lshlrev_b64 v[17:18], 2, v[7:8]
	v_add_nc_u32_e32 v7, -2, v5
	v_lshlrev_b64 v[19:20], 2, v[7:8]
	v_add_nc_u32_e32 v7, 8, v11
	v_add_co_u32 v17, vcc_lo, s4, v17
	v_add_co_ci_u32_e64 v18, null, s5, v18, vcc_lo
	v_lshlrev_b64 v[12:13], 2, v[7:8]
	v_add_nc_u32_e32 v7, -1, v5
	v_add_nc_u32_e32 v5, 0x2c0, v5
	global_load_dword v35, v[17:18], off
	v_add_co_u32 v17, vcc_lo, s2, v19
	v_add_co_ci_u32_e64 v18, null, s3, v20, vcc_lo
	v_lshlrev_b64 v[19:20], 2, v[7:8]
	v_add_nc_u32_e32 v7, 9, v11
	v_add_co_u32 v12, vcc_lo, s4, v12
	global_load_dword v36, v[17:18], off
	v_add_co_ci_u32_e64 v13, null, s5, v13, vcc_lo
	v_lshlrev_b64 v[17:18], 2, v[7:8]
	v_add_nc_u32_e32 v7, 10, v11
	v_add_co_u32 v11, vcc_lo, s2, v19
	global_load_dword v37, v[12:13], off
	v_add_co_ci_u32_e64 v12, null, s3, v20, vcc_lo
	v_lshlrev_b64 v[6:7], 2, v[7:8]
	v_add_co_u32 v13, vcc_lo, s4, v17
	v_add_co_ci_u32_e64 v14, null, s5, v18, vcc_lo
	global_load_dword v11, v[11:12], off
	global_load_dword v12, v[13:14], off
	v_add_co_u32 v6, vcc_lo, s4, v6
	v_add_co_ci_u32_e64 v7, null, s5, v7, vcc_lo
	global_load_dword v13, v[15:16], off
	global_load_dword v6, v[6:7], off
	v_cmp_ge_i32_e32 vcc_lo, v3, v10
	s_or_b32 s11, vcc_lo, s11
	s_waitcnt vmcnt(19)
	v_fmac_f32_e32 v9, v21, v4
	s_waitcnt vmcnt(18)
	v_fmac_f32_e32 v9, v22, v23
	;; [unrolled: 2-line block ×11, first 2 shown]
	s_andn2_b32 exec_lo, exec_lo, s11
	s_cbranch_execnz .LBB49_8
; %bb.9:
	s_or_b32 exec_lo, exec_lo, s11
.LBB49_10:
	s_or_b32 exec_lo, exec_lo, s9
	v_mbcnt_lo_u32_b32 v3, -1, 0
	s_mov_b32 s0, -1
	v_or_b32_e32 v4, 32, v3
	v_xor_b32_e32 v5, 16, v3
	v_xor_b32_e32 v6, 8, v3
	v_cmp_gt_i32_e32 vcc_lo, 32, v4
	v_cndmask_b32_e32 v4, v3, v4, vcc_lo
	v_cmp_gt_i32_e32 vcc_lo, 32, v5
	v_lshlrev_b32_e32 v4, 2, v4
	v_cndmask_b32_e32 v5, v3, v5, vcc_lo
	v_cmp_gt_i32_e32 vcc_lo, 32, v6
	ds_bpermute_b32 v4, v4, v9
	v_lshlrev_b32_e32 v5, 2, v5
	v_cndmask_b32_e32 v6, v3, v6, vcc_lo
	v_lshlrev_b32_e32 v6, 2, v6
	s_waitcnt lgkmcnt(0)
	v_add_f32_e32 v4, v9, v4
	ds_bpermute_b32 v5, v5, v4
	s_waitcnt lgkmcnt(0)
	v_add_f32_e32 v4, v4, v5
	ds_bpermute_b32 v5, v6, v4
	v_xor_b32_e32 v6, 4, v3
	v_cmp_gt_i32_e32 vcc_lo, 32, v6
	v_cndmask_b32_e32 v6, v3, v6, vcc_lo
	v_lshlrev_b32_e32 v6, 2, v6
	s_waitcnt lgkmcnt(0)
	v_add_f32_e32 v4, v4, v5
	ds_bpermute_b32 v5, v6, v4
	v_xor_b32_e32 v6, 2, v3
	v_cmp_gt_i32_e32 vcc_lo, 32, v6
	v_cndmask_b32_e32 v6, v3, v6, vcc_lo
	v_lshlrev_b32_e32 v6, 2, v6
	s_waitcnt lgkmcnt(0)
	v_add_f32_e32 v4, v4, v5
	ds_bpermute_b32 v5, v6, v4
	v_xor_b32_e32 v6, 1, v3
	v_cmp_gt_i32_e32 vcc_lo, 32, v6
	v_cndmask_b32_e32 v6, v3, v6, vcc_lo
	v_cmp_eq_u32_e32 vcc_lo, 63, v0
	s_waitcnt lgkmcnt(0)
	v_add_f32_e32 v3, v4, v5
	v_lshlrev_b32_e32 v4, 2, v6
	ds_bpermute_b32 v4, v4, v3
	s_and_b32 exec_lo, exec_lo, vcc_lo
	s_cbranch_execz .LBB49_15
; %bb.11:
	s_waitcnt lgkmcnt(0)
	v_add_f32_e32 v0, v3, v4
	v_cmp_eq_f32_e64 s1, s8, 0
	v_mul_f32_e32 v0, s10, v0
	s_and_b32 vcc_lo, exec_lo, s1
	s_cbranch_vccz .LBB49_13
; %bb.12:
	v_add_co_u32 v3, vcc_lo, s6, v1
	v_add_co_ci_u32_e64 v4, null, s7, v2, vcc_lo
	s_mov_b32 s0, 0
	global_store_dword v[3:4], v0, off
.LBB49_13:
	s_andn2_b32 vcc_lo, exec_lo, s0
	s_cbranch_vccnz .LBB49_15
; %bb.14:
	v_add_co_u32 v1, vcc_lo, s6, v1
	v_add_co_ci_u32_e64 v2, null, s7, v2, vcc_lo
	global_load_dword v3, v[1:2], off
	s_waitcnt vmcnt(0)
	v_fmac_f32_e32 v0, s8, v3
	global_store_dword v[1:2], v0, off
.LBB49_15:
	s_endpgm
	.section	.rodata,"a",@progbits
	.p2align	6, 0x0
	.amdhsa_kernel _ZN9rocsparseL19gebsrmvn_1xn_kernelILj128ELj11ELj64EfEEvi20rocsparse_direction_NS_24const_host_device_scalarIT2_EEPKiS6_PKS3_S8_S4_PS3_21rocsparse_index_base_b
		.amdhsa_group_segment_fixed_size 0
		.amdhsa_private_segment_fixed_size 0
		.amdhsa_kernarg_size 72
		.amdhsa_user_sgpr_count 6
		.amdhsa_user_sgpr_private_segment_buffer 1
		.amdhsa_user_sgpr_dispatch_ptr 0
		.amdhsa_user_sgpr_queue_ptr 0
		.amdhsa_user_sgpr_kernarg_segment_ptr 1
		.amdhsa_user_sgpr_dispatch_id 0
		.amdhsa_user_sgpr_flat_scratch_init 0
		.amdhsa_user_sgpr_private_segment_size 0
		.amdhsa_wavefront_size32 1
		.amdhsa_uses_dynamic_stack 0
		.amdhsa_system_sgpr_private_segment_wavefront_offset 0
		.amdhsa_system_sgpr_workgroup_id_x 1
		.amdhsa_system_sgpr_workgroup_id_y 0
		.amdhsa_system_sgpr_workgroup_id_z 0
		.amdhsa_system_sgpr_workgroup_info 0
		.amdhsa_system_vgpr_workitem_id 0
		.amdhsa_next_free_vgpr 38
		.amdhsa_next_free_sgpr 14
		.amdhsa_reserve_vcc 1
		.amdhsa_reserve_flat_scratch 0
		.amdhsa_float_round_mode_32 0
		.amdhsa_float_round_mode_16_64 0
		.amdhsa_float_denorm_mode_32 3
		.amdhsa_float_denorm_mode_16_64 3
		.amdhsa_dx10_clamp 1
		.amdhsa_ieee_mode 1
		.amdhsa_fp16_overflow 0
		.amdhsa_workgroup_processor_mode 1
		.amdhsa_memory_ordered 1
		.amdhsa_forward_progress 1
		.amdhsa_shared_vgpr_count 0
		.amdhsa_exception_fp_ieee_invalid_op 0
		.amdhsa_exception_fp_denorm_src 0
		.amdhsa_exception_fp_ieee_div_zero 0
		.amdhsa_exception_fp_ieee_overflow 0
		.amdhsa_exception_fp_ieee_underflow 0
		.amdhsa_exception_fp_ieee_inexact 0
		.amdhsa_exception_int_div_zero 0
	.end_amdhsa_kernel
	.section	.text._ZN9rocsparseL19gebsrmvn_1xn_kernelILj128ELj11ELj64EfEEvi20rocsparse_direction_NS_24const_host_device_scalarIT2_EEPKiS6_PKS3_S8_S4_PS3_21rocsparse_index_base_b,"axG",@progbits,_ZN9rocsparseL19gebsrmvn_1xn_kernelILj128ELj11ELj64EfEEvi20rocsparse_direction_NS_24const_host_device_scalarIT2_EEPKiS6_PKS3_S8_S4_PS3_21rocsparse_index_base_b,comdat
.Lfunc_end49:
	.size	_ZN9rocsparseL19gebsrmvn_1xn_kernelILj128ELj11ELj64EfEEvi20rocsparse_direction_NS_24const_host_device_scalarIT2_EEPKiS6_PKS3_S8_S4_PS3_21rocsparse_index_base_b, .Lfunc_end49-_ZN9rocsparseL19gebsrmvn_1xn_kernelILj128ELj11ELj64EfEEvi20rocsparse_direction_NS_24const_host_device_scalarIT2_EEPKiS6_PKS3_S8_S4_PS3_21rocsparse_index_base_b
                                        ; -- End function
	.set _ZN9rocsparseL19gebsrmvn_1xn_kernelILj128ELj11ELj64EfEEvi20rocsparse_direction_NS_24const_host_device_scalarIT2_EEPKiS6_PKS3_S8_S4_PS3_21rocsparse_index_base_b.num_vgpr, 38
	.set _ZN9rocsparseL19gebsrmvn_1xn_kernelILj128ELj11ELj64EfEEvi20rocsparse_direction_NS_24const_host_device_scalarIT2_EEPKiS6_PKS3_S8_S4_PS3_21rocsparse_index_base_b.num_agpr, 0
	.set _ZN9rocsparseL19gebsrmvn_1xn_kernelILj128ELj11ELj64EfEEvi20rocsparse_direction_NS_24const_host_device_scalarIT2_EEPKiS6_PKS3_S8_S4_PS3_21rocsparse_index_base_b.numbered_sgpr, 14
	.set _ZN9rocsparseL19gebsrmvn_1xn_kernelILj128ELj11ELj64EfEEvi20rocsparse_direction_NS_24const_host_device_scalarIT2_EEPKiS6_PKS3_S8_S4_PS3_21rocsparse_index_base_b.num_named_barrier, 0
	.set _ZN9rocsparseL19gebsrmvn_1xn_kernelILj128ELj11ELj64EfEEvi20rocsparse_direction_NS_24const_host_device_scalarIT2_EEPKiS6_PKS3_S8_S4_PS3_21rocsparse_index_base_b.private_seg_size, 0
	.set _ZN9rocsparseL19gebsrmvn_1xn_kernelILj128ELj11ELj64EfEEvi20rocsparse_direction_NS_24const_host_device_scalarIT2_EEPKiS6_PKS3_S8_S4_PS3_21rocsparse_index_base_b.uses_vcc, 1
	.set _ZN9rocsparseL19gebsrmvn_1xn_kernelILj128ELj11ELj64EfEEvi20rocsparse_direction_NS_24const_host_device_scalarIT2_EEPKiS6_PKS3_S8_S4_PS3_21rocsparse_index_base_b.uses_flat_scratch, 0
	.set _ZN9rocsparseL19gebsrmvn_1xn_kernelILj128ELj11ELj64EfEEvi20rocsparse_direction_NS_24const_host_device_scalarIT2_EEPKiS6_PKS3_S8_S4_PS3_21rocsparse_index_base_b.has_dyn_sized_stack, 0
	.set _ZN9rocsparseL19gebsrmvn_1xn_kernelILj128ELj11ELj64EfEEvi20rocsparse_direction_NS_24const_host_device_scalarIT2_EEPKiS6_PKS3_S8_S4_PS3_21rocsparse_index_base_b.has_recursion, 0
	.set _ZN9rocsparseL19gebsrmvn_1xn_kernelILj128ELj11ELj64EfEEvi20rocsparse_direction_NS_24const_host_device_scalarIT2_EEPKiS6_PKS3_S8_S4_PS3_21rocsparse_index_base_b.has_indirect_call, 0
	.section	.AMDGPU.csdata,"",@progbits
; Kernel info:
; codeLenInByte = 1580
; TotalNumSgprs: 16
; NumVgprs: 38
; ScratchSize: 0
; MemoryBound: 0
; FloatMode: 240
; IeeeMode: 1
; LDSByteSize: 0 bytes/workgroup (compile time only)
; SGPRBlocks: 0
; VGPRBlocks: 4
; NumSGPRsForWavesPerEU: 16
; NumVGPRsForWavesPerEU: 38
; Occupancy: 16
; WaveLimiterHint : 1
; COMPUTE_PGM_RSRC2:SCRATCH_EN: 0
; COMPUTE_PGM_RSRC2:USER_SGPR: 6
; COMPUTE_PGM_RSRC2:TRAP_HANDLER: 0
; COMPUTE_PGM_RSRC2:TGID_X_EN: 1
; COMPUTE_PGM_RSRC2:TGID_Y_EN: 0
; COMPUTE_PGM_RSRC2:TGID_Z_EN: 0
; COMPUTE_PGM_RSRC2:TIDIG_COMP_CNT: 0
	.section	.text._ZN9rocsparseL19gebsrmvn_1xn_kernelILj128ELj12ELj4EfEEvi20rocsparse_direction_NS_24const_host_device_scalarIT2_EEPKiS6_PKS3_S8_S4_PS3_21rocsparse_index_base_b,"axG",@progbits,_ZN9rocsparseL19gebsrmvn_1xn_kernelILj128ELj12ELj4EfEEvi20rocsparse_direction_NS_24const_host_device_scalarIT2_EEPKiS6_PKS3_S8_S4_PS3_21rocsparse_index_base_b,comdat
	.globl	_ZN9rocsparseL19gebsrmvn_1xn_kernelILj128ELj12ELj4EfEEvi20rocsparse_direction_NS_24const_host_device_scalarIT2_EEPKiS6_PKS3_S8_S4_PS3_21rocsparse_index_base_b ; -- Begin function _ZN9rocsparseL19gebsrmvn_1xn_kernelILj128ELj12ELj4EfEEvi20rocsparse_direction_NS_24const_host_device_scalarIT2_EEPKiS6_PKS3_S8_S4_PS3_21rocsparse_index_base_b
	.p2align	8
	.type	_ZN9rocsparseL19gebsrmvn_1xn_kernelILj128ELj12ELj4EfEEvi20rocsparse_direction_NS_24const_host_device_scalarIT2_EEPKiS6_PKS3_S8_S4_PS3_21rocsparse_index_base_b,@function
_ZN9rocsparseL19gebsrmvn_1xn_kernelILj128ELj12ELj4EfEEvi20rocsparse_direction_NS_24const_host_device_scalarIT2_EEPKiS6_PKS3_S8_S4_PS3_21rocsparse_index_base_b: ; @_ZN9rocsparseL19gebsrmvn_1xn_kernelILj128ELj12ELj4EfEEvi20rocsparse_direction_NS_24const_host_device_scalarIT2_EEPKiS6_PKS3_S8_S4_PS3_21rocsparse_index_base_b
; %bb.0:
	s_clause 0x2
	s_load_dwordx2 s[12:13], s[4:5], 0x40
	s_load_dwordx2 s[10:11], s[4:5], 0x8
	;; [unrolled: 1-line block ×3, first 2 shown]
	s_waitcnt lgkmcnt(0)
	s_bitcmp1_b32 s13, 0
	s_cselect_b32 s0, -1, 0
	s_and_b32 vcc_lo, exec_lo, s0
	s_xor_b32 s0, s0, -1
	s_cbranch_vccnz .LBB50_2
; %bb.1:
	s_load_dword s10, s[10:11], 0x0
.LBB50_2:
	s_andn2_b32 vcc_lo, exec_lo, s0
	s_cbranch_vccnz .LBB50_4
; %bb.3:
	s_load_dword s8, s[8:9], 0x0
.LBB50_4:
	s_waitcnt lgkmcnt(0)
	v_cmp_eq_f32_e64 s0, s10, 0
	v_cmp_eq_f32_e64 s1, s8, 1.0
	s_and_b32 s0, s0, s1
	s_and_b32 vcc_lo, exec_lo, s0
	s_cbranch_vccnz .LBB50_15
; %bb.5:
	s_load_dword s0, s[4:5], 0x0
	v_lshrrev_b32_e32 v1, 2, v0
	v_lshl_or_b32 v1, s6, 5, v1
	s_waitcnt lgkmcnt(0)
	v_cmp_gt_i32_e32 vcc_lo, s0, v1
	s_and_saveexec_b32 s0, vcc_lo
	s_cbranch_execz .LBB50_15
; %bb.6:
	s_clause 0x1
	s_load_dwordx2 s[0:1], s[4:5], 0x10
	s_load_dwordx2 s[6:7], s[4:5], 0x38
	v_ashrrev_i32_e32 v2, 31, v1
	v_and_b32_e32 v0, 3, v0
	v_mov_b32_e32 v9, 0
	s_mov_b32 s9, exec_lo
	v_lshlrev_b64 v[1:2], 2, v[1:2]
	v_subrev_nc_u32_e32 v5, s12, v0
	s_waitcnt lgkmcnt(0)
	v_add_co_u32 v3, vcc_lo, s0, v1
	v_add_co_ci_u32_e64 v4, null, s1, v2, vcc_lo
	global_load_dwordx2 v[3:4], v[3:4], off
	s_waitcnt vmcnt(0)
	v_subrev_nc_u32_e32 v10, s12, v4
	v_add_nc_u32_e32 v3, v3, v5
	v_cmpx_lt_i32_e64 v3, v10
	s_cbranch_execz .LBB50_10
; %bb.7:
	s_clause 0x1
	s_load_dwordx4 s[0:3], s[4:5], 0x18
	s_load_dwordx2 s[4:5], s[4:5], 0x28
	v_mad_u64_u32 v[5:6], null, v3, 12, 11
	v_mov_b32_e32 v8, 0
	v_mov_b32_e32 v9, 0
	s_mov_b32 s11, 0
.LBB50_8:                               ; =>This Inner Loop Header: Depth=1
	v_ashrrev_i32_e32 v4, 31, v3
	v_mov_b32_e32 v24, v8
	v_lshlrev_b64 v[6:7], 2, v[3:4]
	v_add_nc_u32_e32 v3, 4, v3
	s_waitcnt lgkmcnt(0)
	v_add_co_u32 v6, vcc_lo, s0, v6
	v_add_co_ci_u32_e64 v7, null, s1, v7, vcc_lo
	global_load_dword v4, v[6:7], off
	v_add_nc_u32_e32 v7, -11, v5
	v_mov_b32_e32 v6, v8
	v_lshlrev_b64 v[11:12], 2, v[7:8]
	v_add_nc_u32_e32 v7, -7, v5
	v_lshlrev_b64 v[27:28], 2, v[5:6]
	v_lshlrev_b64 v[6:7], 2, v[7:8]
	v_add_co_u32 v11, vcc_lo, s2, v11
	v_add_co_ci_u32_e64 v12, null, s3, v12, vcc_lo
	v_add_co_u32 v6, vcc_lo, s2, v6
	v_add_co_ci_u32_e64 v7, null, s3, v7, vcc_lo
	s_clause 0x1
	global_load_dwordx4 v[11:14], v[11:12], off
	global_load_dword v33, v[6:7], off
	s_waitcnt vmcnt(2)
	v_subrev_nc_u32_e32 v4, s12, v4
	v_mul_lo_u32 v23, v4, 12
	v_add_nc_u32_e32 v7, 4, v23
	v_lshlrev_b64 v[15:16], 2, v[23:24]
	v_lshlrev_b64 v[17:18], 2, v[7:8]
	v_add_nc_u32_e32 v7, -6, v5
	v_add_co_u32 v15, vcc_lo, s4, v15
	v_add_co_ci_u32_e64 v16, null, s5, v16, vcc_lo
	v_add_co_u32 v19, vcc_lo, s4, v17
	v_add_co_ci_u32_e64 v20, null, s5, v18, vcc_lo
	global_load_dwordx4 v[15:18], v[15:16], off
	v_lshlrev_b64 v[24:25], 2, v[7:8]
	v_add_nc_u32_e32 v7, -5, v5
	global_load_dwordx4 v[19:22], v[19:20], off
	v_lshlrev_b64 v[29:30], 2, v[7:8]
	v_add_nc_u32_e32 v7, -4, v5
	v_add_co_u32 v24, vcc_lo, s2, v24
	v_add_co_ci_u32_e64 v25, null, s3, v25, vcc_lo
	v_add_co_u32 v29, vcc_lo, s2, v29
	v_lshlrev_b64 v[31:32], 2, v[7:8]
	v_add_nc_u32_e32 v7, -3, v5
	v_add_co_ci_u32_e64 v30, null, s3, v30, vcc_lo
	s_clause 0x1
	global_load_dword v4, v[24:25], off
	global_load_dword v34, v[29:30], off
	v_lshlrev_b64 v[24:25], 2, v[7:8]
	v_add_nc_u32_e32 v7, 8, v23
	v_add_co_u32 v29, vcc_lo, s2, v31
	v_add_co_ci_u32_e64 v30, null, s3, v32, vcc_lo
	v_lshlrev_b64 v[31:32], 2, v[7:8]
	v_add_nc_u32_e32 v7, -2, v5
	v_add_co_u32 v23, vcc_lo, s2, v24
	v_add_co_ci_u32_e64 v24, null, s3, v25, vcc_lo
	v_lshlrev_b64 v[25:26], 2, v[7:8]
	v_add_nc_u32_e32 v7, -1, v5
	s_clause 0x1
	global_load_dword v35, v[29:30], off
	global_load_dword v36, v[23:24], off
	v_add_co_u32 v23, vcc_lo, s4, v31
	v_add_co_ci_u32_e64 v24, null, s5, v32, vcc_lo
	v_add_co_u32 v29, vcc_lo, s2, v25
	v_lshlrev_b64 v[6:7], 2, v[7:8]
	v_add_co_ci_u32_e64 v30, null, s3, v26, vcc_lo
	global_load_dwordx4 v[23:26], v[23:24], off
	global_load_dword v29, v[29:30], off
	v_add_co_u32 v6, vcc_lo, s2, v6
	v_add_co_ci_u32_e64 v7, null, s3, v7, vcc_lo
	v_add_co_u32 v27, vcc_lo, s2, v27
	v_add_co_ci_u32_e64 v28, null, s3, v28, vcc_lo
	s_clause 0x1
	global_load_dword v6, v[6:7], off
	global_load_dword v7, v[27:28], off
	v_cmp_ge_i32_e32 vcc_lo, v3, v10
	v_add_nc_u32_e32 v5, 48, v5
	s_or_b32 s11, vcc_lo, s11
	s_waitcnt vmcnt(9)
	v_fmac_f32_e32 v9, v11, v15
	v_fmac_f32_e32 v9, v12, v16
	;; [unrolled: 1-line block ×4, first 2 shown]
	s_waitcnt vmcnt(8)
	v_fmac_f32_e32 v9, v33, v19
	s_waitcnt vmcnt(7)
	v_fmac_f32_e32 v9, v4, v20
	;; [unrolled: 2-line block ×8, first 2 shown]
	s_andn2_b32 exec_lo, exec_lo, s11
	s_cbranch_execnz .LBB50_8
; %bb.9:
	s_or_b32 exec_lo, exec_lo, s11
.LBB50_10:
	s_or_b32 exec_lo, exec_lo, s9
	v_mbcnt_lo_u32_b32 v3, -1, 0
	s_mov_b32 s0, -1
	v_xor_b32_e32 v4, 2, v3
	v_xor_b32_e32 v5, 1, v3
	v_cmp_gt_i32_e32 vcc_lo, 32, v4
	v_cndmask_b32_e32 v4, v3, v4, vcc_lo
	v_cmp_gt_i32_e32 vcc_lo, 32, v5
	v_lshlrev_b32_e32 v4, 2, v4
	v_cndmask_b32_e32 v5, v3, v5, vcc_lo
	v_cmp_eq_u32_e32 vcc_lo, 3, v0
	ds_bpermute_b32 v4, v4, v9
	s_waitcnt lgkmcnt(0)
	v_add_f32_e32 v3, v9, v4
	v_lshlrev_b32_e32 v4, 2, v5
	ds_bpermute_b32 v4, v4, v3
	s_and_b32 exec_lo, exec_lo, vcc_lo
	s_cbranch_execz .LBB50_15
; %bb.11:
	s_waitcnt lgkmcnt(0)
	v_add_f32_e32 v0, v3, v4
	v_cmp_eq_f32_e64 s1, s8, 0
	v_mul_f32_e32 v0, s10, v0
	s_and_b32 vcc_lo, exec_lo, s1
	s_cbranch_vccz .LBB50_13
; %bb.12:
	v_add_co_u32 v3, vcc_lo, s6, v1
	v_add_co_ci_u32_e64 v4, null, s7, v2, vcc_lo
	s_mov_b32 s0, 0
	global_store_dword v[3:4], v0, off
.LBB50_13:
	s_andn2_b32 vcc_lo, exec_lo, s0
	s_cbranch_vccnz .LBB50_15
; %bb.14:
	v_add_co_u32 v1, vcc_lo, s6, v1
	v_add_co_ci_u32_e64 v2, null, s7, v2, vcc_lo
	global_load_dword v3, v[1:2], off
	s_waitcnt vmcnt(0)
	v_fmac_f32_e32 v0, s8, v3
	global_store_dword v[1:2], v0, off
.LBB50_15:
	s_endpgm
	.section	.rodata,"a",@progbits
	.p2align	6, 0x0
	.amdhsa_kernel _ZN9rocsparseL19gebsrmvn_1xn_kernelILj128ELj12ELj4EfEEvi20rocsparse_direction_NS_24const_host_device_scalarIT2_EEPKiS6_PKS3_S8_S4_PS3_21rocsparse_index_base_b
		.amdhsa_group_segment_fixed_size 0
		.amdhsa_private_segment_fixed_size 0
		.amdhsa_kernarg_size 72
		.amdhsa_user_sgpr_count 6
		.amdhsa_user_sgpr_private_segment_buffer 1
		.amdhsa_user_sgpr_dispatch_ptr 0
		.amdhsa_user_sgpr_queue_ptr 0
		.amdhsa_user_sgpr_kernarg_segment_ptr 1
		.amdhsa_user_sgpr_dispatch_id 0
		.amdhsa_user_sgpr_flat_scratch_init 0
		.amdhsa_user_sgpr_private_segment_size 0
		.amdhsa_wavefront_size32 1
		.amdhsa_uses_dynamic_stack 0
		.amdhsa_system_sgpr_private_segment_wavefront_offset 0
		.amdhsa_system_sgpr_workgroup_id_x 1
		.amdhsa_system_sgpr_workgroup_id_y 0
		.amdhsa_system_sgpr_workgroup_id_z 0
		.amdhsa_system_sgpr_workgroup_info 0
		.amdhsa_system_vgpr_workitem_id 0
		.amdhsa_next_free_vgpr 37
		.amdhsa_next_free_sgpr 14
		.amdhsa_reserve_vcc 1
		.amdhsa_reserve_flat_scratch 0
		.amdhsa_float_round_mode_32 0
		.amdhsa_float_round_mode_16_64 0
		.amdhsa_float_denorm_mode_32 3
		.amdhsa_float_denorm_mode_16_64 3
		.amdhsa_dx10_clamp 1
		.amdhsa_ieee_mode 1
		.amdhsa_fp16_overflow 0
		.amdhsa_workgroup_processor_mode 1
		.amdhsa_memory_ordered 1
		.amdhsa_forward_progress 1
		.amdhsa_shared_vgpr_count 0
		.amdhsa_exception_fp_ieee_invalid_op 0
		.amdhsa_exception_fp_denorm_src 0
		.amdhsa_exception_fp_ieee_div_zero 0
		.amdhsa_exception_fp_ieee_overflow 0
		.amdhsa_exception_fp_ieee_underflow 0
		.amdhsa_exception_fp_ieee_inexact 0
		.amdhsa_exception_int_div_zero 0
	.end_amdhsa_kernel
	.section	.text._ZN9rocsparseL19gebsrmvn_1xn_kernelILj128ELj12ELj4EfEEvi20rocsparse_direction_NS_24const_host_device_scalarIT2_EEPKiS6_PKS3_S8_S4_PS3_21rocsparse_index_base_b,"axG",@progbits,_ZN9rocsparseL19gebsrmvn_1xn_kernelILj128ELj12ELj4EfEEvi20rocsparse_direction_NS_24const_host_device_scalarIT2_EEPKiS6_PKS3_S8_S4_PS3_21rocsparse_index_base_b,comdat
.Lfunc_end50:
	.size	_ZN9rocsparseL19gebsrmvn_1xn_kernelILj128ELj12ELj4EfEEvi20rocsparse_direction_NS_24const_host_device_scalarIT2_EEPKiS6_PKS3_S8_S4_PS3_21rocsparse_index_base_b, .Lfunc_end50-_ZN9rocsparseL19gebsrmvn_1xn_kernelILj128ELj12ELj4EfEEvi20rocsparse_direction_NS_24const_host_device_scalarIT2_EEPKiS6_PKS3_S8_S4_PS3_21rocsparse_index_base_b
                                        ; -- End function
	.set _ZN9rocsparseL19gebsrmvn_1xn_kernelILj128ELj12ELj4EfEEvi20rocsparse_direction_NS_24const_host_device_scalarIT2_EEPKiS6_PKS3_S8_S4_PS3_21rocsparse_index_base_b.num_vgpr, 37
	.set _ZN9rocsparseL19gebsrmvn_1xn_kernelILj128ELj12ELj4EfEEvi20rocsparse_direction_NS_24const_host_device_scalarIT2_EEPKiS6_PKS3_S8_S4_PS3_21rocsparse_index_base_b.num_agpr, 0
	.set _ZN9rocsparseL19gebsrmvn_1xn_kernelILj128ELj12ELj4EfEEvi20rocsparse_direction_NS_24const_host_device_scalarIT2_EEPKiS6_PKS3_S8_S4_PS3_21rocsparse_index_base_b.numbered_sgpr, 14
	.set _ZN9rocsparseL19gebsrmvn_1xn_kernelILj128ELj12ELj4EfEEvi20rocsparse_direction_NS_24const_host_device_scalarIT2_EEPKiS6_PKS3_S8_S4_PS3_21rocsparse_index_base_b.num_named_barrier, 0
	.set _ZN9rocsparseL19gebsrmvn_1xn_kernelILj128ELj12ELj4EfEEvi20rocsparse_direction_NS_24const_host_device_scalarIT2_EEPKiS6_PKS3_S8_S4_PS3_21rocsparse_index_base_b.private_seg_size, 0
	.set _ZN9rocsparseL19gebsrmvn_1xn_kernelILj128ELj12ELj4EfEEvi20rocsparse_direction_NS_24const_host_device_scalarIT2_EEPKiS6_PKS3_S8_S4_PS3_21rocsparse_index_base_b.uses_vcc, 1
	.set _ZN9rocsparseL19gebsrmvn_1xn_kernelILj128ELj12ELj4EfEEvi20rocsparse_direction_NS_24const_host_device_scalarIT2_EEPKiS6_PKS3_S8_S4_PS3_21rocsparse_index_base_b.uses_flat_scratch, 0
	.set _ZN9rocsparseL19gebsrmvn_1xn_kernelILj128ELj12ELj4EfEEvi20rocsparse_direction_NS_24const_host_device_scalarIT2_EEPKiS6_PKS3_S8_S4_PS3_21rocsparse_index_base_b.has_dyn_sized_stack, 0
	.set _ZN9rocsparseL19gebsrmvn_1xn_kernelILj128ELj12ELj4EfEEvi20rocsparse_direction_NS_24const_host_device_scalarIT2_EEPKiS6_PKS3_S8_S4_PS3_21rocsparse_index_base_b.has_recursion, 0
	.set _ZN9rocsparseL19gebsrmvn_1xn_kernelILj128ELj12ELj4EfEEvi20rocsparse_direction_NS_24const_host_device_scalarIT2_EEPKiS6_PKS3_S8_S4_PS3_21rocsparse_index_base_b.has_indirect_call, 0
	.section	.AMDGPU.csdata,"",@progbits
; Kernel info:
; codeLenInByte = 1092
; TotalNumSgprs: 16
; NumVgprs: 37
; ScratchSize: 0
; MemoryBound: 0
; FloatMode: 240
; IeeeMode: 1
; LDSByteSize: 0 bytes/workgroup (compile time only)
; SGPRBlocks: 0
; VGPRBlocks: 4
; NumSGPRsForWavesPerEU: 16
; NumVGPRsForWavesPerEU: 37
; Occupancy: 16
; WaveLimiterHint : 1
; COMPUTE_PGM_RSRC2:SCRATCH_EN: 0
; COMPUTE_PGM_RSRC2:USER_SGPR: 6
; COMPUTE_PGM_RSRC2:TRAP_HANDLER: 0
; COMPUTE_PGM_RSRC2:TGID_X_EN: 1
; COMPUTE_PGM_RSRC2:TGID_Y_EN: 0
; COMPUTE_PGM_RSRC2:TGID_Z_EN: 0
; COMPUTE_PGM_RSRC2:TIDIG_COMP_CNT: 0
	.section	.text._ZN9rocsparseL19gebsrmvn_1xn_kernelILj128ELj12ELj8EfEEvi20rocsparse_direction_NS_24const_host_device_scalarIT2_EEPKiS6_PKS3_S8_S4_PS3_21rocsparse_index_base_b,"axG",@progbits,_ZN9rocsparseL19gebsrmvn_1xn_kernelILj128ELj12ELj8EfEEvi20rocsparse_direction_NS_24const_host_device_scalarIT2_EEPKiS6_PKS3_S8_S4_PS3_21rocsparse_index_base_b,comdat
	.globl	_ZN9rocsparseL19gebsrmvn_1xn_kernelILj128ELj12ELj8EfEEvi20rocsparse_direction_NS_24const_host_device_scalarIT2_EEPKiS6_PKS3_S8_S4_PS3_21rocsparse_index_base_b ; -- Begin function _ZN9rocsparseL19gebsrmvn_1xn_kernelILj128ELj12ELj8EfEEvi20rocsparse_direction_NS_24const_host_device_scalarIT2_EEPKiS6_PKS3_S8_S4_PS3_21rocsparse_index_base_b
	.p2align	8
	.type	_ZN9rocsparseL19gebsrmvn_1xn_kernelILj128ELj12ELj8EfEEvi20rocsparse_direction_NS_24const_host_device_scalarIT2_EEPKiS6_PKS3_S8_S4_PS3_21rocsparse_index_base_b,@function
_ZN9rocsparseL19gebsrmvn_1xn_kernelILj128ELj12ELj8EfEEvi20rocsparse_direction_NS_24const_host_device_scalarIT2_EEPKiS6_PKS3_S8_S4_PS3_21rocsparse_index_base_b: ; @_ZN9rocsparseL19gebsrmvn_1xn_kernelILj128ELj12ELj8EfEEvi20rocsparse_direction_NS_24const_host_device_scalarIT2_EEPKiS6_PKS3_S8_S4_PS3_21rocsparse_index_base_b
; %bb.0:
	s_clause 0x2
	s_load_dwordx2 s[12:13], s[4:5], 0x40
	s_load_dwordx2 s[10:11], s[4:5], 0x8
	;; [unrolled: 1-line block ×3, first 2 shown]
	s_waitcnt lgkmcnt(0)
	s_bitcmp1_b32 s13, 0
	s_cselect_b32 s0, -1, 0
	s_and_b32 vcc_lo, exec_lo, s0
	s_xor_b32 s0, s0, -1
	s_cbranch_vccnz .LBB51_2
; %bb.1:
	s_load_dword s10, s[10:11], 0x0
.LBB51_2:
	s_andn2_b32 vcc_lo, exec_lo, s0
	s_cbranch_vccnz .LBB51_4
; %bb.3:
	s_load_dword s8, s[8:9], 0x0
.LBB51_4:
	s_waitcnt lgkmcnt(0)
	v_cmp_eq_f32_e64 s0, s10, 0
	v_cmp_eq_f32_e64 s1, s8, 1.0
	s_and_b32 s0, s0, s1
	s_and_b32 vcc_lo, exec_lo, s0
	s_cbranch_vccnz .LBB51_15
; %bb.5:
	s_load_dword s0, s[4:5], 0x0
	v_lshrrev_b32_e32 v1, 3, v0
	v_lshl_or_b32 v1, s6, 4, v1
	s_waitcnt lgkmcnt(0)
	v_cmp_gt_i32_e32 vcc_lo, s0, v1
	s_and_saveexec_b32 s0, vcc_lo
	s_cbranch_execz .LBB51_15
; %bb.6:
	s_clause 0x1
	s_load_dwordx2 s[0:1], s[4:5], 0x10
	s_load_dwordx2 s[6:7], s[4:5], 0x38
	v_ashrrev_i32_e32 v2, 31, v1
	v_and_b32_e32 v0, 7, v0
	v_mov_b32_e32 v9, 0
	s_mov_b32 s9, exec_lo
	v_lshlrev_b64 v[1:2], 2, v[1:2]
	v_subrev_nc_u32_e32 v5, s12, v0
	s_waitcnt lgkmcnt(0)
	v_add_co_u32 v3, vcc_lo, s0, v1
	v_add_co_ci_u32_e64 v4, null, s1, v2, vcc_lo
	global_load_dwordx2 v[3:4], v[3:4], off
	s_waitcnt vmcnt(0)
	v_subrev_nc_u32_e32 v10, s12, v4
	v_add_nc_u32_e32 v3, v3, v5
	v_cmpx_lt_i32_e64 v3, v10
	s_cbranch_execz .LBB51_10
; %bb.7:
	s_clause 0x1
	s_load_dwordx4 s[0:3], s[4:5], 0x18
	s_load_dwordx2 s[4:5], s[4:5], 0x28
	v_mad_u64_u32 v[5:6], null, v3, 12, 11
	v_mov_b32_e32 v8, 0
	v_mov_b32_e32 v9, 0
	s_mov_b32 s11, 0
.LBB51_8:                               ; =>This Inner Loop Header: Depth=1
	v_ashrrev_i32_e32 v4, 31, v3
	v_mov_b32_e32 v24, v8
	v_lshlrev_b64 v[6:7], 2, v[3:4]
	v_add_nc_u32_e32 v3, 8, v3
	s_waitcnt lgkmcnt(0)
	v_add_co_u32 v6, vcc_lo, s0, v6
	v_add_co_ci_u32_e64 v7, null, s1, v7, vcc_lo
	global_load_dword v4, v[6:7], off
	v_add_nc_u32_e32 v7, -11, v5
	v_mov_b32_e32 v6, v8
	v_lshlrev_b64 v[11:12], 2, v[7:8]
	v_add_nc_u32_e32 v7, -7, v5
	v_lshlrev_b64 v[27:28], 2, v[5:6]
	v_lshlrev_b64 v[6:7], 2, v[7:8]
	v_add_co_u32 v11, vcc_lo, s2, v11
	v_add_co_ci_u32_e64 v12, null, s3, v12, vcc_lo
	v_add_co_u32 v6, vcc_lo, s2, v6
	v_add_co_ci_u32_e64 v7, null, s3, v7, vcc_lo
	s_clause 0x1
	global_load_dwordx4 v[11:14], v[11:12], off
	global_load_dword v33, v[6:7], off
	s_waitcnt vmcnt(2)
	v_subrev_nc_u32_e32 v4, s12, v4
	v_mul_lo_u32 v23, v4, 12
	v_add_nc_u32_e32 v7, 4, v23
	v_lshlrev_b64 v[15:16], 2, v[23:24]
	v_lshlrev_b64 v[17:18], 2, v[7:8]
	v_add_nc_u32_e32 v7, -6, v5
	v_add_co_u32 v15, vcc_lo, s4, v15
	v_add_co_ci_u32_e64 v16, null, s5, v16, vcc_lo
	v_add_co_u32 v19, vcc_lo, s4, v17
	v_add_co_ci_u32_e64 v20, null, s5, v18, vcc_lo
	global_load_dwordx4 v[15:18], v[15:16], off
	v_lshlrev_b64 v[24:25], 2, v[7:8]
	v_add_nc_u32_e32 v7, -5, v5
	global_load_dwordx4 v[19:22], v[19:20], off
	v_lshlrev_b64 v[29:30], 2, v[7:8]
	v_add_nc_u32_e32 v7, -4, v5
	v_add_co_u32 v24, vcc_lo, s2, v24
	v_add_co_ci_u32_e64 v25, null, s3, v25, vcc_lo
	v_add_co_u32 v29, vcc_lo, s2, v29
	v_lshlrev_b64 v[31:32], 2, v[7:8]
	v_add_nc_u32_e32 v7, -3, v5
	v_add_co_ci_u32_e64 v30, null, s3, v30, vcc_lo
	s_clause 0x1
	global_load_dword v4, v[24:25], off
	global_load_dword v34, v[29:30], off
	v_lshlrev_b64 v[24:25], 2, v[7:8]
	v_add_nc_u32_e32 v7, 8, v23
	v_add_co_u32 v29, vcc_lo, s2, v31
	v_add_co_ci_u32_e64 v30, null, s3, v32, vcc_lo
	v_lshlrev_b64 v[31:32], 2, v[7:8]
	v_add_nc_u32_e32 v7, -2, v5
	v_add_co_u32 v23, vcc_lo, s2, v24
	v_add_co_ci_u32_e64 v24, null, s3, v25, vcc_lo
	v_lshlrev_b64 v[25:26], 2, v[7:8]
	v_add_nc_u32_e32 v7, -1, v5
	s_clause 0x1
	global_load_dword v35, v[29:30], off
	global_load_dword v36, v[23:24], off
	v_add_co_u32 v23, vcc_lo, s4, v31
	v_add_co_ci_u32_e64 v24, null, s5, v32, vcc_lo
	v_add_co_u32 v29, vcc_lo, s2, v25
	v_lshlrev_b64 v[6:7], 2, v[7:8]
	v_add_co_ci_u32_e64 v30, null, s3, v26, vcc_lo
	global_load_dwordx4 v[23:26], v[23:24], off
	global_load_dword v29, v[29:30], off
	v_add_co_u32 v6, vcc_lo, s2, v6
	v_add_co_ci_u32_e64 v7, null, s3, v7, vcc_lo
	v_add_co_u32 v27, vcc_lo, s2, v27
	v_add_co_ci_u32_e64 v28, null, s3, v28, vcc_lo
	s_clause 0x1
	global_load_dword v6, v[6:7], off
	global_load_dword v7, v[27:28], off
	v_cmp_ge_i32_e32 vcc_lo, v3, v10
	v_add_nc_u32_e32 v5, 0x60, v5
	s_or_b32 s11, vcc_lo, s11
	s_waitcnt vmcnt(9)
	v_fmac_f32_e32 v9, v11, v15
	v_fmac_f32_e32 v9, v12, v16
	;; [unrolled: 1-line block ×4, first 2 shown]
	s_waitcnt vmcnt(8)
	v_fmac_f32_e32 v9, v33, v19
	s_waitcnt vmcnt(7)
	v_fmac_f32_e32 v9, v4, v20
	;; [unrolled: 2-line block ×8, first 2 shown]
	s_andn2_b32 exec_lo, exec_lo, s11
	s_cbranch_execnz .LBB51_8
; %bb.9:
	s_or_b32 exec_lo, exec_lo, s11
.LBB51_10:
	s_or_b32 exec_lo, exec_lo, s9
	v_mbcnt_lo_u32_b32 v3, -1, 0
	s_mov_b32 s0, -1
	v_xor_b32_e32 v4, 4, v3
	v_xor_b32_e32 v5, 2, v3
	;; [unrolled: 1-line block ×3, first 2 shown]
	v_cmp_gt_i32_e32 vcc_lo, 32, v4
	v_cndmask_b32_e32 v4, v3, v4, vcc_lo
	v_cmp_gt_i32_e32 vcc_lo, 32, v5
	v_lshlrev_b32_e32 v4, 2, v4
	v_cndmask_b32_e32 v5, v3, v5, vcc_lo
	v_cmp_gt_i32_e32 vcc_lo, 32, v6
	ds_bpermute_b32 v4, v4, v9
	v_lshlrev_b32_e32 v5, 2, v5
	v_cndmask_b32_e32 v6, v3, v6, vcc_lo
	v_cmp_eq_u32_e32 vcc_lo, 7, v0
	s_waitcnt lgkmcnt(0)
	v_add_f32_e32 v4, v9, v4
	ds_bpermute_b32 v5, v5, v4
	s_waitcnt lgkmcnt(0)
	v_add_f32_e32 v3, v4, v5
	v_lshlrev_b32_e32 v4, 2, v6
	ds_bpermute_b32 v4, v4, v3
	s_and_b32 exec_lo, exec_lo, vcc_lo
	s_cbranch_execz .LBB51_15
; %bb.11:
	s_waitcnt lgkmcnt(0)
	v_add_f32_e32 v0, v3, v4
	v_cmp_eq_f32_e64 s1, s8, 0
	v_mul_f32_e32 v0, s10, v0
	s_and_b32 vcc_lo, exec_lo, s1
	s_cbranch_vccz .LBB51_13
; %bb.12:
	v_add_co_u32 v3, vcc_lo, s6, v1
	v_add_co_ci_u32_e64 v4, null, s7, v2, vcc_lo
	s_mov_b32 s0, 0
	global_store_dword v[3:4], v0, off
.LBB51_13:
	s_andn2_b32 vcc_lo, exec_lo, s0
	s_cbranch_vccnz .LBB51_15
; %bb.14:
	v_add_co_u32 v1, vcc_lo, s6, v1
	v_add_co_ci_u32_e64 v2, null, s7, v2, vcc_lo
	global_load_dword v3, v[1:2], off
	s_waitcnt vmcnt(0)
	v_fmac_f32_e32 v0, s8, v3
	global_store_dword v[1:2], v0, off
.LBB51_15:
	s_endpgm
	.section	.rodata,"a",@progbits
	.p2align	6, 0x0
	.amdhsa_kernel _ZN9rocsparseL19gebsrmvn_1xn_kernelILj128ELj12ELj8EfEEvi20rocsparse_direction_NS_24const_host_device_scalarIT2_EEPKiS6_PKS3_S8_S4_PS3_21rocsparse_index_base_b
		.amdhsa_group_segment_fixed_size 0
		.amdhsa_private_segment_fixed_size 0
		.amdhsa_kernarg_size 72
		.amdhsa_user_sgpr_count 6
		.amdhsa_user_sgpr_private_segment_buffer 1
		.amdhsa_user_sgpr_dispatch_ptr 0
		.amdhsa_user_sgpr_queue_ptr 0
		.amdhsa_user_sgpr_kernarg_segment_ptr 1
		.amdhsa_user_sgpr_dispatch_id 0
		.amdhsa_user_sgpr_flat_scratch_init 0
		.amdhsa_user_sgpr_private_segment_size 0
		.amdhsa_wavefront_size32 1
		.amdhsa_uses_dynamic_stack 0
		.amdhsa_system_sgpr_private_segment_wavefront_offset 0
		.amdhsa_system_sgpr_workgroup_id_x 1
		.amdhsa_system_sgpr_workgroup_id_y 0
		.amdhsa_system_sgpr_workgroup_id_z 0
		.amdhsa_system_sgpr_workgroup_info 0
		.amdhsa_system_vgpr_workitem_id 0
		.amdhsa_next_free_vgpr 37
		.amdhsa_next_free_sgpr 14
		.amdhsa_reserve_vcc 1
		.amdhsa_reserve_flat_scratch 0
		.amdhsa_float_round_mode_32 0
		.amdhsa_float_round_mode_16_64 0
		.amdhsa_float_denorm_mode_32 3
		.amdhsa_float_denorm_mode_16_64 3
		.amdhsa_dx10_clamp 1
		.amdhsa_ieee_mode 1
		.amdhsa_fp16_overflow 0
		.amdhsa_workgroup_processor_mode 1
		.amdhsa_memory_ordered 1
		.amdhsa_forward_progress 1
		.amdhsa_shared_vgpr_count 0
		.amdhsa_exception_fp_ieee_invalid_op 0
		.amdhsa_exception_fp_denorm_src 0
		.amdhsa_exception_fp_ieee_div_zero 0
		.amdhsa_exception_fp_ieee_overflow 0
		.amdhsa_exception_fp_ieee_underflow 0
		.amdhsa_exception_fp_ieee_inexact 0
		.amdhsa_exception_int_div_zero 0
	.end_amdhsa_kernel
	.section	.text._ZN9rocsparseL19gebsrmvn_1xn_kernelILj128ELj12ELj8EfEEvi20rocsparse_direction_NS_24const_host_device_scalarIT2_EEPKiS6_PKS3_S8_S4_PS3_21rocsparse_index_base_b,"axG",@progbits,_ZN9rocsparseL19gebsrmvn_1xn_kernelILj128ELj12ELj8EfEEvi20rocsparse_direction_NS_24const_host_device_scalarIT2_EEPKiS6_PKS3_S8_S4_PS3_21rocsparse_index_base_b,comdat
.Lfunc_end51:
	.size	_ZN9rocsparseL19gebsrmvn_1xn_kernelILj128ELj12ELj8EfEEvi20rocsparse_direction_NS_24const_host_device_scalarIT2_EEPKiS6_PKS3_S8_S4_PS3_21rocsparse_index_base_b, .Lfunc_end51-_ZN9rocsparseL19gebsrmvn_1xn_kernelILj128ELj12ELj8EfEEvi20rocsparse_direction_NS_24const_host_device_scalarIT2_EEPKiS6_PKS3_S8_S4_PS3_21rocsparse_index_base_b
                                        ; -- End function
	.set _ZN9rocsparseL19gebsrmvn_1xn_kernelILj128ELj12ELj8EfEEvi20rocsparse_direction_NS_24const_host_device_scalarIT2_EEPKiS6_PKS3_S8_S4_PS3_21rocsparse_index_base_b.num_vgpr, 37
	.set _ZN9rocsparseL19gebsrmvn_1xn_kernelILj128ELj12ELj8EfEEvi20rocsparse_direction_NS_24const_host_device_scalarIT2_EEPKiS6_PKS3_S8_S4_PS3_21rocsparse_index_base_b.num_agpr, 0
	.set _ZN9rocsparseL19gebsrmvn_1xn_kernelILj128ELj12ELj8EfEEvi20rocsparse_direction_NS_24const_host_device_scalarIT2_EEPKiS6_PKS3_S8_S4_PS3_21rocsparse_index_base_b.numbered_sgpr, 14
	.set _ZN9rocsparseL19gebsrmvn_1xn_kernelILj128ELj12ELj8EfEEvi20rocsparse_direction_NS_24const_host_device_scalarIT2_EEPKiS6_PKS3_S8_S4_PS3_21rocsparse_index_base_b.num_named_barrier, 0
	.set _ZN9rocsparseL19gebsrmvn_1xn_kernelILj128ELj12ELj8EfEEvi20rocsparse_direction_NS_24const_host_device_scalarIT2_EEPKiS6_PKS3_S8_S4_PS3_21rocsparse_index_base_b.private_seg_size, 0
	.set _ZN9rocsparseL19gebsrmvn_1xn_kernelILj128ELj12ELj8EfEEvi20rocsparse_direction_NS_24const_host_device_scalarIT2_EEPKiS6_PKS3_S8_S4_PS3_21rocsparse_index_base_b.uses_vcc, 1
	.set _ZN9rocsparseL19gebsrmvn_1xn_kernelILj128ELj12ELj8EfEEvi20rocsparse_direction_NS_24const_host_device_scalarIT2_EEPKiS6_PKS3_S8_S4_PS3_21rocsparse_index_base_b.uses_flat_scratch, 0
	.set _ZN9rocsparseL19gebsrmvn_1xn_kernelILj128ELj12ELj8EfEEvi20rocsparse_direction_NS_24const_host_device_scalarIT2_EEPKiS6_PKS3_S8_S4_PS3_21rocsparse_index_base_b.has_dyn_sized_stack, 0
	.set _ZN9rocsparseL19gebsrmvn_1xn_kernelILj128ELj12ELj8EfEEvi20rocsparse_direction_NS_24const_host_device_scalarIT2_EEPKiS6_PKS3_S8_S4_PS3_21rocsparse_index_base_b.has_recursion, 0
	.set _ZN9rocsparseL19gebsrmvn_1xn_kernelILj128ELj12ELj8EfEEvi20rocsparse_direction_NS_24const_host_device_scalarIT2_EEPKiS6_PKS3_S8_S4_PS3_21rocsparse_index_base_b.has_indirect_call, 0
	.section	.AMDGPU.csdata,"",@progbits
; Kernel info:
; codeLenInByte = 1128
; TotalNumSgprs: 16
; NumVgprs: 37
; ScratchSize: 0
; MemoryBound: 0
; FloatMode: 240
; IeeeMode: 1
; LDSByteSize: 0 bytes/workgroup (compile time only)
; SGPRBlocks: 0
; VGPRBlocks: 4
; NumSGPRsForWavesPerEU: 16
; NumVGPRsForWavesPerEU: 37
; Occupancy: 16
; WaveLimiterHint : 1
; COMPUTE_PGM_RSRC2:SCRATCH_EN: 0
; COMPUTE_PGM_RSRC2:USER_SGPR: 6
; COMPUTE_PGM_RSRC2:TRAP_HANDLER: 0
; COMPUTE_PGM_RSRC2:TGID_X_EN: 1
; COMPUTE_PGM_RSRC2:TGID_Y_EN: 0
; COMPUTE_PGM_RSRC2:TGID_Z_EN: 0
; COMPUTE_PGM_RSRC2:TIDIG_COMP_CNT: 0
	.section	.text._ZN9rocsparseL19gebsrmvn_1xn_kernelILj128ELj12ELj16EfEEvi20rocsparse_direction_NS_24const_host_device_scalarIT2_EEPKiS6_PKS3_S8_S4_PS3_21rocsparse_index_base_b,"axG",@progbits,_ZN9rocsparseL19gebsrmvn_1xn_kernelILj128ELj12ELj16EfEEvi20rocsparse_direction_NS_24const_host_device_scalarIT2_EEPKiS6_PKS3_S8_S4_PS3_21rocsparse_index_base_b,comdat
	.globl	_ZN9rocsparseL19gebsrmvn_1xn_kernelILj128ELj12ELj16EfEEvi20rocsparse_direction_NS_24const_host_device_scalarIT2_EEPKiS6_PKS3_S8_S4_PS3_21rocsparse_index_base_b ; -- Begin function _ZN9rocsparseL19gebsrmvn_1xn_kernelILj128ELj12ELj16EfEEvi20rocsparse_direction_NS_24const_host_device_scalarIT2_EEPKiS6_PKS3_S8_S4_PS3_21rocsparse_index_base_b
	.p2align	8
	.type	_ZN9rocsparseL19gebsrmvn_1xn_kernelILj128ELj12ELj16EfEEvi20rocsparse_direction_NS_24const_host_device_scalarIT2_EEPKiS6_PKS3_S8_S4_PS3_21rocsparse_index_base_b,@function
_ZN9rocsparseL19gebsrmvn_1xn_kernelILj128ELj12ELj16EfEEvi20rocsparse_direction_NS_24const_host_device_scalarIT2_EEPKiS6_PKS3_S8_S4_PS3_21rocsparse_index_base_b: ; @_ZN9rocsparseL19gebsrmvn_1xn_kernelILj128ELj12ELj16EfEEvi20rocsparse_direction_NS_24const_host_device_scalarIT2_EEPKiS6_PKS3_S8_S4_PS3_21rocsparse_index_base_b
; %bb.0:
	s_clause 0x2
	s_load_dwordx2 s[12:13], s[4:5], 0x40
	s_load_dwordx2 s[10:11], s[4:5], 0x8
	;; [unrolled: 1-line block ×3, first 2 shown]
	s_waitcnt lgkmcnt(0)
	s_bitcmp1_b32 s13, 0
	s_cselect_b32 s0, -1, 0
	s_and_b32 vcc_lo, exec_lo, s0
	s_xor_b32 s0, s0, -1
	s_cbranch_vccnz .LBB52_2
; %bb.1:
	s_load_dword s10, s[10:11], 0x0
.LBB52_2:
	s_andn2_b32 vcc_lo, exec_lo, s0
	s_cbranch_vccnz .LBB52_4
; %bb.3:
	s_load_dword s8, s[8:9], 0x0
.LBB52_4:
	s_waitcnt lgkmcnt(0)
	v_cmp_eq_f32_e64 s0, s10, 0
	v_cmp_eq_f32_e64 s1, s8, 1.0
	s_and_b32 s0, s0, s1
	s_and_b32 vcc_lo, exec_lo, s0
	s_cbranch_vccnz .LBB52_15
; %bb.5:
	s_load_dword s0, s[4:5], 0x0
	v_lshrrev_b32_e32 v1, 4, v0
	v_lshl_or_b32 v1, s6, 3, v1
	s_waitcnt lgkmcnt(0)
	v_cmp_gt_i32_e32 vcc_lo, s0, v1
	s_and_saveexec_b32 s0, vcc_lo
	s_cbranch_execz .LBB52_15
; %bb.6:
	s_clause 0x1
	s_load_dwordx2 s[0:1], s[4:5], 0x10
	s_load_dwordx2 s[6:7], s[4:5], 0x38
	v_ashrrev_i32_e32 v2, 31, v1
	v_and_b32_e32 v0, 15, v0
	v_mov_b32_e32 v9, 0
	s_mov_b32 s9, exec_lo
	v_lshlrev_b64 v[1:2], 2, v[1:2]
	v_subrev_nc_u32_e32 v5, s12, v0
	s_waitcnt lgkmcnt(0)
	v_add_co_u32 v3, vcc_lo, s0, v1
	v_add_co_ci_u32_e64 v4, null, s1, v2, vcc_lo
	global_load_dwordx2 v[3:4], v[3:4], off
	s_waitcnt vmcnt(0)
	v_subrev_nc_u32_e32 v10, s12, v4
	v_add_nc_u32_e32 v3, v3, v5
	v_cmpx_lt_i32_e64 v3, v10
	s_cbranch_execz .LBB52_10
; %bb.7:
	s_clause 0x1
	s_load_dwordx4 s[0:3], s[4:5], 0x18
	s_load_dwordx2 s[4:5], s[4:5], 0x28
	v_mad_u64_u32 v[5:6], null, v3, 12, 11
	v_mov_b32_e32 v8, 0
	v_mov_b32_e32 v9, 0
	s_mov_b32 s11, 0
.LBB52_8:                               ; =>This Inner Loop Header: Depth=1
	v_ashrrev_i32_e32 v4, 31, v3
	v_mov_b32_e32 v24, v8
	v_lshlrev_b64 v[6:7], 2, v[3:4]
	v_add_nc_u32_e32 v3, 16, v3
	s_waitcnt lgkmcnt(0)
	v_add_co_u32 v6, vcc_lo, s0, v6
	v_add_co_ci_u32_e64 v7, null, s1, v7, vcc_lo
	global_load_dword v4, v[6:7], off
	v_add_nc_u32_e32 v7, -11, v5
	v_mov_b32_e32 v6, v8
	v_lshlrev_b64 v[11:12], 2, v[7:8]
	v_add_nc_u32_e32 v7, -7, v5
	v_lshlrev_b64 v[27:28], 2, v[5:6]
	v_lshlrev_b64 v[6:7], 2, v[7:8]
	v_add_co_u32 v11, vcc_lo, s2, v11
	v_add_co_ci_u32_e64 v12, null, s3, v12, vcc_lo
	v_add_co_u32 v6, vcc_lo, s2, v6
	v_add_co_ci_u32_e64 v7, null, s3, v7, vcc_lo
	s_clause 0x1
	global_load_dwordx4 v[11:14], v[11:12], off
	global_load_dword v33, v[6:7], off
	s_waitcnt vmcnt(2)
	v_subrev_nc_u32_e32 v4, s12, v4
	v_mul_lo_u32 v23, v4, 12
	v_add_nc_u32_e32 v7, 4, v23
	v_lshlrev_b64 v[15:16], 2, v[23:24]
	v_lshlrev_b64 v[17:18], 2, v[7:8]
	v_add_nc_u32_e32 v7, -6, v5
	v_add_co_u32 v15, vcc_lo, s4, v15
	v_add_co_ci_u32_e64 v16, null, s5, v16, vcc_lo
	v_add_co_u32 v19, vcc_lo, s4, v17
	v_add_co_ci_u32_e64 v20, null, s5, v18, vcc_lo
	global_load_dwordx4 v[15:18], v[15:16], off
	v_lshlrev_b64 v[24:25], 2, v[7:8]
	v_add_nc_u32_e32 v7, -5, v5
	global_load_dwordx4 v[19:22], v[19:20], off
	v_lshlrev_b64 v[29:30], 2, v[7:8]
	v_add_nc_u32_e32 v7, -4, v5
	v_add_co_u32 v24, vcc_lo, s2, v24
	v_add_co_ci_u32_e64 v25, null, s3, v25, vcc_lo
	v_add_co_u32 v29, vcc_lo, s2, v29
	v_lshlrev_b64 v[31:32], 2, v[7:8]
	v_add_nc_u32_e32 v7, -3, v5
	v_add_co_ci_u32_e64 v30, null, s3, v30, vcc_lo
	s_clause 0x1
	global_load_dword v4, v[24:25], off
	global_load_dword v34, v[29:30], off
	v_lshlrev_b64 v[24:25], 2, v[7:8]
	v_add_nc_u32_e32 v7, 8, v23
	v_add_co_u32 v29, vcc_lo, s2, v31
	v_add_co_ci_u32_e64 v30, null, s3, v32, vcc_lo
	v_lshlrev_b64 v[31:32], 2, v[7:8]
	v_add_nc_u32_e32 v7, -2, v5
	v_add_co_u32 v23, vcc_lo, s2, v24
	v_add_co_ci_u32_e64 v24, null, s3, v25, vcc_lo
	v_lshlrev_b64 v[25:26], 2, v[7:8]
	v_add_nc_u32_e32 v7, -1, v5
	s_clause 0x1
	global_load_dword v35, v[29:30], off
	global_load_dword v36, v[23:24], off
	v_add_co_u32 v23, vcc_lo, s4, v31
	v_add_co_ci_u32_e64 v24, null, s5, v32, vcc_lo
	v_add_co_u32 v29, vcc_lo, s2, v25
	v_lshlrev_b64 v[6:7], 2, v[7:8]
	v_add_co_ci_u32_e64 v30, null, s3, v26, vcc_lo
	global_load_dwordx4 v[23:26], v[23:24], off
	global_load_dword v29, v[29:30], off
	v_add_co_u32 v6, vcc_lo, s2, v6
	v_add_co_ci_u32_e64 v7, null, s3, v7, vcc_lo
	v_add_co_u32 v27, vcc_lo, s2, v27
	v_add_co_ci_u32_e64 v28, null, s3, v28, vcc_lo
	s_clause 0x1
	global_load_dword v6, v[6:7], off
	global_load_dword v7, v[27:28], off
	v_cmp_ge_i32_e32 vcc_lo, v3, v10
	v_add_nc_u32_e32 v5, 0xc0, v5
	s_or_b32 s11, vcc_lo, s11
	s_waitcnt vmcnt(9)
	v_fmac_f32_e32 v9, v11, v15
	v_fmac_f32_e32 v9, v12, v16
	;; [unrolled: 1-line block ×4, first 2 shown]
	s_waitcnt vmcnt(8)
	v_fmac_f32_e32 v9, v33, v19
	s_waitcnt vmcnt(7)
	v_fmac_f32_e32 v9, v4, v20
	;; [unrolled: 2-line block ×8, first 2 shown]
	s_andn2_b32 exec_lo, exec_lo, s11
	s_cbranch_execnz .LBB52_8
; %bb.9:
	s_or_b32 exec_lo, exec_lo, s11
.LBB52_10:
	s_or_b32 exec_lo, exec_lo, s9
	v_mbcnt_lo_u32_b32 v3, -1, 0
	s_mov_b32 s0, -1
	v_xor_b32_e32 v4, 8, v3
	v_xor_b32_e32 v5, 4, v3
	;; [unrolled: 1-line block ×3, first 2 shown]
	v_cmp_gt_i32_e32 vcc_lo, 32, v4
	v_cndmask_b32_e32 v4, v3, v4, vcc_lo
	v_cmp_gt_i32_e32 vcc_lo, 32, v5
	v_lshlrev_b32_e32 v4, 2, v4
	v_cndmask_b32_e32 v5, v3, v5, vcc_lo
	v_cmp_gt_i32_e32 vcc_lo, 32, v6
	ds_bpermute_b32 v4, v4, v9
	v_lshlrev_b32_e32 v5, 2, v5
	v_cndmask_b32_e32 v6, v3, v6, vcc_lo
	v_lshlrev_b32_e32 v6, 2, v6
	s_waitcnt lgkmcnt(0)
	v_add_f32_e32 v4, v9, v4
	ds_bpermute_b32 v5, v5, v4
	s_waitcnt lgkmcnt(0)
	v_add_f32_e32 v4, v4, v5
	ds_bpermute_b32 v5, v6, v4
	v_xor_b32_e32 v6, 1, v3
	v_cmp_gt_i32_e32 vcc_lo, 32, v6
	v_cndmask_b32_e32 v6, v3, v6, vcc_lo
	v_cmp_eq_u32_e32 vcc_lo, 15, v0
	s_waitcnt lgkmcnt(0)
	v_add_f32_e32 v3, v4, v5
	v_lshlrev_b32_e32 v4, 2, v6
	ds_bpermute_b32 v4, v4, v3
	s_and_b32 exec_lo, exec_lo, vcc_lo
	s_cbranch_execz .LBB52_15
; %bb.11:
	s_waitcnt lgkmcnt(0)
	v_add_f32_e32 v0, v3, v4
	v_cmp_eq_f32_e64 s1, s8, 0
	v_mul_f32_e32 v0, s10, v0
	s_and_b32 vcc_lo, exec_lo, s1
	s_cbranch_vccz .LBB52_13
; %bb.12:
	v_add_co_u32 v3, vcc_lo, s6, v1
	v_add_co_ci_u32_e64 v4, null, s7, v2, vcc_lo
	s_mov_b32 s0, 0
	global_store_dword v[3:4], v0, off
.LBB52_13:
	s_andn2_b32 vcc_lo, exec_lo, s0
	s_cbranch_vccnz .LBB52_15
; %bb.14:
	v_add_co_u32 v1, vcc_lo, s6, v1
	v_add_co_ci_u32_e64 v2, null, s7, v2, vcc_lo
	global_load_dword v3, v[1:2], off
	s_waitcnt vmcnt(0)
	v_fmac_f32_e32 v0, s8, v3
	global_store_dword v[1:2], v0, off
.LBB52_15:
	s_endpgm
	.section	.rodata,"a",@progbits
	.p2align	6, 0x0
	.amdhsa_kernel _ZN9rocsparseL19gebsrmvn_1xn_kernelILj128ELj12ELj16EfEEvi20rocsparse_direction_NS_24const_host_device_scalarIT2_EEPKiS6_PKS3_S8_S4_PS3_21rocsparse_index_base_b
		.amdhsa_group_segment_fixed_size 0
		.amdhsa_private_segment_fixed_size 0
		.amdhsa_kernarg_size 72
		.amdhsa_user_sgpr_count 6
		.amdhsa_user_sgpr_private_segment_buffer 1
		.amdhsa_user_sgpr_dispatch_ptr 0
		.amdhsa_user_sgpr_queue_ptr 0
		.amdhsa_user_sgpr_kernarg_segment_ptr 1
		.amdhsa_user_sgpr_dispatch_id 0
		.amdhsa_user_sgpr_flat_scratch_init 0
		.amdhsa_user_sgpr_private_segment_size 0
		.amdhsa_wavefront_size32 1
		.amdhsa_uses_dynamic_stack 0
		.amdhsa_system_sgpr_private_segment_wavefront_offset 0
		.amdhsa_system_sgpr_workgroup_id_x 1
		.amdhsa_system_sgpr_workgroup_id_y 0
		.amdhsa_system_sgpr_workgroup_id_z 0
		.amdhsa_system_sgpr_workgroup_info 0
		.amdhsa_system_vgpr_workitem_id 0
		.amdhsa_next_free_vgpr 37
		.amdhsa_next_free_sgpr 14
		.amdhsa_reserve_vcc 1
		.amdhsa_reserve_flat_scratch 0
		.amdhsa_float_round_mode_32 0
		.amdhsa_float_round_mode_16_64 0
		.amdhsa_float_denorm_mode_32 3
		.amdhsa_float_denorm_mode_16_64 3
		.amdhsa_dx10_clamp 1
		.amdhsa_ieee_mode 1
		.amdhsa_fp16_overflow 0
		.amdhsa_workgroup_processor_mode 1
		.amdhsa_memory_ordered 1
		.amdhsa_forward_progress 1
		.amdhsa_shared_vgpr_count 0
		.amdhsa_exception_fp_ieee_invalid_op 0
		.amdhsa_exception_fp_denorm_src 0
		.amdhsa_exception_fp_ieee_div_zero 0
		.amdhsa_exception_fp_ieee_overflow 0
		.amdhsa_exception_fp_ieee_underflow 0
		.amdhsa_exception_fp_ieee_inexact 0
		.amdhsa_exception_int_div_zero 0
	.end_amdhsa_kernel
	.section	.text._ZN9rocsparseL19gebsrmvn_1xn_kernelILj128ELj12ELj16EfEEvi20rocsparse_direction_NS_24const_host_device_scalarIT2_EEPKiS6_PKS3_S8_S4_PS3_21rocsparse_index_base_b,"axG",@progbits,_ZN9rocsparseL19gebsrmvn_1xn_kernelILj128ELj12ELj16EfEEvi20rocsparse_direction_NS_24const_host_device_scalarIT2_EEPKiS6_PKS3_S8_S4_PS3_21rocsparse_index_base_b,comdat
.Lfunc_end52:
	.size	_ZN9rocsparseL19gebsrmvn_1xn_kernelILj128ELj12ELj16EfEEvi20rocsparse_direction_NS_24const_host_device_scalarIT2_EEPKiS6_PKS3_S8_S4_PS3_21rocsparse_index_base_b, .Lfunc_end52-_ZN9rocsparseL19gebsrmvn_1xn_kernelILj128ELj12ELj16EfEEvi20rocsparse_direction_NS_24const_host_device_scalarIT2_EEPKiS6_PKS3_S8_S4_PS3_21rocsparse_index_base_b
                                        ; -- End function
	.set _ZN9rocsparseL19gebsrmvn_1xn_kernelILj128ELj12ELj16EfEEvi20rocsparse_direction_NS_24const_host_device_scalarIT2_EEPKiS6_PKS3_S8_S4_PS3_21rocsparse_index_base_b.num_vgpr, 37
	.set _ZN9rocsparseL19gebsrmvn_1xn_kernelILj128ELj12ELj16EfEEvi20rocsparse_direction_NS_24const_host_device_scalarIT2_EEPKiS6_PKS3_S8_S4_PS3_21rocsparse_index_base_b.num_agpr, 0
	.set _ZN9rocsparseL19gebsrmvn_1xn_kernelILj128ELj12ELj16EfEEvi20rocsparse_direction_NS_24const_host_device_scalarIT2_EEPKiS6_PKS3_S8_S4_PS3_21rocsparse_index_base_b.numbered_sgpr, 14
	.set _ZN9rocsparseL19gebsrmvn_1xn_kernelILj128ELj12ELj16EfEEvi20rocsparse_direction_NS_24const_host_device_scalarIT2_EEPKiS6_PKS3_S8_S4_PS3_21rocsparse_index_base_b.num_named_barrier, 0
	.set _ZN9rocsparseL19gebsrmvn_1xn_kernelILj128ELj12ELj16EfEEvi20rocsparse_direction_NS_24const_host_device_scalarIT2_EEPKiS6_PKS3_S8_S4_PS3_21rocsparse_index_base_b.private_seg_size, 0
	.set _ZN9rocsparseL19gebsrmvn_1xn_kernelILj128ELj12ELj16EfEEvi20rocsparse_direction_NS_24const_host_device_scalarIT2_EEPKiS6_PKS3_S8_S4_PS3_21rocsparse_index_base_b.uses_vcc, 1
	.set _ZN9rocsparseL19gebsrmvn_1xn_kernelILj128ELj12ELj16EfEEvi20rocsparse_direction_NS_24const_host_device_scalarIT2_EEPKiS6_PKS3_S8_S4_PS3_21rocsparse_index_base_b.uses_flat_scratch, 0
	.set _ZN9rocsparseL19gebsrmvn_1xn_kernelILj128ELj12ELj16EfEEvi20rocsparse_direction_NS_24const_host_device_scalarIT2_EEPKiS6_PKS3_S8_S4_PS3_21rocsparse_index_base_b.has_dyn_sized_stack, 0
	.set _ZN9rocsparseL19gebsrmvn_1xn_kernelILj128ELj12ELj16EfEEvi20rocsparse_direction_NS_24const_host_device_scalarIT2_EEPKiS6_PKS3_S8_S4_PS3_21rocsparse_index_base_b.has_recursion, 0
	.set _ZN9rocsparseL19gebsrmvn_1xn_kernelILj128ELj12ELj16EfEEvi20rocsparse_direction_NS_24const_host_device_scalarIT2_EEPKiS6_PKS3_S8_S4_PS3_21rocsparse_index_base_b.has_indirect_call, 0
	.section	.AMDGPU.csdata,"",@progbits
; Kernel info:
; codeLenInByte = 1160
; TotalNumSgprs: 16
; NumVgprs: 37
; ScratchSize: 0
; MemoryBound: 0
; FloatMode: 240
; IeeeMode: 1
; LDSByteSize: 0 bytes/workgroup (compile time only)
; SGPRBlocks: 0
; VGPRBlocks: 4
; NumSGPRsForWavesPerEU: 16
; NumVGPRsForWavesPerEU: 37
; Occupancy: 16
; WaveLimiterHint : 1
; COMPUTE_PGM_RSRC2:SCRATCH_EN: 0
; COMPUTE_PGM_RSRC2:USER_SGPR: 6
; COMPUTE_PGM_RSRC2:TRAP_HANDLER: 0
; COMPUTE_PGM_RSRC2:TGID_X_EN: 1
; COMPUTE_PGM_RSRC2:TGID_Y_EN: 0
; COMPUTE_PGM_RSRC2:TGID_Z_EN: 0
; COMPUTE_PGM_RSRC2:TIDIG_COMP_CNT: 0
	.section	.text._ZN9rocsparseL19gebsrmvn_1xn_kernelILj128ELj12ELj32EfEEvi20rocsparse_direction_NS_24const_host_device_scalarIT2_EEPKiS6_PKS3_S8_S4_PS3_21rocsparse_index_base_b,"axG",@progbits,_ZN9rocsparseL19gebsrmvn_1xn_kernelILj128ELj12ELj32EfEEvi20rocsparse_direction_NS_24const_host_device_scalarIT2_EEPKiS6_PKS3_S8_S4_PS3_21rocsparse_index_base_b,comdat
	.globl	_ZN9rocsparseL19gebsrmvn_1xn_kernelILj128ELj12ELj32EfEEvi20rocsparse_direction_NS_24const_host_device_scalarIT2_EEPKiS6_PKS3_S8_S4_PS3_21rocsparse_index_base_b ; -- Begin function _ZN9rocsparseL19gebsrmvn_1xn_kernelILj128ELj12ELj32EfEEvi20rocsparse_direction_NS_24const_host_device_scalarIT2_EEPKiS6_PKS3_S8_S4_PS3_21rocsparse_index_base_b
	.p2align	8
	.type	_ZN9rocsparseL19gebsrmvn_1xn_kernelILj128ELj12ELj32EfEEvi20rocsparse_direction_NS_24const_host_device_scalarIT2_EEPKiS6_PKS3_S8_S4_PS3_21rocsparse_index_base_b,@function
_ZN9rocsparseL19gebsrmvn_1xn_kernelILj128ELj12ELj32EfEEvi20rocsparse_direction_NS_24const_host_device_scalarIT2_EEPKiS6_PKS3_S8_S4_PS3_21rocsparse_index_base_b: ; @_ZN9rocsparseL19gebsrmvn_1xn_kernelILj128ELj12ELj32EfEEvi20rocsparse_direction_NS_24const_host_device_scalarIT2_EEPKiS6_PKS3_S8_S4_PS3_21rocsparse_index_base_b
; %bb.0:
	s_clause 0x2
	s_load_dwordx2 s[12:13], s[4:5], 0x40
	s_load_dwordx2 s[10:11], s[4:5], 0x8
	;; [unrolled: 1-line block ×3, first 2 shown]
	s_waitcnt lgkmcnt(0)
	s_bitcmp1_b32 s13, 0
	s_cselect_b32 s0, -1, 0
	s_and_b32 vcc_lo, exec_lo, s0
	s_xor_b32 s0, s0, -1
	s_cbranch_vccnz .LBB53_2
; %bb.1:
	s_load_dword s10, s[10:11], 0x0
.LBB53_2:
	s_andn2_b32 vcc_lo, exec_lo, s0
	s_cbranch_vccnz .LBB53_4
; %bb.3:
	s_load_dword s8, s[8:9], 0x0
.LBB53_4:
	s_waitcnt lgkmcnt(0)
	v_cmp_eq_f32_e64 s0, s10, 0
	v_cmp_eq_f32_e64 s1, s8, 1.0
	s_and_b32 s0, s0, s1
	s_and_b32 vcc_lo, exec_lo, s0
	s_cbranch_vccnz .LBB53_15
; %bb.5:
	s_load_dword s0, s[4:5], 0x0
	v_lshrrev_b32_e32 v1, 5, v0
	v_lshl_or_b32 v1, s6, 2, v1
	s_waitcnt lgkmcnt(0)
	v_cmp_gt_i32_e32 vcc_lo, s0, v1
	s_and_saveexec_b32 s0, vcc_lo
	s_cbranch_execz .LBB53_15
; %bb.6:
	s_clause 0x1
	s_load_dwordx2 s[0:1], s[4:5], 0x10
	s_load_dwordx2 s[6:7], s[4:5], 0x38
	v_ashrrev_i32_e32 v2, 31, v1
	v_and_b32_e32 v0, 31, v0
	v_mov_b32_e32 v9, 0
	s_mov_b32 s9, exec_lo
	v_lshlrev_b64 v[1:2], 2, v[1:2]
	v_subrev_nc_u32_e32 v5, s12, v0
	s_waitcnt lgkmcnt(0)
	v_add_co_u32 v3, vcc_lo, s0, v1
	v_add_co_ci_u32_e64 v4, null, s1, v2, vcc_lo
	global_load_dwordx2 v[3:4], v[3:4], off
	s_waitcnt vmcnt(0)
	v_subrev_nc_u32_e32 v10, s12, v4
	v_add_nc_u32_e32 v3, v3, v5
	v_cmpx_lt_i32_e64 v3, v10
	s_cbranch_execz .LBB53_10
; %bb.7:
	s_clause 0x1
	s_load_dwordx4 s[0:3], s[4:5], 0x18
	s_load_dwordx2 s[4:5], s[4:5], 0x28
	v_mad_u64_u32 v[5:6], null, v3, 12, 11
	v_mov_b32_e32 v8, 0
	v_mov_b32_e32 v9, 0
	s_mov_b32 s11, 0
.LBB53_8:                               ; =>This Inner Loop Header: Depth=1
	v_ashrrev_i32_e32 v4, 31, v3
	v_mov_b32_e32 v24, v8
	v_lshlrev_b64 v[6:7], 2, v[3:4]
	v_add_nc_u32_e32 v3, 32, v3
	s_waitcnt lgkmcnt(0)
	v_add_co_u32 v6, vcc_lo, s0, v6
	v_add_co_ci_u32_e64 v7, null, s1, v7, vcc_lo
	global_load_dword v4, v[6:7], off
	v_add_nc_u32_e32 v7, -11, v5
	v_mov_b32_e32 v6, v8
	v_lshlrev_b64 v[11:12], 2, v[7:8]
	v_add_nc_u32_e32 v7, -7, v5
	v_lshlrev_b64 v[27:28], 2, v[5:6]
	v_lshlrev_b64 v[6:7], 2, v[7:8]
	v_add_co_u32 v11, vcc_lo, s2, v11
	v_add_co_ci_u32_e64 v12, null, s3, v12, vcc_lo
	v_add_co_u32 v6, vcc_lo, s2, v6
	v_add_co_ci_u32_e64 v7, null, s3, v7, vcc_lo
	s_clause 0x1
	global_load_dwordx4 v[11:14], v[11:12], off
	global_load_dword v33, v[6:7], off
	s_waitcnt vmcnt(2)
	v_subrev_nc_u32_e32 v4, s12, v4
	v_mul_lo_u32 v23, v4, 12
	v_add_nc_u32_e32 v7, 4, v23
	v_lshlrev_b64 v[15:16], 2, v[23:24]
	v_lshlrev_b64 v[17:18], 2, v[7:8]
	v_add_nc_u32_e32 v7, -6, v5
	v_add_co_u32 v15, vcc_lo, s4, v15
	v_add_co_ci_u32_e64 v16, null, s5, v16, vcc_lo
	v_add_co_u32 v19, vcc_lo, s4, v17
	v_add_co_ci_u32_e64 v20, null, s5, v18, vcc_lo
	global_load_dwordx4 v[15:18], v[15:16], off
	v_lshlrev_b64 v[24:25], 2, v[7:8]
	v_add_nc_u32_e32 v7, -5, v5
	global_load_dwordx4 v[19:22], v[19:20], off
	v_lshlrev_b64 v[29:30], 2, v[7:8]
	v_add_nc_u32_e32 v7, -4, v5
	v_add_co_u32 v24, vcc_lo, s2, v24
	v_add_co_ci_u32_e64 v25, null, s3, v25, vcc_lo
	v_add_co_u32 v29, vcc_lo, s2, v29
	v_lshlrev_b64 v[31:32], 2, v[7:8]
	v_add_nc_u32_e32 v7, -3, v5
	v_add_co_ci_u32_e64 v30, null, s3, v30, vcc_lo
	s_clause 0x1
	global_load_dword v4, v[24:25], off
	global_load_dword v34, v[29:30], off
	v_lshlrev_b64 v[24:25], 2, v[7:8]
	v_add_nc_u32_e32 v7, 8, v23
	v_add_co_u32 v29, vcc_lo, s2, v31
	v_add_co_ci_u32_e64 v30, null, s3, v32, vcc_lo
	v_lshlrev_b64 v[31:32], 2, v[7:8]
	v_add_nc_u32_e32 v7, -2, v5
	v_add_co_u32 v23, vcc_lo, s2, v24
	v_add_co_ci_u32_e64 v24, null, s3, v25, vcc_lo
	v_lshlrev_b64 v[25:26], 2, v[7:8]
	v_add_nc_u32_e32 v7, -1, v5
	s_clause 0x1
	global_load_dword v35, v[29:30], off
	global_load_dword v36, v[23:24], off
	v_add_co_u32 v23, vcc_lo, s4, v31
	v_add_co_ci_u32_e64 v24, null, s5, v32, vcc_lo
	v_add_co_u32 v29, vcc_lo, s2, v25
	v_lshlrev_b64 v[6:7], 2, v[7:8]
	v_add_co_ci_u32_e64 v30, null, s3, v26, vcc_lo
	global_load_dwordx4 v[23:26], v[23:24], off
	global_load_dword v29, v[29:30], off
	v_add_co_u32 v6, vcc_lo, s2, v6
	v_add_co_ci_u32_e64 v7, null, s3, v7, vcc_lo
	v_add_co_u32 v27, vcc_lo, s2, v27
	v_add_co_ci_u32_e64 v28, null, s3, v28, vcc_lo
	s_clause 0x1
	global_load_dword v6, v[6:7], off
	global_load_dword v7, v[27:28], off
	v_cmp_ge_i32_e32 vcc_lo, v3, v10
	v_add_nc_u32_e32 v5, 0x180, v5
	s_or_b32 s11, vcc_lo, s11
	s_waitcnt vmcnt(9)
	v_fmac_f32_e32 v9, v11, v15
	v_fmac_f32_e32 v9, v12, v16
	;; [unrolled: 1-line block ×4, first 2 shown]
	s_waitcnt vmcnt(8)
	v_fmac_f32_e32 v9, v33, v19
	s_waitcnt vmcnt(7)
	v_fmac_f32_e32 v9, v4, v20
	;; [unrolled: 2-line block ×8, first 2 shown]
	s_andn2_b32 exec_lo, exec_lo, s11
	s_cbranch_execnz .LBB53_8
; %bb.9:
	s_or_b32 exec_lo, exec_lo, s11
.LBB53_10:
	s_or_b32 exec_lo, exec_lo, s9
	v_mbcnt_lo_u32_b32 v3, -1, 0
	s_mov_b32 s0, -1
	v_xor_b32_e32 v4, 16, v3
	v_xor_b32_e32 v5, 8, v3
	;; [unrolled: 1-line block ×3, first 2 shown]
	v_cmp_gt_i32_e32 vcc_lo, 32, v4
	v_cndmask_b32_e32 v4, v3, v4, vcc_lo
	v_cmp_gt_i32_e32 vcc_lo, 32, v5
	v_lshlrev_b32_e32 v4, 2, v4
	v_cndmask_b32_e32 v5, v3, v5, vcc_lo
	v_cmp_gt_i32_e32 vcc_lo, 32, v6
	ds_bpermute_b32 v4, v4, v9
	v_lshlrev_b32_e32 v5, 2, v5
	v_cndmask_b32_e32 v6, v3, v6, vcc_lo
	v_lshlrev_b32_e32 v6, 2, v6
	s_waitcnt lgkmcnt(0)
	v_add_f32_e32 v4, v9, v4
	ds_bpermute_b32 v5, v5, v4
	s_waitcnt lgkmcnt(0)
	v_add_f32_e32 v4, v4, v5
	ds_bpermute_b32 v5, v6, v4
	v_xor_b32_e32 v6, 2, v3
	v_cmp_gt_i32_e32 vcc_lo, 32, v6
	v_cndmask_b32_e32 v6, v3, v6, vcc_lo
	v_lshlrev_b32_e32 v6, 2, v6
	s_waitcnt lgkmcnt(0)
	v_add_f32_e32 v4, v4, v5
	ds_bpermute_b32 v5, v6, v4
	v_xor_b32_e32 v6, 1, v3
	v_cmp_gt_i32_e32 vcc_lo, 32, v6
	v_cndmask_b32_e32 v6, v3, v6, vcc_lo
	v_cmp_eq_u32_e32 vcc_lo, 31, v0
	s_waitcnt lgkmcnt(0)
	v_add_f32_e32 v3, v4, v5
	v_lshlrev_b32_e32 v4, 2, v6
	ds_bpermute_b32 v4, v4, v3
	s_and_b32 exec_lo, exec_lo, vcc_lo
	s_cbranch_execz .LBB53_15
; %bb.11:
	s_waitcnt lgkmcnt(0)
	v_add_f32_e32 v0, v3, v4
	v_cmp_eq_f32_e64 s1, s8, 0
	v_mul_f32_e32 v0, s10, v0
	s_and_b32 vcc_lo, exec_lo, s1
	s_cbranch_vccz .LBB53_13
; %bb.12:
	v_add_co_u32 v3, vcc_lo, s6, v1
	v_add_co_ci_u32_e64 v4, null, s7, v2, vcc_lo
	s_mov_b32 s0, 0
	global_store_dword v[3:4], v0, off
.LBB53_13:
	s_andn2_b32 vcc_lo, exec_lo, s0
	s_cbranch_vccnz .LBB53_15
; %bb.14:
	v_add_co_u32 v1, vcc_lo, s6, v1
	v_add_co_ci_u32_e64 v2, null, s7, v2, vcc_lo
	global_load_dword v3, v[1:2], off
	s_waitcnt vmcnt(0)
	v_fmac_f32_e32 v0, s8, v3
	global_store_dword v[1:2], v0, off
.LBB53_15:
	s_endpgm
	.section	.rodata,"a",@progbits
	.p2align	6, 0x0
	.amdhsa_kernel _ZN9rocsparseL19gebsrmvn_1xn_kernelILj128ELj12ELj32EfEEvi20rocsparse_direction_NS_24const_host_device_scalarIT2_EEPKiS6_PKS3_S8_S4_PS3_21rocsparse_index_base_b
		.amdhsa_group_segment_fixed_size 0
		.amdhsa_private_segment_fixed_size 0
		.amdhsa_kernarg_size 72
		.amdhsa_user_sgpr_count 6
		.amdhsa_user_sgpr_private_segment_buffer 1
		.amdhsa_user_sgpr_dispatch_ptr 0
		.amdhsa_user_sgpr_queue_ptr 0
		.amdhsa_user_sgpr_kernarg_segment_ptr 1
		.amdhsa_user_sgpr_dispatch_id 0
		.amdhsa_user_sgpr_flat_scratch_init 0
		.amdhsa_user_sgpr_private_segment_size 0
		.amdhsa_wavefront_size32 1
		.amdhsa_uses_dynamic_stack 0
		.amdhsa_system_sgpr_private_segment_wavefront_offset 0
		.amdhsa_system_sgpr_workgroup_id_x 1
		.amdhsa_system_sgpr_workgroup_id_y 0
		.amdhsa_system_sgpr_workgroup_id_z 0
		.amdhsa_system_sgpr_workgroup_info 0
		.amdhsa_system_vgpr_workitem_id 0
		.amdhsa_next_free_vgpr 37
		.amdhsa_next_free_sgpr 14
		.amdhsa_reserve_vcc 1
		.amdhsa_reserve_flat_scratch 0
		.amdhsa_float_round_mode_32 0
		.amdhsa_float_round_mode_16_64 0
		.amdhsa_float_denorm_mode_32 3
		.amdhsa_float_denorm_mode_16_64 3
		.amdhsa_dx10_clamp 1
		.amdhsa_ieee_mode 1
		.amdhsa_fp16_overflow 0
		.amdhsa_workgroup_processor_mode 1
		.amdhsa_memory_ordered 1
		.amdhsa_forward_progress 1
		.amdhsa_shared_vgpr_count 0
		.amdhsa_exception_fp_ieee_invalid_op 0
		.amdhsa_exception_fp_denorm_src 0
		.amdhsa_exception_fp_ieee_div_zero 0
		.amdhsa_exception_fp_ieee_overflow 0
		.amdhsa_exception_fp_ieee_underflow 0
		.amdhsa_exception_fp_ieee_inexact 0
		.amdhsa_exception_int_div_zero 0
	.end_amdhsa_kernel
	.section	.text._ZN9rocsparseL19gebsrmvn_1xn_kernelILj128ELj12ELj32EfEEvi20rocsparse_direction_NS_24const_host_device_scalarIT2_EEPKiS6_PKS3_S8_S4_PS3_21rocsparse_index_base_b,"axG",@progbits,_ZN9rocsparseL19gebsrmvn_1xn_kernelILj128ELj12ELj32EfEEvi20rocsparse_direction_NS_24const_host_device_scalarIT2_EEPKiS6_PKS3_S8_S4_PS3_21rocsparse_index_base_b,comdat
.Lfunc_end53:
	.size	_ZN9rocsparseL19gebsrmvn_1xn_kernelILj128ELj12ELj32EfEEvi20rocsparse_direction_NS_24const_host_device_scalarIT2_EEPKiS6_PKS3_S8_S4_PS3_21rocsparse_index_base_b, .Lfunc_end53-_ZN9rocsparseL19gebsrmvn_1xn_kernelILj128ELj12ELj32EfEEvi20rocsparse_direction_NS_24const_host_device_scalarIT2_EEPKiS6_PKS3_S8_S4_PS3_21rocsparse_index_base_b
                                        ; -- End function
	.set _ZN9rocsparseL19gebsrmvn_1xn_kernelILj128ELj12ELj32EfEEvi20rocsparse_direction_NS_24const_host_device_scalarIT2_EEPKiS6_PKS3_S8_S4_PS3_21rocsparse_index_base_b.num_vgpr, 37
	.set _ZN9rocsparseL19gebsrmvn_1xn_kernelILj128ELj12ELj32EfEEvi20rocsparse_direction_NS_24const_host_device_scalarIT2_EEPKiS6_PKS3_S8_S4_PS3_21rocsparse_index_base_b.num_agpr, 0
	.set _ZN9rocsparseL19gebsrmvn_1xn_kernelILj128ELj12ELj32EfEEvi20rocsparse_direction_NS_24const_host_device_scalarIT2_EEPKiS6_PKS3_S8_S4_PS3_21rocsparse_index_base_b.numbered_sgpr, 14
	.set _ZN9rocsparseL19gebsrmvn_1xn_kernelILj128ELj12ELj32EfEEvi20rocsparse_direction_NS_24const_host_device_scalarIT2_EEPKiS6_PKS3_S8_S4_PS3_21rocsparse_index_base_b.num_named_barrier, 0
	.set _ZN9rocsparseL19gebsrmvn_1xn_kernelILj128ELj12ELj32EfEEvi20rocsparse_direction_NS_24const_host_device_scalarIT2_EEPKiS6_PKS3_S8_S4_PS3_21rocsparse_index_base_b.private_seg_size, 0
	.set _ZN9rocsparseL19gebsrmvn_1xn_kernelILj128ELj12ELj32EfEEvi20rocsparse_direction_NS_24const_host_device_scalarIT2_EEPKiS6_PKS3_S8_S4_PS3_21rocsparse_index_base_b.uses_vcc, 1
	.set _ZN9rocsparseL19gebsrmvn_1xn_kernelILj128ELj12ELj32EfEEvi20rocsparse_direction_NS_24const_host_device_scalarIT2_EEPKiS6_PKS3_S8_S4_PS3_21rocsparse_index_base_b.uses_flat_scratch, 0
	.set _ZN9rocsparseL19gebsrmvn_1xn_kernelILj128ELj12ELj32EfEEvi20rocsparse_direction_NS_24const_host_device_scalarIT2_EEPKiS6_PKS3_S8_S4_PS3_21rocsparse_index_base_b.has_dyn_sized_stack, 0
	.set _ZN9rocsparseL19gebsrmvn_1xn_kernelILj128ELj12ELj32EfEEvi20rocsparse_direction_NS_24const_host_device_scalarIT2_EEPKiS6_PKS3_S8_S4_PS3_21rocsparse_index_base_b.has_recursion, 0
	.set _ZN9rocsparseL19gebsrmvn_1xn_kernelILj128ELj12ELj32EfEEvi20rocsparse_direction_NS_24const_host_device_scalarIT2_EEPKiS6_PKS3_S8_S4_PS3_21rocsparse_index_base_b.has_indirect_call, 0
	.section	.AMDGPU.csdata,"",@progbits
; Kernel info:
; codeLenInByte = 1192
; TotalNumSgprs: 16
; NumVgprs: 37
; ScratchSize: 0
; MemoryBound: 0
; FloatMode: 240
; IeeeMode: 1
; LDSByteSize: 0 bytes/workgroup (compile time only)
; SGPRBlocks: 0
; VGPRBlocks: 4
; NumSGPRsForWavesPerEU: 16
; NumVGPRsForWavesPerEU: 37
; Occupancy: 16
; WaveLimiterHint : 1
; COMPUTE_PGM_RSRC2:SCRATCH_EN: 0
; COMPUTE_PGM_RSRC2:USER_SGPR: 6
; COMPUTE_PGM_RSRC2:TRAP_HANDLER: 0
; COMPUTE_PGM_RSRC2:TGID_X_EN: 1
; COMPUTE_PGM_RSRC2:TGID_Y_EN: 0
; COMPUTE_PGM_RSRC2:TGID_Z_EN: 0
; COMPUTE_PGM_RSRC2:TIDIG_COMP_CNT: 0
	.section	.text._ZN9rocsparseL19gebsrmvn_1xn_kernelILj128ELj12ELj64EfEEvi20rocsparse_direction_NS_24const_host_device_scalarIT2_EEPKiS6_PKS3_S8_S4_PS3_21rocsparse_index_base_b,"axG",@progbits,_ZN9rocsparseL19gebsrmvn_1xn_kernelILj128ELj12ELj64EfEEvi20rocsparse_direction_NS_24const_host_device_scalarIT2_EEPKiS6_PKS3_S8_S4_PS3_21rocsparse_index_base_b,comdat
	.globl	_ZN9rocsparseL19gebsrmvn_1xn_kernelILj128ELj12ELj64EfEEvi20rocsparse_direction_NS_24const_host_device_scalarIT2_EEPKiS6_PKS3_S8_S4_PS3_21rocsparse_index_base_b ; -- Begin function _ZN9rocsparseL19gebsrmvn_1xn_kernelILj128ELj12ELj64EfEEvi20rocsparse_direction_NS_24const_host_device_scalarIT2_EEPKiS6_PKS3_S8_S4_PS3_21rocsparse_index_base_b
	.p2align	8
	.type	_ZN9rocsparseL19gebsrmvn_1xn_kernelILj128ELj12ELj64EfEEvi20rocsparse_direction_NS_24const_host_device_scalarIT2_EEPKiS6_PKS3_S8_S4_PS3_21rocsparse_index_base_b,@function
_ZN9rocsparseL19gebsrmvn_1xn_kernelILj128ELj12ELj64EfEEvi20rocsparse_direction_NS_24const_host_device_scalarIT2_EEPKiS6_PKS3_S8_S4_PS3_21rocsparse_index_base_b: ; @_ZN9rocsparseL19gebsrmvn_1xn_kernelILj128ELj12ELj64EfEEvi20rocsparse_direction_NS_24const_host_device_scalarIT2_EEPKiS6_PKS3_S8_S4_PS3_21rocsparse_index_base_b
; %bb.0:
	s_clause 0x2
	s_load_dwordx2 s[12:13], s[4:5], 0x40
	s_load_dwordx2 s[10:11], s[4:5], 0x8
	;; [unrolled: 1-line block ×3, first 2 shown]
	s_waitcnt lgkmcnt(0)
	s_bitcmp1_b32 s13, 0
	s_cselect_b32 s0, -1, 0
	s_and_b32 vcc_lo, exec_lo, s0
	s_xor_b32 s0, s0, -1
	s_cbranch_vccnz .LBB54_2
; %bb.1:
	s_load_dword s10, s[10:11], 0x0
.LBB54_2:
	s_andn2_b32 vcc_lo, exec_lo, s0
	s_cbranch_vccnz .LBB54_4
; %bb.3:
	s_load_dword s8, s[8:9], 0x0
.LBB54_4:
	s_waitcnt lgkmcnt(0)
	v_cmp_eq_f32_e64 s0, s10, 0
	v_cmp_eq_f32_e64 s1, s8, 1.0
	s_and_b32 s0, s0, s1
	s_and_b32 vcc_lo, exec_lo, s0
	s_cbranch_vccnz .LBB54_15
; %bb.5:
	s_load_dword s0, s[4:5], 0x0
	v_lshrrev_b32_e32 v1, 6, v0
	v_lshl_or_b32 v1, s6, 1, v1
	s_waitcnt lgkmcnt(0)
	v_cmp_gt_i32_e32 vcc_lo, s0, v1
	s_and_saveexec_b32 s0, vcc_lo
	s_cbranch_execz .LBB54_15
; %bb.6:
	s_clause 0x1
	s_load_dwordx2 s[0:1], s[4:5], 0x10
	s_load_dwordx2 s[6:7], s[4:5], 0x38
	v_ashrrev_i32_e32 v2, 31, v1
	v_and_b32_e32 v0, 63, v0
	v_mov_b32_e32 v9, 0
	s_mov_b32 s9, exec_lo
	v_lshlrev_b64 v[1:2], 2, v[1:2]
	v_subrev_nc_u32_e32 v5, s12, v0
	s_waitcnt lgkmcnt(0)
	v_add_co_u32 v3, vcc_lo, s0, v1
	v_add_co_ci_u32_e64 v4, null, s1, v2, vcc_lo
	global_load_dwordx2 v[3:4], v[3:4], off
	s_waitcnt vmcnt(0)
	v_subrev_nc_u32_e32 v10, s12, v4
	v_add_nc_u32_e32 v3, v3, v5
	v_cmpx_lt_i32_e64 v3, v10
	s_cbranch_execz .LBB54_10
; %bb.7:
	s_clause 0x1
	s_load_dwordx4 s[0:3], s[4:5], 0x18
	s_load_dwordx2 s[4:5], s[4:5], 0x28
	v_mad_u64_u32 v[5:6], null, v3, 12, 11
	v_mov_b32_e32 v8, 0
	v_mov_b32_e32 v9, 0
	s_mov_b32 s11, 0
.LBB54_8:                               ; =>This Inner Loop Header: Depth=1
	v_ashrrev_i32_e32 v4, 31, v3
	v_mov_b32_e32 v24, v8
	v_lshlrev_b64 v[6:7], 2, v[3:4]
	v_add_nc_u32_e32 v3, 64, v3
	s_waitcnt lgkmcnt(0)
	v_add_co_u32 v6, vcc_lo, s0, v6
	v_add_co_ci_u32_e64 v7, null, s1, v7, vcc_lo
	global_load_dword v4, v[6:7], off
	v_add_nc_u32_e32 v7, -11, v5
	v_mov_b32_e32 v6, v8
	v_lshlrev_b64 v[11:12], 2, v[7:8]
	v_add_nc_u32_e32 v7, -7, v5
	v_lshlrev_b64 v[27:28], 2, v[5:6]
	v_lshlrev_b64 v[6:7], 2, v[7:8]
	v_add_co_u32 v11, vcc_lo, s2, v11
	v_add_co_ci_u32_e64 v12, null, s3, v12, vcc_lo
	v_add_co_u32 v6, vcc_lo, s2, v6
	v_add_co_ci_u32_e64 v7, null, s3, v7, vcc_lo
	s_clause 0x1
	global_load_dwordx4 v[11:14], v[11:12], off
	global_load_dword v33, v[6:7], off
	s_waitcnt vmcnt(2)
	v_subrev_nc_u32_e32 v4, s12, v4
	v_mul_lo_u32 v23, v4, 12
	v_add_nc_u32_e32 v7, 4, v23
	v_lshlrev_b64 v[15:16], 2, v[23:24]
	v_lshlrev_b64 v[17:18], 2, v[7:8]
	v_add_nc_u32_e32 v7, -6, v5
	v_add_co_u32 v15, vcc_lo, s4, v15
	v_add_co_ci_u32_e64 v16, null, s5, v16, vcc_lo
	v_add_co_u32 v19, vcc_lo, s4, v17
	v_add_co_ci_u32_e64 v20, null, s5, v18, vcc_lo
	global_load_dwordx4 v[15:18], v[15:16], off
	v_lshlrev_b64 v[24:25], 2, v[7:8]
	v_add_nc_u32_e32 v7, -5, v5
	global_load_dwordx4 v[19:22], v[19:20], off
	v_lshlrev_b64 v[29:30], 2, v[7:8]
	v_add_nc_u32_e32 v7, -4, v5
	v_add_co_u32 v24, vcc_lo, s2, v24
	v_add_co_ci_u32_e64 v25, null, s3, v25, vcc_lo
	v_add_co_u32 v29, vcc_lo, s2, v29
	v_lshlrev_b64 v[31:32], 2, v[7:8]
	v_add_nc_u32_e32 v7, -3, v5
	v_add_co_ci_u32_e64 v30, null, s3, v30, vcc_lo
	s_clause 0x1
	global_load_dword v4, v[24:25], off
	global_load_dword v34, v[29:30], off
	v_lshlrev_b64 v[24:25], 2, v[7:8]
	v_add_nc_u32_e32 v7, 8, v23
	v_add_co_u32 v29, vcc_lo, s2, v31
	v_add_co_ci_u32_e64 v30, null, s3, v32, vcc_lo
	v_lshlrev_b64 v[31:32], 2, v[7:8]
	v_add_nc_u32_e32 v7, -2, v5
	v_add_co_u32 v23, vcc_lo, s2, v24
	v_add_co_ci_u32_e64 v24, null, s3, v25, vcc_lo
	v_lshlrev_b64 v[25:26], 2, v[7:8]
	v_add_nc_u32_e32 v7, -1, v5
	s_clause 0x1
	global_load_dword v35, v[29:30], off
	global_load_dword v36, v[23:24], off
	v_add_co_u32 v23, vcc_lo, s4, v31
	v_add_co_ci_u32_e64 v24, null, s5, v32, vcc_lo
	v_add_co_u32 v29, vcc_lo, s2, v25
	v_lshlrev_b64 v[6:7], 2, v[7:8]
	v_add_co_ci_u32_e64 v30, null, s3, v26, vcc_lo
	global_load_dwordx4 v[23:26], v[23:24], off
	global_load_dword v29, v[29:30], off
	v_add_co_u32 v6, vcc_lo, s2, v6
	v_add_co_ci_u32_e64 v7, null, s3, v7, vcc_lo
	v_add_co_u32 v27, vcc_lo, s2, v27
	v_add_co_ci_u32_e64 v28, null, s3, v28, vcc_lo
	s_clause 0x1
	global_load_dword v6, v[6:7], off
	global_load_dword v7, v[27:28], off
	v_cmp_ge_i32_e32 vcc_lo, v3, v10
	v_add_nc_u32_e32 v5, 0x300, v5
	s_or_b32 s11, vcc_lo, s11
	s_waitcnt vmcnt(9)
	v_fmac_f32_e32 v9, v11, v15
	v_fmac_f32_e32 v9, v12, v16
	;; [unrolled: 1-line block ×4, first 2 shown]
	s_waitcnt vmcnt(8)
	v_fmac_f32_e32 v9, v33, v19
	s_waitcnt vmcnt(7)
	v_fmac_f32_e32 v9, v4, v20
	;; [unrolled: 2-line block ×8, first 2 shown]
	s_andn2_b32 exec_lo, exec_lo, s11
	s_cbranch_execnz .LBB54_8
; %bb.9:
	s_or_b32 exec_lo, exec_lo, s11
.LBB54_10:
	s_or_b32 exec_lo, exec_lo, s9
	v_mbcnt_lo_u32_b32 v3, -1, 0
	s_mov_b32 s0, -1
	v_or_b32_e32 v4, 32, v3
	v_xor_b32_e32 v5, 16, v3
	v_xor_b32_e32 v6, 8, v3
	v_cmp_gt_i32_e32 vcc_lo, 32, v4
	v_cndmask_b32_e32 v4, v3, v4, vcc_lo
	v_cmp_gt_i32_e32 vcc_lo, 32, v5
	v_lshlrev_b32_e32 v4, 2, v4
	v_cndmask_b32_e32 v5, v3, v5, vcc_lo
	v_cmp_gt_i32_e32 vcc_lo, 32, v6
	ds_bpermute_b32 v4, v4, v9
	v_lshlrev_b32_e32 v5, 2, v5
	v_cndmask_b32_e32 v6, v3, v6, vcc_lo
	v_lshlrev_b32_e32 v6, 2, v6
	s_waitcnt lgkmcnt(0)
	v_add_f32_e32 v4, v9, v4
	ds_bpermute_b32 v5, v5, v4
	s_waitcnt lgkmcnt(0)
	v_add_f32_e32 v4, v4, v5
	ds_bpermute_b32 v5, v6, v4
	v_xor_b32_e32 v6, 4, v3
	v_cmp_gt_i32_e32 vcc_lo, 32, v6
	v_cndmask_b32_e32 v6, v3, v6, vcc_lo
	v_lshlrev_b32_e32 v6, 2, v6
	s_waitcnt lgkmcnt(0)
	v_add_f32_e32 v4, v4, v5
	ds_bpermute_b32 v5, v6, v4
	v_xor_b32_e32 v6, 2, v3
	v_cmp_gt_i32_e32 vcc_lo, 32, v6
	v_cndmask_b32_e32 v6, v3, v6, vcc_lo
	v_lshlrev_b32_e32 v6, 2, v6
	s_waitcnt lgkmcnt(0)
	v_add_f32_e32 v4, v4, v5
	ds_bpermute_b32 v5, v6, v4
	v_xor_b32_e32 v6, 1, v3
	v_cmp_gt_i32_e32 vcc_lo, 32, v6
	v_cndmask_b32_e32 v6, v3, v6, vcc_lo
	v_cmp_eq_u32_e32 vcc_lo, 63, v0
	s_waitcnt lgkmcnt(0)
	v_add_f32_e32 v3, v4, v5
	v_lshlrev_b32_e32 v4, 2, v6
	ds_bpermute_b32 v4, v4, v3
	s_and_b32 exec_lo, exec_lo, vcc_lo
	s_cbranch_execz .LBB54_15
; %bb.11:
	s_waitcnt lgkmcnt(0)
	v_add_f32_e32 v0, v3, v4
	v_cmp_eq_f32_e64 s1, s8, 0
	v_mul_f32_e32 v0, s10, v0
	s_and_b32 vcc_lo, exec_lo, s1
	s_cbranch_vccz .LBB54_13
; %bb.12:
	v_add_co_u32 v3, vcc_lo, s6, v1
	v_add_co_ci_u32_e64 v4, null, s7, v2, vcc_lo
	s_mov_b32 s0, 0
	global_store_dword v[3:4], v0, off
.LBB54_13:
	s_andn2_b32 vcc_lo, exec_lo, s0
	s_cbranch_vccnz .LBB54_15
; %bb.14:
	v_add_co_u32 v1, vcc_lo, s6, v1
	v_add_co_ci_u32_e64 v2, null, s7, v2, vcc_lo
	global_load_dword v3, v[1:2], off
	s_waitcnt vmcnt(0)
	v_fmac_f32_e32 v0, s8, v3
	global_store_dword v[1:2], v0, off
.LBB54_15:
	s_endpgm
	.section	.rodata,"a",@progbits
	.p2align	6, 0x0
	.amdhsa_kernel _ZN9rocsparseL19gebsrmvn_1xn_kernelILj128ELj12ELj64EfEEvi20rocsparse_direction_NS_24const_host_device_scalarIT2_EEPKiS6_PKS3_S8_S4_PS3_21rocsparse_index_base_b
		.amdhsa_group_segment_fixed_size 0
		.amdhsa_private_segment_fixed_size 0
		.amdhsa_kernarg_size 72
		.amdhsa_user_sgpr_count 6
		.amdhsa_user_sgpr_private_segment_buffer 1
		.amdhsa_user_sgpr_dispatch_ptr 0
		.amdhsa_user_sgpr_queue_ptr 0
		.amdhsa_user_sgpr_kernarg_segment_ptr 1
		.amdhsa_user_sgpr_dispatch_id 0
		.amdhsa_user_sgpr_flat_scratch_init 0
		.amdhsa_user_sgpr_private_segment_size 0
		.amdhsa_wavefront_size32 1
		.amdhsa_uses_dynamic_stack 0
		.amdhsa_system_sgpr_private_segment_wavefront_offset 0
		.amdhsa_system_sgpr_workgroup_id_x 1
		.amdhsa_system_sgpr_workgroup_id_y 0
		.amdhsa_system_sgpr_workgroup_id_z 0
		.amdhsa_system_sgpr_workgroup_info 0
		.amdhsa_system_vgpr_workitem_id 0
		.amdhsa_next_free_vgpr 37
		.amdhsa_next_free_sgpr 14
		.amdhsa_reserve_vcc 1
		.amdhsa_reserve_flat_scratch 0
		.amdhsa_float_round_mode_32 0
		.amdhsa_float_round_mode_16_64 0
		.amdhsa_float_denorm_mode_32 3
		.amdhsa_float_denorm_mode_16_64 3
		.amdhsa_dx10_clamp 1
		.amdhsa_ieee_mode 1
		.amdhsa_fp16_overflow 0
		.amdhsa_workgroup_processor_mode 1
		.amdhsa_memory_ordered 1
		.amdhsa_forward_progress 1
		.amdhsa_shared_vgpr_count 0
		.amdhsa_exception_fp_ieee_invalid_op 0
		.amdhsa_exception_fp_denorm_src 0
		.amdhsa_exception_fp_ieee_div_zero 0
		.amdhsa_exception_fp_ieee_overflow 0
		.amdhsa_exception_fp_ieee_underflow 0
		.amdhsa_exception_fp_ieee_inexact 0
		.amdhsa_exception_int_div_zero 0
	.end_amdhsa_kernel
	.section	.text._ZN9rocsparseL19gebsrmvn_1xn_kernelILj128ELj12ELj64EfEEvi20rocsparse_direction_NS_24const_host_device_scalarIT2_EEPKiS6_PKS3_S8_S4_PS3_21rocsparse_index_base_b,"axG",@progbits,_ZN9rocsparseL19gebsrmvn_1xn_kernelILj128ELj12ELj64EfEEvi20rocsparse_direction_NS_24const_host_device_scalarIT2_EEPKiS6_PKS3_S8_S4_PS3_21rocsparse_index_base_b,comdat
.Lfunc_end54:
	.size	_ZN9rocsparseL19gebsrmvn_1xn_kernelILj128ELj12ELj64EfEEvi20rocsparse_direction_NS_24const_host_device_scalarIT2_EEPKiS6_PKS3_S8_S4_PS3_21rocsparse_index_base_b, .Lfunc_end54-_ZN9rocsparseL19gebsrmvn_1xn_kernelILj128ELj12ELj64EfEEvi20rocsparse_direction_NS_24const_host_device_scalarIT2_EEPKiS6_PKS3_S8_S4_PS3_21rocsparse_index_base_b
                                        ; -- End function
	.set _ZN9rocsparseL19gebsrmvn_1xn_kernelILj128ELj12ELj64EfEEvi20rocsparse_direction_NS_24const_host_device_scalarIT2_EEPKiS6_PKS3_S8_S4_PS3_21rocsparse_index_base_b.num_vgpr, 37
	.set _ZN9rocsparseL19gebsrmvn_1xn_kernelILj128ELj12ELj64EfEEvi20rocsparse_direction_NS_24const_host_device_scalarIT2_EEPKiS6_PKS3_S8_S4_PS3_21rocsparse_index_base_b.num_agpr, 0
	.set _ZN9rocsparseL19gebsrmvn_1xn_kernelILj128ELj12ELj64EfEEvi20rocsparse_direction_NS_24const_host_device_scalarIT2_EEPKiS6_PKS3_S8_S4_PS3_21rocsparse_index_base_b.numbered_sgpr, 14
	.set _ZN9rocsparseL19gebsrmvn_1xn_kernelILj128ELj12ELj64EfEEvi20rocsparse_direction_NS_24const_host_device_scalarIT2_EEPKiS6_PKS3_S8_S4_PS3_21rocsparse_index_base_b.num_named_barrier, 0
	.set _ZN9rocsparseL19gebsrmvn_1xn_kernelILj128ELj12ELj64EfEEvi20rocsparse_direction_NS_24const_host_device_scalarIT2_EEPKiS6_PKS3_S8_S4_PS3_21rocsparse_index_base_b.private_seg_size, 0
	.set _ZN9rocsparseL19gebsrmvn_1xn_kernelILj128ELj12ELj64EfEEvi20rocsparse_direction_NS_24const_host_device_scalarIT2_EEPKiS6_PKS3_S8_S4_PS3_21rocsparse_index_base_b.uses_vcc, 1
	.set _ZN9rocsparseL19gebsrmvn_1xn_kernelILj128ELj12ELj64EfEEvi20rocsparse_direction_NS_24const_host_device_scalarIT2_EEPKiS6_PKS3_S8_S4_PS3_21rocsparse_index_base_b.uses_flat_scratch, 0
	.set _ZN9rocsparseL19gebsrmvn_1xn_kernelILj128ELj12ELj64EfEEvi20rocsparse_direction_NS_24const_host_device_scalarIT2_EEPKiS6_PKS3_S8_S4_PS3_21rocsparse_index_base_b.has_dyn_sized_stack, 0
	.set _ZN9rocsparseL19gebsrmvn_1xn_kernelILj128ELj12ELj64EfEEvi20rocsparse_direction_NS_24const_host_device_scalarIT2_EEPKiS6_PKS3_S8_S4_PS3_21rocsparse_index_base_b.has_recursion, 0
	.set _ZN9rocsparseL19gebsrmvn_1xn_kernelILj128ELj12ELj64EfEEvi20rocsparse_direction_NS_24const_host_device_scalarIT2_EEPKiS6_PKS3_S8_S4_PS3_21rocsparse_index_base_b.has_indirect_call, 0
	.section	.AMDGPU.csdata,"",@progbits
; Kernel info:
; codeLenInByte = 1224
; TotalNumSgprs: 16
; NumVgprs: 37
; ScratchSize: 0
; MemoryBound: 0
; FloatMode: 240
; IeeeMode: 1
; LDSByteSize: 0 bytes/workgroup (compile time only)
; SGPRBlocks: 0
; VGPRBlocks: 4
; NumSGPRsForWavesPerEU: 16
; NumVGPRsForWavesPerEU: 37
; Occupancy: 16
; WaveLimiterHint : 1
; COMPUTE_PGM_RSRC2:SCRATCH_EN: 0
; COMPUTE_PGM_RSRC2:USER_SGPR: 6
; COMPUTE_PGM_RSRC2:TRAP_HANDLER: 0
; COMPUTE_PGM_RSRC2:TGID_X_EN: 1
; COMPUTE_PGM_RSRC2:TGID_Y_EN: 0
; COMPUTE_PGM_RSRC2:TGID_Z_EN: 0
; COMPUTE_PGM_RSRC2:TIDIG_COMP_CNT: 0
	.section	.text._ZN9rocsparseL19gebsrmvn_1xn_kernelILj128ELj13ELj4EfEEvi20rocsparse_direction_NS_24const_host_device_scalarIT2_EEPKiS6_PKS3_S8_S4_PS3_21rocsparse_index_base_b,"axG",@progbits,_ZN9rocsparseL19gebsrmvn_1xn_kernelILj128ELj13ELj4EfEEvi20rocsparse_direction_NS_24const_host_device_scalarIT2_EEPKiS6_PKS3_S8_S4_PS3_21rocsparse_index_base_b,comdat
	.globl	_ZN9rocsparseL19gebsrmvn_1xn_kernelILj128ELj13ELj4EfEEvi20rocsparse_direction_NS_24const_host_device_scalarIT2_EEPKiS6_PKS3_S8_S4_PS3_21rocsparse_index_base_b ; -- Begin function _ZN9rocsparseL19gebsrmvn_1xn_kernelILj128ELj13ELj4EfEEvi20rocsparse_direction_NS_24const_host_device_scalarIT2_EEPKiS6_PKS3_S8_S4_PS3_21rocsparse_index_base_b
	.p2align	8
	.type	_ZN9rocsparseL19gebsrmvn_1xn_kernelILj128ELj13ELj4EfEEvi20rocsparse_direction_NS_24const_host_device_scalarIT2_EEPKiS6_PKS3_S8_S4_PS3_21rocsparse_index_base_b,@function
_ZN9rocsparseL19gebsrmvn_1xn_kernelILj128ELj13ELj4EfEEvi20rocsparse_direction_NS_24const_host_device_scalarIT2_EEPKiS6_PKS3_S8_S4_PS3_21rocsparse_index_base_b: ; @_ZN9rocsparseL19gebsrmvn_1xn_kernelILj128ELj13ELj4EfEEvi20rocsparse_direction_NS_24const_host_device_scalarIT2_EEPKiS6_PKS3_S8_S4_PS3_21rocsparse_index_base_b
; %bb.0:
	s_clause 0x2
	s_load_dwordx2 s[12:13], s[4:5], 0x40
	s_load_dwordx2 s[10:11], s[4:5], 0x8
	;; [unrolled: 1-line block ×3, first 2 shown]
	s_waitcnt lgkmcnt(0)
	s_bitcmp1_b32 s13, 0
	s_cselect_b32 s0, -1, 0
	s_and_b32 vcc_lo, exec_lo, s0
	s_xor_b32 s0, s0, -1
	s_cbranch_vccnz .LBB55_2
; %bb.1:
	s_load_dword s10, s[10:11], 0x0
.LBB55_2:
	s_andn2_b32 vcc_lo, exec_lo, s0
	s_cbranch_vccnz .LBB55_4
; %bb.3:
	s_load_dword s8, s[8:9], 0x0
.LBB55_4:
	s_waitcnt lgkmcnt(0)
	v_cmp_eq_f32_e64 s0, s10, 0
	v_cmp_eq_f32_e64 s1, s8, 1.0
	s_and_b32 s0, s0, s1
	s_and_b32 vcc_lo, exec_lo, s0
	s_cbranch_vccnz .LBB55_15
; %bb.5:
	s_load_dword s0, s[4:5], 0x0
	v_lshrrev_b32_e32 v1, 2, v0
	v_lshl_or_b32 v1, s6, 5, v1
	s_waitcnt lgkmcnt(0)
	v_cmp_gt_i32_e32 vcc_lo, s0, v1
	s_and_saveexec_b32 s0, vcc_lo
	s_cbranch_execz .LBB55_15
; %bb.6:
	s_clause 0x1
	s_load_dwordx2 s[0:1], s[4:5], 0x10
	s_load_dwordx2 s[6:7], s[4:5], 0x38
	v_ashrrev_i32_e32 v2, 31, v1
	v_and_b32_e32 v0, 3, v0
	v_mov_b32_e32 v9, 0
	s_mov_b32 s9, exec_lo
	v_lshlrev_b64 v[1:2], 2, v[1:2]
	v_subrev_nc_u32_e32 v5, s12, v0
	s_waitcnt lgkmcnt(0)
	v_add_co_u32 v3, vcc_lo, s0, v1
	v_add_co_ci_u32_e64 v4, null, s1, v2, vcc_lo
	global_load_dwordx2 v[3:4], v[3:4], off
	s_waitcnt vmcnt(0)
	v_subrev_nc_u32_e32 v10, s12, v4
	v_add_nc_u32_e32 v3, v3, v5
	v_cmpx_lt_i32_e64 v3, v10
	s_cbranch_execz .LBB55_10
; %bb.7:
	s_clause 0x1
	s_load_dwordx4 s[0:3], s[4:5], 0x18
	s_load_dwordx2 s[4:5], s[4:5], 0x28
	v_mad_u64_u32 v[5:6], null, v3, 13, 12
	v_mov_b32_e32 v8, 0
	v_mov_b32_e32 v9, 0
	s_mov_b32 s11, 0
.LBB55_8:                               ; =>This Inner Loop Header: Depth=1
	v_ashrrev_i32_e32 v4, 31, v3
	v_mov_b32_e32 v12, v8
	v_lshlrev_b64 v[6:7], 2, v[3:4]
	v_add_nc_u32_e32 v3, 4, v3
	s_waitcnt lgkmcnt(0)
	v_add_co_u32 v6, vcc_lo, s0, v6
	v_add_co_ci_u32_e64 v7, null, s1, v7, vcc_lo
	global_load_dword v4, v[6:7], off
	v_add_nc_u32_e32 v7, -12, v5
	v_mov_b32_e32 v6, v8
	v_lshlrev_b64 v[13:14], 2, v[7:8]
	v_add_nc_u32_e32 v7, -11, v5
	v_lshlrev_b64 v[15:16], 2, v[5:6]
	v_lshlrev_b64 v[6:7], 2, v[7:8]
	v_add_co_u32 v13, vcc_lo, s2, v13
	v_add_co_ci_u32_e64 v14, null, s3, v14, vcc_lo
	v_add_co_u32 v15, vcc_lo, s2, v15
	v_add_co_ci_u32_e64 v16, null, s3, v16, vcc_lo
	;; [unrolled: 2-line block ×3, first 2 shown]
	s_clause 0x1
	global_load_dword v21, v[13:14], off
	global_load_dword v22, v[6:7], off
	s_waitcnt vmcnt(2)
	v_subrev_nc_u32_e32 v4, s12, v4
	v_mul_lo_u32 v11, v4, 13
	v_add_nc_u32_e32 v7, 1, v11
	v_lshlrev_b64 v[12:13], 2, v[11:12]
	v_lshlrev_b64 v[17:18], 2, v[7:8]
	v_add_nc_u32_e32 v7, -10, v5
	v_add_co_u32 v12, vcc_lo, s4, v12
	v_add_co_ci_u32_e64 v13, null, s5, v13, vcc_lo
	v_add_co_u32 v17, vcc_lo, s4, v17
	v_lshlrev_b64 v[19:20], 2, v[7:8]
	v_add_nc_u32_e32 v7, 2, v11
	v_add_co_ci_u32_e64 v18, null, s5, v18, vcc_lo
	s_clause 0x1
	global_load_dword v4, v[12:13], off
	global_load_dword v23, v[17:18], off
	v_lshlrev_b64 v[12:13], 2, v[7:8]
	v_add_nc_u32_e32 v7, -9, v5
	v_add_co_u32 v17, vcc_lo, s2, v19
	v_add_co_ci_u32_e64 v18, null, s3, v20, vcc_lo
	v_add_co_u32 v12, vcc_lo, s4, v12
	v_lshlrev_b64 v[19:20], 2, v[7:8]
	v_add_co_ci_u32_e64 v13, null, s5, v13, vcc_lo
	v_add_nc_u32_e32 v7, 3, v11
	global_load_dword v24, v[17:18], off
	global_load_dword v25, v[12:13], off
	v_add_co_u32 v12, vcc_lo, s2, v19
	v_add_co_ci_u32_e64 v13, null, s3, v20, vcc_lo
	global_load_dword v26, v[12:13], off
	v_lshlrev_b64 v[17:18], 2, v[7:8]
	v_add_nc_u32_e32 v7, -8, v5
	v_lshlrev_b64 v[19:20], 2, v[7:8]
	v_add_nc_u32_e32 v7, 4, v11
	v_add_co_u32 v17, vcc_lo, s4, v17
	v_add_co_ci_u32_e64 v18, null, s5, v18, vcc_lo
	v_lshlrev_b64 v[12:13], 2, v[7:8]
	v_add_nc_u32_e32 v7, -7, v5
	global_load_dword v27, v[17:18], off
	v_add_co_u32 v17, vcc_lo, s2, v19
	v_add_co_ci_u32_e64 v18, null, s3, v20, vcc_lo
	v_add_co_u32 v12, vcc_lo, s4, v12
	v_lshlrev_b64 v[19:20], 2, v[7:8]
	v_add_co_ci_u32_e64 v13, null, s5, v13, vcc_lo
	v_add_nc_u32_e32 v7, 5, v11
	global_load_dword v28, v[17:18], off
	global_load_dword v29, v[12:13], off
	v_add_co_u32 v12, vcc_lo, s2, v19
	v_add_co_ci_u32_e64 v13, null, s3, v20, vcc_lo
	global_load_dword v30, v[12:13], off
	v_lshlrev_b64 v[17:18], 2, v[7:8]
	v_add_nc_u32_e32 v7, -6, v5
	v_lshlrev_b64 v[19:20], 2, v[7:8]
	v_add_nc_u32_e32 v7, 6, v11
	v_add_co_u32 v17, vcc_lo, s4, v17
	v_add_co_ci_u32_e64 v18, null, s5, v18, vcc_lo
	v_lshlrev_b64 v[12:13], 2, v[7:8]
	v_add_nc_u32_e32 v7, -5, v5
	global_load_dword v31, v[17:18], off
	;; [unrolled: 20-line block ×3, first 2 shown]
	v_add_co_u32 v17, vcc_lo, s2, v19
	v_add_co_ci_u32_e64 v18, null, s3, v20, vcc_lo
	v_add_co_u32 v12, vcc_lo, s4, v12
	v_lshlrev_b64 v[19:20], 2, v[7:8]
	v_add_co_ci_u32_e64 v13, null, s5, v13, vcc_lo
	v_add_nc_u32_e32 v7, 9, v11
	global_load_dword v36, v[17:18], off
	global_load_dword v37, v[12:13], off
	v_add_co_u32 v12, vcc_lo, s2, v19
	v_add_co_ci_u32_e64 v13, null, s3, v20, vcc_lo
	global_load_dword v38, v[12:13], off
	v_lshlrev_b64 v[17:18], 2, v[7:8]
	v_add_nc_u32_e32 v7, -2, v5
	v_lshlrev_b64 v[19:20], 2, v[7:8]
	v_add_nc_u32_e32 v7, 10, v11
	v_add_co_u32 v17, vcc_lo, s4, v17
	v_add_co_ci_u32_e64 v18, null, s5, v18, vcc_lo
	v_lshlrev_b64 v[12:13], 2, v[7:8]
	v_add_nc_u32_e32 v7, -1, v5
	v_add_nc_u32_e32 v5, 52, v5
	global_load_dword v39, v[17:18], off
	v_add_co_u32 v17, vcc_lo, s2, v19
	v_add_co_ci_u32_e64 v18, null, s3, v20, vcc_lo
	v_lshlrev_b64 v[19:20], 2, v[7:8]
	v_add_nc_u32_e32 v7, 11, v11
	v_add_co_u32 v12, vcc_lo, s4, v12
	global_load_dword v40, v[17:18], off
	v_add_co_ci_u32_e64 v13, null, s5, v13, vcc_lo
	v_lshlrev_b64 v[17:18], 2, v[7:8]
	v_add_nc_u32_e32 v7, 12, v11
	v_add_co_u32 v11, vcc_lo, s2, v19
	global_load_dword v41, v[12:13], off
	v_add_co_ci_u32_e64 v12, null, s3, v20, vcc_lo
	v_lshlrev_b64 v[6:7], 2, v[7:8]
	v_add_co_u32 v13, vcc_lo, s4, v17
	v_add_co_ci_u32_e64 v14, null, s5, v18, vcc_lo
	global_load_dword v11, v[11:12], off
	global_load_dword v12, v[13:14], off
	v_add_co_u32 v6, vcc_lo, s4, v6
	v_add_co_ci_u32_e64 v7, null, s5, v7, vcc_lo
	global_load_dword v13, v[15:16], off
	global_load_dword v6, v[6:7], off
	v_cmp_ge_i32_e32 vcc_lo, v3, v10
	s_or_b32 s11, vcc_lo, s11
	s_waitcnt vmcnt(23)
	v_fmac_f32_e32 v9, v21, v4
	s_waitcnt vmcnt(22)
	v_fmac_f32_e32 v9, v22, v23
	;; [unrolled: 2-line block ×13, first 2 shown]
	s_andn2_b32 exec_lo, exec_lo, s11
	s_cbranch_execnz .LBB55_8
; %bb.9:
	s_or_b32 exec_lo, exec_lo, s11
.LBB55_10:
	s_or_b32 exec_lo, exec_lo, s9
	v_mbcnt_lo_u32_b32 v3, -1, 0
	s_mov_b32 s0, -1
	v_xor_b32_e32 v4, 2, v3
	v_xor_b32_e32 v5, 1, v3
	v_cmp_gt_i32_e32 vcc_lo, 32, v4
	v_cndmask_b32_e32 v4, v3, v4, vcc_lo
	v_cmp_gt_i32_e32 vcc_lo, 32, v5
	v_lshlrev_b32_e32 v4, 2, v4
	v_cndmask_b32_e32 v5, v3, v5, vcc_lo
	v_cmp_eq_u32_e32 vcc_lo, 3, v0
	ds_bpermute_b32 v4, v4, v9
	s_waitcnt lgkmcnt(0)
	v_add_f32_e32 v3, v9, v4
	v_lshlrev_b32_e32 v4, 2, v5
	ds_bpermute_b32 v4, v4, v3
	s_and_b32 exec_lo, exec_lo, vcc_lo
	s_cbranch_execz .LBB55_15
; %bb.11:
	s_waitcnt lgkmcnt(0)
	v_add_f32_e32 v0, v3, v4
	v_cmp_eq_f32_e64 s1, s8, 0
	v_mul_f32_e32 v0, s10, v0
	s_and_b32 vcc_lo, exec_lo, s1
	s_cbranch_vccz .LBB55_13
; %bb.12:
	v_add_co_u32 v3, vcc_lo, s6, v1
	v_add_co_ci_u32_e64 v4, null, s7, v2, vcc_lo
	s_mov_b32 s0, 0
	global_store_dword v[3:4], v0, off
.LBB55_13:
	s_andn2_b32 vcc_lo, exec_lo, s0
	s_cbranch_vccnz .LBB55_15
; %bb.14:
	v_add_co_u32 v1, vcc_lo, s6, v1
	v_add_co_ci_u32_e64 v2, null, s7, v2, vcc_lo
	global_load_dword v3, v[1:2], off
	s_waitcnt vmcnt(0)
	v_fmac_f32_e32 v0, s8, v3
	global_store_dword v[1:2], v0, off
.LBB55_15:
	s_endpgm
	.section	.rodata,"a",@progbits
	.p2align	6, 0x0
	.amdhsa_kernel _ZN9rocsparseL19gebsrmvn_1xn_kernelILj128ELj13ELj4EfEEvi20rocsparse_direction_NS_24const_host_device_scalarIT2_EEPKiS6_PKS3_S8_S4_PS3_21rocsparse_index_base_b
		.amdhsa_group_segment_fixed_size 0
		.amdhsa_private_segment_fixed_size 0
		.amdhsa_kernarg_size 72
		.amdhsa_user_sgpr_count 6
		.amdhsa_user_sgpr_private_segment_buffer 1
		.amdhsa_user_sgpr_dispatch_ptr 0
		.amdhsa_user_sgpr_queue_ptr 0
		.amdhsa_user_sgpr_kernarg_segment_ptr 1
		.amdhsa_user_sgpr_dispatch_id 0
		.amdhsa_user_sgpr_flat_scratch_init 0
		.amdhsa_user_sgpr_private_segment_size 0
		.amdhsa_wavefront_size32 1
		.amdhsa_uses_dynamic_stack 0
		.amdhsa_system_sgpr_private_segment_wavefront_offset 0
		.amdhsa_system_sgpr_workgroup_id_x 1
		.amdhsa_system_sgpr_workgroup_id_y 0
		.amdhsa_system_sgpr_workgroup_id_z 0
		.amdhsa_system_sgpr_workgroup_info 0
		.amdhsa_system_vgpr_workitem_id 0
		.amdhsa_next_free_vgpr 42
		.amdhsa_next_free_sgpr 14
		.amdhsa_reserve_vcc 1
		.amdhsa_reserve_flat_scratch 0
		.amdhsa_float_round_mode_32 0
		.amdhsa_float_round_mode_16_64 0
		.amdhsa_float_denorm_mode_32 3
		.amdhsa_float_denorm_mode_16_64 3
		.amdhsa_dx10_clamp 1
		.amdhsa_ieee_mode 1
		.amdhsa_fp16_overflow 0
		.amdhsa_workgroup_processor_mode 1
		.amdhsa_memory_ordered 1
		.amdhsa_forward_progress 1
		.amdhsa_shared_vgpr_count 0
		.amdhsa_exception_fp_ieee_invalid_op 0
		.amdhsa_exception_fp_denorm_src 0
		.amdhsa_exception_fp_ieee_div_zero 0
		.amdhsa_exception_fp_ieee_overflow 0
		.amdhsa_exception_fp_ieee_underflow 0
		.amdhsa_exception_fp_ieee_inexact 0
		.amdhsa_exception_int_div_zero 0
	.end_amdhsa_kernel
	.section	.text._ZN9rocsparseL19gebsrmvn_1xn_kernelILj128ELj13ELj4EfEEvi20rocsparse_direction_NS_24const_host_device_scalarIT2_EEPKiS6_PKS3_S8_S4_PS3_21rocsparse_index_base_b,"axG",@progbits,_ZN9rocsparseL19gebsrmvn_1xn_kernelILj128ELj13ELj4EfEEvi20rocsparse_direction_NS_24const_host_device_scalarIT2_EEPKiS6_PKS3_S8_S4_PS3_21rocsparse_index_base_b,comdat
.Lfunc_end55:
	.size	_ZN9rocsparseL19gebsrmvn_1xn_kernelILj128ELj13ELj4EfEEvi20rocsparse_direction_NS_24const_host_device_scalarIT2_EEPKiS6_PKS3_S8_S4_PS3_21rocsparse_index_base_b, .Lfunc_end55-_ZN9rocsparseL19gebsrmvn_1xn_kernelILj128ELj13ELj4EfEEvi20rocsparse_direction_NS_24const_host_device_scalarIT2_EEPKiS6_PKS3_S8_S4_PS3_21rocsparse_index_base_b
                                        ; -- End function
	.set _ZN9rocsparseL19gebsrmvn_1xn_kernelILj128ELj13ELj4EfEEvi20rocsparse_direction_NS_24const_host_device_scalarIT2_EEPKiS6_PKS3_S8_S4_PS3_21rocsparse_index_base_b.num_vgpr, 42
	.set _ZN9rocsparseL19gebsrmvn_1xn_kernelILj128ELj13ELj4EfEEvi20rocsparse_direction_NS_24const_host_device_scalarIT2_EEPKiS6_PKS3_S8_S4_PS3_21rocsparse_index_base_b.num_agpr, 0
	.set _ZN9rocsparseL19gebsrmvn_1xn_kernelILj128ELj13ELj4EfEEvi20rocsparse_direction_NS_24const_host_device_scalarIT2_EEPKiS6_PKS3_S8_S4_PS3_21rocsparse_index_base_b.numbered_sgpr, 14
	.set _ZN9rocsparseL19gebsrmvn_1xn_kernelILj128ELj13ELj4EfEEvi20rocsparse_direction_NS_24const_host_device_scalarIT2_EEPKiS6_PKS3_S8_S4_PS3_21rocsparse_index_base_b.num_named_barrier, 0
	.set _ZN9rocsparseL19gebsrmvn_1xn_kernelILj128ELj13ELj4EfEEvi20rocsparse_direction_NS_24const_host_device_scalarIT2_EEPKiS6_PKS3_S8_S4_PS3_21rocsparse_index_base_b.private_seg_size, 0
	.set _ZN9rocsparseL19gebsrmvn_1xn_kernelILj128ELj13ELj4EfEEvi20rocsparse_direction_NS_24const_host_device_scalarIT2_EEPKiS6_PKS3_S8_S4_PS3_21rocsparse_index_base_b.uses_vcc, 1
	.set _ZN9rocsparseL19gebsrmvn_1xn_kernelILj128ELj13ELj4EfEEvi20rocsparse_direction_NS_24const_host_device_scalarIT2_EEPKiS6_PKS3_S8_S4_PS3_21rocsparse_index_base_b.uses_flat_scratch, 0
	.set _ZN9rocsparseL19gebsrmvn_1xn_kernelILj128ELj13ELj4EfEEvi20rocsparse_direction_NS_24const_host_device_scalarIT2_EEPKiS6_PKS3_S8_S4_PS3_21rocsparse_index_base_b.has_dyn_sized_stack, 0
	.set _ZN9rocsparseL19gebsrmvn_1xn_kernelILj128ELj13ELj4EfEEvi20rocsparse_direction_NS_24const_host_device_scalarIT2_EEPKiS6_PKS3_S8_S4_PS3_21rocsparse_index_base_b.has_recursion, 0
	.set _ZN9rocsparseL19gebsrmvn_1xn_kernelILj128ELj13ELj4EfEEvi20rocsparse_direction_NS_24const_host_device_scalarIT2_EEPKiS6_PKS3_S8_S4_PS3_21rocsparse_index_base_b.has_indirect_call, 0
	.section	.AMDGPU.csdata,"",@progbits
; Kernel info:
; codeLenInByte = 1608
; TotalNumSgprs: 16
; NumVgprs: 42
; ScratchSize: 0
; MemoryBound: 0
; FloatMode: 240
; IeeeMode: 1
; LDSByteSize: 0 bytes/workgroup (compile time only)
; SGPRBlocks: 0
; VGPRBlocks: 5
; NumSGPRsForWavesPerEU: 16
; NumVGPRsForWavesPerEU: 42
; Occupancy: 16
; WaveLimiterHint : 1
; COMPUTE_PGM_RSRC2:SCRATCH_EN: 0
; COMPUTE_PGM_RSRC2:USER_SGPR: 6
; COMPUTE_PGM_RSRC2:TRAP_HANDLER: 0
; COMPUTE_PGM_RSRC2:TGID_X_EN: 1
; COMPUTE_PGM_RSRC2:TGID_Y_EN: 0
; COMPUTE_PGM_RSRC2:TGID_Z_EN: 0
; COMPUTE_PGM_RSRC2:TIDIG_COMP_CNT: 0
	.section	.text._ZN9rocsparseL19gebsrmvn_1xn_kernelILj128ELj13ELj8EfEEvi20rocsparse_direction_NS_24const_host_device_scalarIT2_EEPKiS6_PKS3_S8_S4_PS3_21rocsparse_index_base_b,"axG",@progbits,_ZN9rocsparseL19gebsrmvn_1xn_kernelILj128ELj13ELj8EfEEvi20rocsparse_direction_NS_24const_host_device_scalarIT2_EEPKiS6_PKS3_S8_S4_PS3_21rocsparse_index_base_b,comdat
	.globl	_ZN9rocsparseL19gebsrmvn_1xn_kernelILj128ELj13ELj8EfEEvi20rocsparse_direction_NS_24const_host_device_scalarIT2_EEPKiS6_PKS3_S8_S4_PS3_21rocsparse_index_base_b ; -- Begin function _ZN9rocsparseL19gebsrmvn_1xn_kernelILj128ELj13ELj8EfEEvi20rocsparse_direction_NS_24const_host_device_scalarIT2_EEPKiS6_PKS3_S8_S4_PS3_21rocsparse_index_base_b
	.p2align	8
	.type	_ZN9rocsparseL19gebsrmvn_1xn_kernelILj128ELj13ELj8EfEEvi20rocsparse_direction_NS_24const_host_device_scalarIT2_EEPKiS6_PKS3_S8_S4_PS3_21rocsparse_index_base_b,@function
_ZN9rocsparseL19gebsrmvn_1xn_kernelILj128ELj13ELj8EfEEvi20rocsparse_direction_NS_24const_host_device_scalarIT2_EEPKiS6_PKS3_S8_S4_PS3_21rocsparse_index_base_b: ; @_ZN9rocsparseL19gebsrmvn_1xn_kernelILj128ELj13ELj8EfEEvi20rocsparse_direction_NS_24const_host_device_scalarIT2_EEPKiS6_PKS3_S8_S4_PS3_21rocsparse_index_base_b
; %bb.0:
	s_clause 0x2
	s_load_dwordx2 s[12:13], s[4:5], 0x40
	s_load_dwordx2 s[10:11], s[4:5], 0x8
	;; [unrolled: 1-line block ×3, first 2 shown]
	s_waitcnt lgkmcnt(0)
	s_bitcmp1_b32 s13, 0
	s_cselect_b32 s0, -1, 0
	s_and_b32 vcc_lo, exec_lo, s0
	s_xor_b32 s0, s0, -1
	s_cbranch_vccnz .LBB56_2
; %bb.1:
	s_load_dword s10, s[10:11], 0x0
.LBB56_2:
	s_andn2_b32 vcc_lo, exec_lo, s0
	s_cbranch_vccnz .LBB56_4
; %bb.3:
	s_load_dword s8, s[8:9], 0x0
.LBB56_4:
	s_waitcnt lgkmcnt(0)
	v_cmp_eq_f32_e64 s0, s10, 0
	v_cmp_eq_f32_e64 s1, s8, 1.0
	s_and_b32 s0, s0, s1
	s_and_b32 vcc_lo, exec_lo, s0
	s_cbranch_vccnz .LBB56_15
; %bb.5:
	s_load_dword s0, s[4:5], 0x0
	v_lshrrev_b32_e32 v1, 3, v0
	v_lshl_or_b32 v1, s6, 4, v1
	s_waitcnt lgkmcnt(0)
	v_cmp_gt_i32_e32 vcc_lo, s0, v1
	s_and_saveexec_b32 s0, vcc_lo
	s_cbranch_execz .LBB56_15
; %bb.6:
	s_clause 0x1
	s_load_dwordx2 s[0:1], s[4:5], 0x10
	s_load_dwordx2 s[6:7], s[4:5], 0x38
	v_ashrrev_i32_e32 v2, 31, v1
	v_and_b32_e32 v0, 7, v0
	v_mov_b32_e32 v9, 0
	s_mov_b32 s9, exec_lo
	v_lshlrev_b64 v[1:2], 2, v[1:2]
	v_subrev_nc_u32_e32 v5, s12, v0
	s_waitcnt lgkmcnt(0)
	v_add_co_u32 v3, vcc_lo, s0, v1
	v_add_co_ci_u32_e64 v4, null, s1, v2, vcc_lo
	global_load_dwordx2 v[3:4], v[3:4], off
	s_waitcnt vmcnt(0)
	v_subrev_nc_u32_e32 v10, s12, v4
	v_add_nc_u32_e32 v3, v3, v5
	v_cmpx_lt_i32_e64 v3, v10
	s_cbranch_execz .LBB56_10
; %bb.7:
	s_clause 0x1
	s_load_dwordx4 s[0:3], s[4:5], 0x18
	s_load_dwordx2 s[4:5], s[4:5], 0x28
	v_mad_u64_u32 v[5:6], null, v3, 13, 12
	v_mov_b32_e32 v8, 0
	v_mov_b32_e32 v9, 0
	s_mov_b32 s11, 0
.LBB56_8:                               ; =>This Inner Loop Header: Depth=1
	v_ashrrev_i32_e32 v4, 31, v3
	v_mov_b32_e32 v12, v8
	v_lshlrev_b64 v[6:7], 2, v[3:4]
	v_add_nc_u32_e32 v3, 8, v3
	s_waitcnt lgkmcnt(0)
	v_add_co_u32 v6, vcc_lo, s0, v6
	v_add_co_ci_u32_e64 v7, null, s1, v7, vcc_lo
	global_load_dword v4, v[6:7], off
	v_add_nc_u32_e32 v7, -12, v5
	v_mov_b32_e32 v6, v8
	v_lshlrev_b64 v[13:14], 2, v[7:8]
	v_add_nc_u32_e32 v7, -11, v5
	v_lshlrev_b64 v[15:16], 2, v[5:6]
	v_lshlrev_b64 v[6:7], 2, v[7:8]
	v_add_co_u32 v13, vcc_lo, s2, v13
	v_add_co_ci_u32_e64 v14, null, s3, v14, vcc_lo
	v_add_co_u32 v15, vcc_lo, s2, v15
	v_add_co_ci_u32_e64 v16, null, s3, v16, vcc_lo
	;; [unrolled: 2-line block ×3, first 2 shown]
	s_clause 0x1
	global_load_dword v21, v[13:14], off
	global_load_dword v22, v[6:7], off
	s_waitcnt vmcnt(2)
	v_subrev_nc_u32_e32 v4, s12, v4
	v_mul_lo_u32 v11, v4, 13
	v_add_nc_u32_e32 v7, 1, v11
	v_lshlrev_b64 v[12:13], 2, v[11:12]
	v_lshlrev_b64 v[17:18], 2, v[7:8]
	v_add_nc_u32_e32 v7, -10, v5
	v_add_co_u32 v12, vcc_lo, s4, v12
	v_add_co_ci_u32_e64 v13, null, s5, v13, vcc_lo
	v_add_co_u32 v17, vcc_lo, s4, v17
	v_lshlrev_b64 v[19:20], 2, v[7:8]
	v_add_nc_u32_e32 v7, 2, v11
	v_add_co_ci_u32_e64 v18, null, s5, v18, vcc_lo
	s_clause 0x1
	global_load_dword v4, v[12:13], off
	global_load_dword v23, v[17:18], off
	v_lshlrev_b64 v[12:13], 2, v[7:8]
	v_add_nc_u32_e32 v7, -9, v5
	v_add_co_u32 v17, vcc_lo, s2, v19
	v_add_co_ci_u32_e64 v18, null, s3, v20, vcc_lo
	v_add_co_u32 v12, vcc_lo, s4, v12
	v_lshlrev_b64 v[19:20], 2, v[7:8]
	v_add_co_ci_u32_e64 v13, null, s5, v13, vcc_lo
	v_add_nc_u32_e32 v7, 3, v11
	global_load_dword v24, v[17:18], off
	global_load_dword v25, v[12:13], off
	v_add_co_u32 v12, vcc_lo, s2, v19
	v_add_co_ci_u32_e64 v13, null, s3, v20, vcc_lo
	global_load_dword v26, v[12:13], off
	v_lshlrev_b64 v[17:18], 2, v[7:8]
	v_add_nc_u32_e32 v7, -8, v5
	v_lshlrev_b64 v[19:20], 2, v[7:8]
	v_add_nc_u32_e32 v7, 4, v11
	v_add_co_u32 v17, vcc_lo, s4, v17
	v_add_co_ci_u32_e64 v18, null, s5, v18, vcc_lo
	v_lshlrev_b64 v[12:13], 2, v[7:8]
	v_add_nc_u32_e32 v7, -7, v5
	global_load_dword v27, v[17:18], off
	v_add_co_u32 v17, vcc_lo, s2, v19
	v_add_co_ci_u32_e64 v18, null, s3, v20, vcc_lo
	v_add_co_u32 v12, vcc_lo, s4, v12
	v_lshlrev_b64 v[19:20], 2, v[7:8]
	v_add_co_ci_u32_e64 v13, null, s5, v13, vcc_lo
	v_add_nc_u32_e32 v7, 5, v11
	global_load_dword v28, v[17:18], off
	global_load_dword v29, v[12:13], off
	v_add_co_u32 v12, vcc_lo, s2, v19
	v_add_co_ci_u32_e64 v13, null, s3, v20, vcc_lo
	global_load_dword v30, v[12:13], off
	v_lshlrev_b64 v[17:18], 2, v[7:8]
	v_add_nc_u32_e32 v7, -6, v5
	v_lshlrev_b64 v[19:20], 2, v[7:8]
	v_add_nc_u32_e32 v7, 6, v11
	v_add_co_u32 v17, vcc_lo, s4, v17
	v_add_co_ci_u32_e64 v18, null, s5, v18, vcc_lo
	v_lshlrev_b64 v[12:13], 2, v[7:8]
	v_add_nc_u32_e32 v7, -5, v5
	global_load_dword v31, v[17:18], off
	;; [unrolled: 20-line block ×3, first 2 shown]
	v_add_co_u32 v17, vcc_lo, s2, v19
	v_add_co_ci_u32_e64 v18, null, s3, v20, vcc_lo
	v_add_co_u32 v12, vcc_lo, s4, v12
	v_lshlrev_b64 v[19:20], 2, v[7:8]
	v_add_co_ci_u32_e64 v13, null, s5, v13, vcc_lo
	v_add_nc_u32_e32 v7, 9, v11
	global_load_dword v36, v[17:18], off
	global_load_dword v37, v[12:13], off
	v_add_co_u32 v12, vcc_lo, s2, v19
	v_add_co_ci_u32_e64 v13, null, s3, v20, vcc_lo
	global_load_dword v38, v[12:13], off
	v_lshlrev_b64 v[17:18], 2, v[7:8]
	v_add_nc_u32_e32 v7, -2, v5
	v_lshlrev_b64 v[19:20], 2, v[7:8]
	v_add_nc_u32_e32 v7, 10, v11
	v_add_co_u32 v17, vcc_lo, s4, v17
	v_add_co_ci_u32_e64 v18, null, s5, v18, vcc_lo
	v_lshlrev_b64 v[12:13], 2, v[7:8]
	v_add_nc_u32_e32 v7, -1, v5
	v_add_nc_u32_e32 v5, 0x68, v5
	global_load_dword v39, v[17:18], off
	v_add_co_u32 v17, vcc_lo, s2, v19
	v_add_co_ci_u32_e64 v18, null, s3, v20, vcc_lo
	v_lshlrev_b64 v[19:20], 2, v[7:8]
	v_add_nc_u32_e32 v7, 11, v11
	v_add_co_u32 v12, vcc_lo, s4, v12
	global_load_dword v40, v[17:18], off
	v_add_co_ci_u32_e64 v13, null, s5, v13, vcc_lo
	v_lshlrev_b64 v[17:18], 2, v[7:8]
	v_add_nc_u32_e32 v7, 12, v11
	v_add_co_u32 v11, vcc_lo, s2, v19
	global_load_dword v41, v[12:13], off
	v_add_co_ci_u32_e64 v12, null, s3, v20, vcc_lo
	v_lshlrev_b64 v[6:7], 2, v[7:8]
	v_add_co_u32 v13, vcc_lo, s4, v17
	v_add_co_ci_u32_e64 v14, null, s5, v18, vcc_lo
	global_load_dword v11, v[11:12], off
	global_load_dword v12, v[13:14], off
	v_add_co_u32 v6, vcc_lo, s4, v6
	v_add_co_ci_u32_e64 v7, null, s5, v7, vcc_lo
	global_load_dword v13, v[15:16], off
	global_load_dword v6, v[6:7], off
	v_cmp_ge_i32_e32 vcc_lo, v3, v10
	s_or_b32 s11, vcc_lo, s11
	s_waitcnt vmcnt(23)
	v_fmac_f32_e32 v9, v21, v4
	s_waitcnt vmcnt(22)
	v_fmac_f32_e32 v9, v22, v23
	;; [unrolled: 2-line block ×13, first 2 shown]
	s_andn2_b32 exec_lo, exec_lo, s11
	s_cbranch_execnz .LBB56_8
; %bb.9:
	s_or_b32 exec_lo, exec_lo, s11
.LBB56_10:
	s_or_b32 exec_lo, exec_lo, s9
	v_mbcnt_lo_u32_b32 v3, -1, 0
	s_mov_b32 s0, -1
	v_xor_b32_e32 v4, 4, v3
	v_xor_b32_e32 v5, 2, v3
	;; [unrolled: 1-line block ×3, first 2 shown]
	v_cmp_gt_i32_e32 vcc_lo, 32, v4
	v_cndmask_b32_e32 v4, v3, v4, vcc_lo
	v_cmp_gt_i32_e32 vcc_lo, 32, v5
	v_lshlrev_b32_e32 v4, 2, v4
	v_cndmask_b32_e32 v5, v3, v5, vcc_lo
	v_cmp_gt_i32_e32 vcc_lo, 32, v6
	ds_bpermute_b32 v4, v4, v9
	v_lshlrev_b32_e32 v5, 2, v5
	v_cndmask_b32_e32 v6, v3, v6, vcc_lo
	v_cmp_eq_u32_e32 vcc_lo, 7, v0
	s_waitcnt lgkmcnt(0)
	v_add_f32_e32 v4, v9, v4
	ds_bpermute_b32 v5, v5, v4
	s_waitcnt lgkmcnt(0)
	v_add_f32_e32 v3, v4, v5
	v_lshlrev_b32_e32 v4, 2, v6
	ds_bpermute_b32 v4, v4, v3
	s_and_b32 exec_lo, exec_lo, vcc_lo
	s_cbranch_execz .LBB56_15
; %bb.11:
	s_waitcnt lgkmcnt(0)
	v_add_f32_e32 v0, v3, v4
	v_cmp_eq_f32_e64 s1, s8, 0
	v_mul_f32_e32 v0, s10, v0
	s_and_b32 vcc_lo, exec_lo, s1
	s_cbranch_vccz .LBB56_13
; %bb.12:
	v_add_co_u32 v3, vcc_lo, s6, v1
	v_add_co_ci_u32_e64 v4, null, s7, v2, vcc_lo
	s_mov_b32 s0, 0
	global_store_dword v[3:4], v0, off
.LBB56_13:
	s_andn2_b32 vcc_lo, exec_lo, s0
	s_cbranch_vccnz .LBB56_15
; %bb.14:
	v_add_co_u32 v1, vcc_lo, s6, v1
	v_add_co_ci_u32_e64 v2, null, s7, v2, vcc_lo
	global_load_dword v3, v[1:2], off
	s_waitcnt vmcnt(0)
	v_fmac_f32_e32 v0, s8, v3
	global_store_dword v[1:2], v0, off
.LBB56_15:
	s_endpgm
	.section	.rodata,"a",@progbits
	.p2align	6, 0x0
	.amdhsa_kernel _ZN9rocsparseL19gebsrmvn_1xn_kernelILj128ELj13ELj8EfEEvi20rocsparse_direction_NS_24const_host_device_scalarIT2_EEPKiS6_PKS3_S8_S4_PS3_21rocsparse_index_base_b
		.amdhsa_group_segment_fixed_size 0
		.amdhsa_private_segment_fixed_size 0
		.amdhsa_kernarg_size 72
		.amdhsa_user_sgpr_count 6
		.amdhsa_user_sgpr_private_segment_buffer 1
		.amdhsa_user_sgpr_dispatch_ptr 0
		.amdhsa_user_sgpr_queue_ptr 0
		.amdhsa_user_sgpr_kernarg_segment_ptr 1
		.amdhsa_user_sgpr_dispatch_id 0
		.amdhsa_user_sgpr_flat_scratch_init 0
		.amdhsa_user_sgpr_private_segment_size 0
		.amdhsa_wavefront_size32 1
		.amdhsa_uses_dynamic_stack 0
		.amdhsa_system_sgpr_private_segment_wavefront_offset 0
		.amdhsa_system_sgpr_workgroup_id_x 1
		.amdhsa_system_sgpr_workgroup_id_y 0
		.amdhsa_system_sgpr_workgroup_id_z 0
		.amdhsa_system_sgpr_workgroup_info 0
		.amdhsa_system_vgpr_workitem_id 0
		.amdhsa_next_free_vgpr 42
		.amdhsa_next_free_sgpr 14
		.amdhsa_reserve_vcc 1
		.amdhsa_reserve_flat_scratch 0
		.amdhsa_float_round_mode_32 0
		.amdhsa_float_round_mode_16_64 0
		.amdhsa_float_denorm_mode_32 3
		.amdhsa_float_denorm_mode_16_64 3
		.amdhsa_dx10_clamp 1
		.amdhsa_ieee_mode 1
		.amdhsa_fp16_overflow 0
		.amdhsa_workgroup_processor_mode 1
		.amdhsa_memory_ordered 1
		.amdhsa_forward_progress 1
		.amdhsa_shared_vgpr_count 0
		.amdhsa_exception_fp_ieee_invalid_op 0
		.amdhsa_exception_fp_denorm_src 0
		.amdhsa_exception_fp_ieee_div_zero 0
		.amdhsa_exception_fp_ieee_overflow 0
		.amdhsa_exception_fp_ieee_underflow 0
		.amdhsa_exception_fp_ieee_inexact 0
		.amdhsa_exception_int_div_zero 0
	.end_amdhsa_kernel
	.section	.text._ZN9rocsparseL19gebsrmvn_1xn_kernelILj128ELj13ELj8EfEEvi20rocsparse_direction_NS_24const_host_device_scalarIT2_EEPKiS6_PKS3_S8_S4_PS3_21rocsparse_index_base_b,"axG",@progbits,_ZN9rocsparseL19gebsrmvn_1xn_kernelILj128ELj13ELj8EfEEvi20rocsparse_direction_NS_24const_host_device_scalarIT2_EEPKiS6_PKS3_S8_S4_PS3_21rocsparse_index_base_b,comdat
.Lfunc_end56:
	.size	_ZN9rocsparseL19gebsrmvn_1xn_kernelILj128ELj13ELj8EfEEvi20rocsparse_direction_NS_24const_host_device_scalarIT2_EEPKiS6_PKS3_S8_S4_PS3_21rocsparse_index_base_b, .Lfunc_end56-_ZN9rocsparseL19gebsrmvn_1xn_kernelILj128ELj13ELj8EfEEvi20rocsparse_direction_NS_24const_host_device_scalarIT2_EEPKiS6_PKS3_S8_S4_PS3_21rocsparse_index_base_b
                                        ; -- End function
	.set _ZN9rocsparseL19gebsrmvn_1xn_kernelILj128ELj13ELj8EfEEvi20rocsparse_direction_NS_24const_host_device_scalarIT2_EEPKiS6_PKS3_S8_S4_PS3_21rocsparse_index_base_b.num_vgpr, 42
	.set _ZN9rocsparseL19gebsrmvn_1xn_kernelILj128ELj13ELj8EfEEvi20rocsparse_direction_NS_24const_host_device_scalarIT2_EEPKiS6_PKS3_S8_S4_PS3_21rocsparse_index_base_b.num_agpr, 0
	.set _ZN9rocsparseL19gebsrmvn_1xn_kernelILj128ELj13ELj8EfEEvi20rocsparse_direction_NS_24const_host_device_scalarIT2_EEPKiS6_PKS3_S8_S4_PS3_21rocsparse_index_base_b.numbered_sgpr, 14
	.set _ZN9rocsparseL19gebsrmvn_1xn_kernelILj128ELj13ELj8EfEEvi20rocsparse_direction_NS_24const_host_device_scalarIT2_EEPKiS6_PKS3_S8_S4_PS3_21rocsparse_index_base_b.num_named_barrier, 0
	.set _ZN9rocsparseL19gebsrmvn_1xn_kernelILj128ELj13ELj8EfEEvi20rocsparse_direction_NS_24const_host_device_scalarIT2_EEPKiS6_PKS3_S8_S4_PS3_21rocsparse_index_base_b.private_seg_size, 0
	.set _ZN9rocsparseL19gebsrmvn_1xn_kernelILj128ELj13ELj8EfEEvi20rocsparse_direction_NS_24const_host_device_scalarIT2_EEPKiS6_PKS3_S8_S4_PS3_21rocsparse_index_base_b.uses_vcc, 1
	.set _ZN9rocsparseL19gebsrmvn_1xn_kernelILj128ELj13ELj8EfEEvi20rocsparse_direction_NS_24const_host_device_scalarIT2_EEPKiS6_PKS3_S8_S4_PS3_21rocsparse_index_base_b.uses_flat_scratch, 0
	.set _ZN9rocsparseL19gebsrmvn_1xn_kernelILj128ELj13ELj8EfEEvi20rocsparse_direction_NS_24const_host_device_scalarIT2_EEPKiS6_PKS3_S8_S4_PS3_21rocsparse_index_base_b.has_dyn_sized_stack, 0
	.set _ZN9rocsparseL19gebsrmvn_1xn_kernelILj128ELj13ELj8EfEEvi20rocsparse_direction_NS_24const_host_device_scalarIT2_EEPKiS6_PKS3_S8_S4_PS3_21rocsparse_index_base_b.has_recursion, 0
	.set _ZN9rocsparseL19gebsrmvn_1xn_kernelILj128ELj13ELj8EfEEvi20rocsparse_direction_NS_24const_host_device_scalarIT2_EEPKiS6_PKS3_S8_S4_PS3_21rocsparse_index_base_b.has_indirect_call, 0
	.section	.AMDGPU.csdata,"",@progbits
; Kernel info:
; codeLenInByte = 1644
; TotalNumSgprs: 16
; NumVgprs: 42
; ScratchSize: 0
; MemoryBound: 0
; FloatMode: 240
; IeeeMode: 1
; LDSByteSize: 0 bytes/workgroup (compile time only)
; SGPRBlocks: 0
; VGPRBlocks: 5
; NumSGPRsForWavesPerEU: 16
; NumVGPRsForWavesPerEU: 42
; Occupancy: 16
; WaveLimiterHint : 1
; COMPUTE_PGM_RSRC2:SCRATCH_EN: 0
; COMPUTE_PGM_RSRC2:USER_SGPR: 6
; COMPUTE_PGM_RSRC2:TRAP_HANDLER: 0
; COMPUTE_PGM_RSRC2:TGID_X_EN: 1
; COMPUTE_PGM_RSRC2:TGID_Y_EN: 0
; COMPUTE_PGM_RSRC2:TGID_Z_EN: 0
; COMPUTE_PGM_RSRC2:TIDIG_COMP_CNT: 0
	.section	.text._ZN9rocsparseL19gebsrmvn_1xn_kernelILj128ELj13ELj16EfEEvi20rocsparse_direction_NS_24const_host_device_scalarIT2_EEPKiS6_PKS3_S8_S4_PS3_21rocsparse_index_base_b,"axG",@progbits,_ZN9rocsparseL19gebsrmvn_1xn_kernelILj128ELj13ELj16EfEEvi20rocsparse_direction_NS_24const_host_device_scalarIT2_EEPKiS6_PKS3_S8_S4_PS3_21rocsparse_index_base_b,comdat
	.globl	_ZN9rocsparseL19gebsrmvn_1xn_kernelILj128ELj13ELj16EfEEvi20rocsparse_direction_NS_24const_host_device_scalarIT2_EEPKiS6_PKS3_S8_S4_PS3_21rocsparse_index_base_b ; -- Begin function _ZN9rocsparseL19gebsrmvn_1xn_kernelILj128ELj13ELj16EfEEvi20rocsparse_direction_NS_24const_host_device_scalarIT2_EEPKiS6_PKS3_S8_S4_PS3_21rocsparse_index_base_b
	.p2align	8
	.type	_ZN9rocsparseL19gebsrmvn_1xn_kernelILj128ELj13ELj16EfEEvi20rocsparse_direction_NS_24const_host_device_scalarIT2_EEPKiS6_PKS3_S8_S4_PS3_21rocsparse_index_base_b,@function
_ZN9rocsparseL19gebsrmvn_1xn_kernelILj128ELj13ELj16EfEEvi20rocsparse_direction_NS_24const_host_device_scalarIT2_EEPKiS6_PKS3_S8_S4_PS3_21rocsparse_index_base_b: ; @_ZN9rocsparseL19gebsrmvn_1xn_kernelILj128ELj13ELj16EfEEvi20rocsparse_direction_NS_24const_host_device_scalarIT2_EEPKiS6_PKS3_S8_S4_PS3_21rocsparse_index_base_b
; %bb.0:
	s_clause 0x2
	s_load_dwordx2 s[12:13], s[4:5], 0x40
	s_load_dwordx2 s[10:11], s[4:5], 0x8
	;; [unrolled: 1-line block ×3, first 2 shown]
	s_waitcnt lgkmcnt(0)
	s_bitcmp1_b32 s13, 0
	s_cselect_b32 s0, -1, 0
	s_and_b32 vcc_lo, exec_lo, s0
	s_xor_b32 s0, s0, -1
	s_cbranch_vccnz .LBB57_2
; %bb.1:
	s_load_dword s10, s[10:11], 0x0
.LBB57_2:
	s_andn2_b32 vcc_lo, exec_lo, s0
	s_cbranch_vccnz .LBB57_4
; %bb.3:
	s_load_dword s8, s[8:9], 0x0
.LBB57_4:
	s_waitcnt lgkmcnt(0)
	v_cmp_eq_f32_e64 s0, s10, 0
	v_cmp_eq_f32_e64 s1, s8, 1.0
	s_and_b32 s0, s0, s1
	s_and_b32 vcc_lo, exec_lo, s0
	s_cbranch_vccnz .LBB57_15
; %bb.5:
	s_load_dword s0, s[4:5], 0x0
	v_lshrrev_b32_e32 v1, 4, v0
	v_lshl_or_b32 v1, s6, 3, v1
	s_waitcnt lgkmcnt(0)
	v_cmp_gt_i32_e32 vcc_lo, s0, v1
	s_and_saveexec_b32 s0, vcc_lo
	s_cbranch_execz .LBB57_15
; %bb.6:
	s_clause 0x1
	s_load_dwordx2 s[0:1], s[4:5], 0x10
	s_load_dwordx2 s[6:7], s[4:5], 0x38
	v_ashrrev_i32_e32 v2, 31, v1
	v_and_b32_e32 v0, 15, v0
	v_mov_b32_e32 v9, 0
	s_mov_b32 s9, exec_lo
	v_lshlrev_b64 v[1:2], 2, v[1:2]
	v_subrev_nc_u32_e32 v5, s12, v0
	s_waitcnt lgkmcnt(0)
	v_add_co_u32 v3, vcc_lo, s0, v1
	v_add_co_ci_u32_e64 v4, null, s1, v2, vcc_lo
	global_load_dwordx2 v[3:4], v[3:4], off
	s_waitcnt vmcnt(0)
	v_subrev_nc_u32_e32 v10, s12, v4
	v_add_nc_u32_e32 v3, v3, v5
	v_cmpx_lt_i32_e64 v3, v10
	s_cbranch_execz .LBB57_10
; %bb.7:
	s_clause 0x1
	s_load_dwordx4 s[0:3], s[4:5], 0x18
	s_load_dwordx2 s[4:5], s[4:5], 0x28
	v_mad_u64_u32 v[5:6], null, v3, 13, 12
	v_mov_b32_e32 v8, 0
	v_mov_b32_e32 v9, 0
	s_mov_b32 s11, 0
.LBB57_8:                               ; =>This Inner Loop Header: Depth=1
	v_ashrrev_i32_e32 v4, 31, v3
	v_mov_b32_e32 v12, v8
	v_lshlrev_b64 v[6:7], 2, v[3:4]
	v_add_nc_u32_e32 v3, 16, v3
	s_waitcnt lgkmcnt(0)
	v_add_co_u32 v6, vcc_lo, s0, v6
	v_add_co_ci_u32_e64 v7, null, s1, v7, vcc_lo
	global_load_dword v4, v[6:7], off
	v_add_nc_u32_e32 v7, -12, v5
	v_mov_b32_e32 v6, v8
	v_lshlrev_b64 v[13:14], 2, v[7:8]
	v_add_nc_u32_e32 v7, -11, v5
	v_lshlrev_b64 v[15:16], 2, v[5:6]
	v_lshlrev_b64 v[6:7], 2, v[7:8]
	v_add_co_u32 v13, vcc_lo, s2, v13
	v_add_co_ci_u32_e64 v14, null, s3, v14, vcc_lo
	v_add_co_u32 v15, vcc_lo, s2, v15
	v_add_co_ci_u32_e64 v16, null, s3, v16, vcc_lo
	;; [unrolled: 2-line block ×3, first 2 shown]
	s_clause 0x1
	global_load_dword v21, v[13:14], off
	global_load_dword v22, v[6:7], off
	s_waitcnt vmcnt(2)
	v_subrev_nc_u32_e32 v4, s12, v4
	v_mul_lo_u32 v11, v4, 13
	v_add_nc_u32_e32 v7, 1, v11
	v_lshlrev_b64 v[12:13], 2, v[11:12]
	v_lshlrev_b64 v[17:18], 2, v[7:8]
	v_add_nc_u32_e32 v7, -10, v5
	v_add_co_u32 v12, vcc_lo, s4, v12
	v_add_co_ci_u32_e64 v13, null, s5, v13, vcc_lo
	v_add_co_u32 v17, vcc_lo, s4, v17
	v_lshlrev_b64 v[19:20], 2, v[7:8]
	v_add_nc_u32_e32 v7, 2, v11
	v_add_co_ci_u32_e64 v18, null, s5, v18, vcc_lo
	s_clause 0x1
	global_load_dword v4, v[12:13], off
	global_load_dword v23, v[17:18], off
	v_lshlrev_b64 v[12:13], 2, v[7:8]
	v_add_nc_u32_e32 v7, -9, v5
	v_add_co_u32 v17, vcc_lo, s2, v19
	v_add_co_ci_u32_e64 v18, null, s3, v20, vcc_lo
	v_add_co_u32 v12, vcc_lo, s4, v12
	v_lshlrev_b64 v[19:20], 2, v[7:8]
	v_add_co_ci_u32_e64 v13, null, s5, v13, vcc_lo
	v_add_nc_u32_e32 v7, 3, v11
	global_load_dword v24, v[17:18], off
	global_load_dword v25, v[12:13], off
	v_add_co_u32 v12, vcc_lo, s2, v19
	v_add_co_ci_u32_e64 v13, null, s3, v20, vcc_lo
	global_load_dword v26, v[12:13], off
	v_lshlrev_b64 v[17:18], 2, v[7:8]
	v_add_nc_u32_e32 v7, -8, v5
	v_lshlrev_b64 v[19:20], 2, v[7:8]
	v_add_nc_u32_e32 v7, 4, v11
	v_add_co_u32 v17, vcc_lo, s4, v17
	v_add_co_ci_u32_e64 v18, null, s5, v18, vcc_lo
	v_lshlrev_b64 v[12:13], 2, v[7:8]
	v_add_nc_u32_e32 v7, -7, v5
	global_load_dword v27, v[17:18], off
	v_add_co_u32 v17, vcc_lo, s2, v19
	v_add_co_ci_u32_e64 v18, null, s3, v20, vcc_lo
	v_add_co_u32 v12, vcc_lo, s4, v12
	v_lshlrev_b64 v[19:20], 2, v[7:8]
	v_add_co_ci_u32_e64 v13, null, s5, v13, vcc_lo
	v_add_nc_u32_e32 v7, 5, v11
	global_load_dword v28, v[17:18], off
	global_load_dword v29, v[12:13], off
	v_add_co_u32 v12, vcc_lo, s2, v19
	v_add_co_ci_u32_e64 v13, null, s3, v20, vcc_lo
	global_load_dword v30, v[12:13], off
	v_lshlrev_b64 v[17:18], 2, v[7:8]
	v_add_nc_u32_e32 v7, -6, v5
	v_lshlrev_b64 v[19:20], 2, v[7:8]
	v_add_nc_u32_e32 v7, 6, v11
	v_add_co_u32 v17, vcc_lo, s4, v17
	v_add_co_ci_u32_e64 v18, null, s5, v18, vcc_lo
	v_lshlrev_b64 v[12:13], 2, v[7:8]
	v_add_nc_u32_e32 v7, -5, v5
	global_load_dword v31, v[17:18], off
	v_add_co_u32 v17, vcc_lo, s2, v19
	v_add_co_ci_u32_e64 v18, null, s3, v20, vcc_lo
	v_add_co_u32 v12, vcc_lo, s4, v12
	v_lshlrev_b64 v[19:20], 2, v[7:8]
	v_add_co_ci_u32_e64 v13, null, s5, v13, vcc_lo
	v_add_nc_u32_e32 v7, 7, v11
	global_load_dword v32, v[17:18], off
	global_load_dword v33, v[12:13], off
	v_add_co_u32 v12, vcc_lo, s2, v19
	v_add_co_ci_u32_e64 v13, null, s3, v20, vcc_lo
	global_load_dword v34, v[12:13], off
	v_lshlrev_b64 v[17:18], 2, v[7:8]
	v_add_nc_u32_e32 v7, -4, v5
	v_lshlrev_b64 v[19:20], 2, v[7:8]
	v_add_nc_u32_e32 v7, 8, v11
	v_add_co_u32 v17, vcc_lo, s4, v17
	v_add_co_ci_u32_e64 v18, null, s5, v18, vcc_lo
	v_lshlrev_b64 v[12:13], 2, v[7:8]
	v_add_nc_u32_e32 v7, -3, v5
	global_load_dword v35, v[17:18], off
	v_add_co_u32 v17, vcc_lo, s2, v19
	v_add_co_ci_u32_e64 v18, null, s3, v20, vcc_lo
	v_add_co_u32 v12, vcc_lo, s4, v12
	v_lshlrev_b64 v[19:20], 2, v[7:8]
	v_add_co_ci_u32_e64 v13, null, s5, v13, vcc_lo
	v_add_nc_u32_e32 v7, 9, v11
	global_load_dword v36, v[17:18], off
	global_load_dword v37, v[12:13], off
	v_add_co_u32 v12, vcc_lo, s2, v19
	v_add_co_ci_u32_e64 v13, null, s3, v20, vcc_lo
	global_load_dword v38, v[12:13], off
	v_lshlrev_b64 v[17:18], 2, v[7:8]
	v_add_nc_u32_e32 v7, -2, v5
	v_lshlrev_b64 v[19:20], 2, v[7:8]
	v_add_nc_u32_e32 v7, 10, v11
	v_add_co_u32 v17, vcc_lo, s4, v17
	v_add_co_ci_u32_e64 v18, null, s5, v18, vcc_lo
	v_lshlrev_b64 v[12:13], 2, v[7:8]
	v_add_nc_u32_e32 v7, -1, v5
	v_add_nc_u32_e32 v5, 0xd0, v5
	global_load_dword v39, v[17:18], off
	v_add_co_u32 v17, vcc_lo, s2, v19
	v_add_co_ci_u32_e64 v18, null, s3, v20, vcc_lo
	v_lshlrev_b64 v[19:20], 2, v[7:8]
	v_add_nc_u32_e32 v7, 11, v11
	v_add_co_u32 v12, vcc_lo, s4, v12
	global_load_dword v40, v[17:18], off
	v_add_co_ci_u32_e64 v13, null, s5, v13, vcc_lo
	v_lshlrev_b64 v[17:18], 2, v[7:8]
	v_add_nc_u32_e32 v7, 12, v11
	v_add_co_u32 v11, vcc_lo, s2, v19
	global_load_dword v41, v[12:13], off
	v_add_co_ci_u32_e64 v12, null, s3, v20, vcc_lo
	v_lshlrev_b64 v[6:7], 2, v[7:8]
	v_add_co_u32 v13, vcc_lo, s4, v17
	v_add_co_ci_u32_e64 v14, null, s5, v18, vcc_lo
	global_load_dword v11, v[11:12], off
	global_load_dword v12, v[13:14], off
	v_add_co_u32 v6, vcc_lo, s4, v6
	v_add_co_ci_u32_e64 v7, null, s5, v7, vcc_lo
	global_load_dword v13, v[15:16], off
	global_load_dword v6, v[6:7], off
	v_cmp_ge_i32_e32 vcc_lo, v3, v10
	s_or_b32 s11, vcc_lo, s11
	s_waitcnt vmcnt(23)
	v_fmac_f32_e32 v9, v21, v4
	s_waitcnt vmcnt(22)
	v_fmac_f32_e32 v9, v22, v23
	s_waitcnt vmcnt(20)
	v_fmac_f32_e32 v9, v24, v25
	s_waitcnt vmcnt(18)
	v_fmac_f32_e32 v9, v26, v27
	s_waitcnt vmcnt(16)
	v_fmac_f32_e32 v9, v28, v29
	s_waitcnt vmcnt(14)
	v_fmac_f32_e32 v9, v30, v31
	s_waitcnt vmcnt(12)
	v_fmac_f32_e32 v9, v32, v33
	s_waitcnt vmcnt(10)
	v_fmac_f32_e32 v9, v34, v35
	s_waitcnt vmcnt(8)
	v_fmac_f32_e32 v9, v36, v37
	s_waitcnt vmcnt(6)
	v_fmac_f32_e32 v9, v38, v39
	s_waitcnt vmcnt(4)
	v_fmac_f32_e32 v9, v40, v41
	s_waitcnt vmcnt(2)
	v_fmac_f32_e32 v9, v11, v12
	s_waitcnt vmcnt(0)
	v_fmac_f32_e32 v9, v13, v6
	s_andn2_b32 exec_lo, exec_lo, s11
	s_cbranch_execnz .LBB57_8
; %bb.9:
	s_or_b32 exec_lo, exec_lo, s11
.LBB57_10:
	s_or_b32 exec_lo, exec_lo, s9
	v_mbcnt_lo_u32_b32 v3, -1, 0
	s_mov_b32 s0, -1
	v_xor_b32_e32 v4, 8, v3
	v_xor_b32_e32 v5, 4, v3
	;; [unrolled: 1-line block ×3, first 2 shown]
	v_cmp_gt_i32_e32 vcc_lo, 32, v4
	v_cndmask_b32_e32 v4, v3, v4, vcc_lo
	v_cmp_gt_i32_e32 vcc_lo, 32, v5
	v_lshlrev_b32_e32 v4, 2, v4
	v_cndmask_b32_e32 v5, v3, v5, vcc_lo
	v_cmp_gt_i32_e32 vcc_lo, 32, v6
	ds_bpermute_b32 v4, v4, v9
	v_lshlrev_b32_e32 v5, 2, v5
	v_cndmask_b32_e32 v6, v3, v6, vcc_lo
	v_lshlrev_b32_e32 v6, 2, v6
	s_waitcnt lgkmcnt(0)
	v_add_f32_e32 v4, v9, v4
	ds_bpermute_b32 v5, v5, v4
	s_waitcnt lgkmcnt(0)
	v_add_f32_e32 v4, v4, v5
	ds_bpermute_b32 v5, v6, v4
	v_xor_b32_e32 v6, 1, v3
	v_cmp_gt_i32_e32 vcc_lo, 32, v6
	v_cndmask_b32_e32 v6, v3, v6, vcc_lo
	v_cmp_eq_u32_e32 vcc_lo, 15, v0
	s_waitcnt lgkmcnt(0)
	v_add_f32_e32 v3, v4, v5
	v_lshlrev_b32_e32 v4, 2, v6
	ds_bpermute_b32 v4, v4, v3
	s_and_b32 exec_lo, exec_lo, vcc_lo
	s_cbranch_execz .LBB57_15
; %bb.11:
	s_waitcnt lgkmcnt(0)
	v_add_f32_e32 v0, v3, v4
	v_cmp_eq_f32_e64 s1, s8, 0
	v_mul_f32_e32 v0, s10, v0
	s_and_b32 vcc_lo, exec_lo, s1
	s_cbranch_vccz .LBB57_13
; %bb.12:
	v_add_co_u32 v3, vcc_lo, s6, v1
	v_add_co_ci_u32_e64 v4, null, s7, v2, vcc_lo
	s_mov_b32 s0, 0
	global_store_dword v[3:4], v0, off
.LBB57_13:
	s_andn2_b32 vcc_lo, exec_lo, s0
	s_cbranch_vccnz .LBB57_15
; %bb.14:
	v_add_co_u32 v1, vcc_lo, s6, v1
	v_add_co_ci_u32_e64 v2, null, s7, v2, vcc_lo
	global_load_dword v3, v[1:2], off
	s_waitcnt vmcnt(0)
	v_fmac_f32_e32 v0, s8, v3
	global_store_dword v[1:2], v0, off
.LBB57_15:
	s_endpgm
	.section	.rodata,"a",@progbits
	.p2align	6, 0x0
	.amdhsa_kernel _ZN9rocsparseL19gebsrmvn_1xn_kernelILj128ELj13ELj16EfEEvi20rocsparse_direction_NS_24const_host_device_scalarIT2_EEPKiS6_PKS3_S8_S4_PS3_21rocsparse_index_base_b
		.amdhsa_group_segment_fixed_size 0
		.amdhsa_private_segment_fixed_size 0
		.amdhsa_kernarg_size 72
		.amdhsa_user_sgpr_count 6
		.amdhsa_user_sgpr_private_segment_buffer 1
		.amdhsa_user_sgpr_dispatch_ptr 0
		.amdhsa_user_sgpr_queue_ptr 0
		.amdhsa_user_sgpr_kernarg_segment_ptr 1
		.amdhsa_user_sgpr_dispatch_id 0
		.amdhsa_user_sgpr_flat_scratch_init 0
		.amdhsa_user_sgpr_private_segment_size 0
		.amdhsa_wavefront_size32 1
		.amdhsa_uses_dynamic_stack 0
		.amdhsa_system_sgpr_private_segment_wavefront_offset 0
		.amdhsa_system_sgpr_workgroup_id_x 1
		.amdhsa_system_sgpr_workgroup_id_y 0
		.amdhsa_system_sgpr_workgroup_id_z 0
		.amdhsa_system_sgpr_workgroup_info 0
		.amdhsa_system_vgpr_workitem_id 0
		.amdhsa_next_free_vgpr 42
		.amdhsa_next_free_sgpr 14
		.amdhsa_reserve_vcc 1
		.amdhsa_reserve_flat_scratch 0
		.amdhsa_float_round_mode_32 0
		.amdhsa_float_round_mode_16_64 0
		.amdhsa_float_denorm_mode_32 3
		.amdhsa_float_denorm_mode_16_64 3
		.amdhsa_dx10_clamp 1
		.amdhsa_ieee_mode 1
		.amdhsa_fp16_overflow 0
		.amdhsa_workgroup_processor_mode 1
		.amdhsa_memory_ordered 1
		.amdhsa_forward_progress 1
		.amdhsa_shared_vgpr_count 0
		.amdhsa_exception_fp_ieee_invalid_op 0
		.amdhsa_exception_fp_denorm_src 0
		.amdhsa_exception_fp_ieee_div_zero 0
		.amdhsa_exception_fp_ieee_overflow 0
		.amdhsa_exception_fp_ieee_underflow 0
		.amdhsa_exception_fp_ieee_inexact 0
		.amdhsa_exception_int_div_zero 0
	.end_amdhsa_kernel
	.section	.text._ZN9rocsparseL19gebsrmvn_1xn_kernelILj128ELj13ELj16EfEEvi20rocsparse_direction_NS_24const_host_device_scalarIT2_EEPKiS6_PKS3_S8_S4_PS3_21rocsparse_index_base_b,"axG",@progbits,_ZN9rocsparseL19gebsrmvn_1xn_kernelILj128ELj13ELj16EfEEvi20rocsparse_direction_NS_24const_host_device_scalarIT2_EEPKiS6_PKS3_S8_S4_PS3_21rocsparse_index_base_b,comdat
.Lfunc_end57:
	.size	_ZN9rocsparseL19gebsrmvn_1xn_kernelILj128ELj13ELj16EfEEvi20rocsparse_direction_NS_24const_host_device_scalarIT2_EEPKiS6_PKS3_S8_S4_PS3_21rocsparse_index_base_b, .Lfunc_end57-_ZN9rocsparseL19gebsrmvn_1xn_kernelILj128ELj13ELj16EfEEvi20rocsparse_direction_NS_24const_host_device_scalarIT2_EEPKiS6_PKS3_S8_S4_PS3_21rocsparse_index_base_b
                                        ; -- End function
	.set _ZN9rocsparseL19gebsrmvn_1xn_kernelILj128ELj13ELj16EfEEvi20rocsparse_direction_NS_24const_host_device_scalarIT2_EEPKiS6_PKS3_S8_S4_PS3_21rocsparse_index_base_b.num_vgpr, 42
	.set _ZN9rocsparseL19gebsrmvn_1xn_kernelILj128ELj13ELj16EfEEvi20rocsparse_direction_NS_24const_host_device_scalarIT2_EEPKiS6_PKS3_S8_S4_PS3_21rocsparse_index_base_b.num_agpr, 0
	.set _ZN9rocsparseL19gebsrmvn_1xn_kernelILj128ELj13ELj16EfEEvi20rocsparse_direction_NS_24const_host_device_scalarIT2_EEPKiS6_PKS3_S8_S4_PS3_21rocsparse_index_base_b.numbered_sgpr, 14
	.set _ZN9rocsparseL19gebsrmvn_1xn_kernelILj128ELj13ELj16EfEEvi20rocsparse_direction_NS_24const_host_device_scalarIT2_EEPKiS6_PKS3_S8_S4_PS3_21rocsparse_index_base_b.num_named_barrier, 0
	.set _ZN9rocsparseL19gebsrmvn_1xn_kernelILj128ELj13ELj16EfEEvi20rocsparse_direction_NS_24const_host_device_scalarIT2_EEPKiS6_PKS3_S8_S4_PS3_21rocsparse_index_base_b.private_seg_size, 0
	.set _ZN9rocsparseL19gebsrmvn_1xn_kernelILj128ELj13ELj16EfEEvi20rocsparse_direction_NS_24const_host_device_scalarIT2_EEPKiS6_PKS3_S8_S4_PS3_21rocsparse_index_base_b.uses_vcc, 1
	.set _ZN9rocsparseL19gebsrmvn_1xn_kernelILj128ELj13ELj16EfEEvi20rocsparse_direction_NS_24const_host_device_scalarIT2_EEPKiS6_PKS3_S8_S4_PS3_21rocsparse_index_base_b.uses_flat_scratch, 0
	.set _ZN9rocsparseL19gebsrmvn_1xn_kernelILj128ELj13ELj16EfEEvi20rocsparse_direction_NS_24const_host_device_scalarIT2_EEPKiS6_PKS3_S8_S4_PS3_21rocsparse_index_base_b.has_dyn_sized_stack, 0
	.set _ZN9rocsparseL19gebsrmvn_1xn_kernelILj128ELj13ELj16EfEEvi20rocsparse_direction_NS_24const_host_device_scalarIT2_EEPKiS6_PKS3_S8_S4_PS3_21rocsparse_index_base_b.has_recursion, 0
	.set _ZN9rocsparseL19gebsrmvn_1xn_kernelILj128ELj13ELj16EfEEvi20rocsparse_direction_NS_24const_host_device_scalarIT2_EEPKiS6_PKS3_S8_S4_PS3_21rocsparse_index_base_b.has_indirect_call, 0
	.section	.AMDGPU.csdata,"",@progbits
; Kernel info:
; codeLenInByte = 1676
; TotalNumSgprs: 16
; NumVgprs: 42
; ScratchSize: 0
; MemoryBound: 0
; FloatMode: 240
; IeeeMode: 1
; LDSByteSize: 0 bytes/workgroup (compile time only)
; SGPRBlocks: 0
; VGPRBlocks: 5
; NumSGPRsForWavesPerEU: 16
; NumVGPRsForWavesPerEU: 42
; Occupancy: 16
; WaveLimiterHint : 1
; COMPUTE_PGM_RSRC2:SCRATCH_EN: 0
; COMPUTE_PGM_RSRC2:USER_SGPR: 6
; COMPUTE_PGM_RSRC2:TRAP_HANDLER: 0
; COMPUTE_PGM_RSRC2:TGID_X_EN: 1
; COMPUTE_PGM_RSRC2:TGID_Y_EN: 0
; COMPUTE_PGM_RSRC2:TGID_Z_EN: 0
; COMPUTE_PGM_RSRC2:TIDIG_COMP_CNT: 0
	.section	.text._ZN9rocsparseL19gebsrmvn_1xn_kernelILj128ELj13ELj32EfEEvi20rocsparse_direction_NS_24const_host_device_scalarIT2_EEPKiS6_PKS3_S8_S4_PS3_21rocsparse_index_base_b,"axG",@progbits,_ZN9rocsparseL19gebsrmvn_1xn_kernelILj128ELj13ELj32EfEEvi20rocsparse_direction_NS_24const_host_device_scalarIT2_EEPKiS6_PKS3_S8_S4_PS3_21rocsparse_index_base_b,comdat
	.globl	_ZN9rocsparseL19gebsrmvn_1xn_kernelILj128ELj13ELj32EfEEvi20rocsparse_direction_NS_24const_host_device_scalarIT2_EEPKiS6_PKS3_S8_S4_PS3_21rocsparse_index_base_b ; -- Begin function _ZN9rocsparseL19gebsrmvn_1xn_kernelILj128ELj13ELj32EfEEvi20rocsparse_direction_NS_24const_host_device_scalarIT2_EEPKiS6_PKS3_S8_S4_PS3_21rocsparse_index_base_b
	.p2align	8
	.type	_ZN9rocsparseL19gebsrmvn_1xn_kernelILj128ELj13ELj32EfEEvi20rocsparse_direction_NS_24const_host_device_scalarIT2_EEPKiS6_PKS3_S8_S4_PS3_21rocsparse_index_base_b,@function
_ZN9rocsparseL19gebsrmvn_1xn_kernelILj128ELj13ELj32EfEEvi20rocsparse_direction_NS_24const_host_device_scalarIT2_EEPKiS6_PKS3_S8_S4_PS3_21rocsparse_index_base_b: ; @_ZN9rocsparseL19gebsrmvn_1xn_kernelILj128ELj13ELj32EfEEvi20rocsparse_direction_NS_24const_host_device_scalarIT2_EEPKiS6_PKS3_S8_S4_PS3_21rocsparse_index_base_b
; %bb.0:
	s_clause 0x2
	s_load_dwordx2 s[12:13], s[4:5], 0x40
	s_load_dwordx2 s[10:11], s[4:5], 0x8
	;; [unrolled: 1-line block ×3, first 2 shown]
	s_waitcnt lgkmcnt(0)
	s_bitcmp1_b32 s13, 0
	s_cselect_b32 s0, -1, 0
	s_and_b32 vcc_lo, exec_lo, s0
	s_xor_b32 s0, s0, -1
	s_cbranch_vccnz .LBB58_2
; %bb.1:
	s_load_dword s10, s[10:11], 0x0
.LBB58_2:
	s_andn2_b32 vcc_lo, exec_lo, s0
	s_cbranch_vccnz .LBB58_4
; %bb.3:
	s_load_dword s8, s[8:9], 0x0
.LBB58_4:
	s_waitcnt lgkmcnt(0)
	v_cmp_eq_f32_e64 s0, s10, 0
	v_cmp_eq_f32_e64 s1, s8, 1.0
	s_and_b32 s0, s0, s1
	s_and_b32 vcc_lo, exec_lo, s0
	s_cbranch_vccnz .LBB58_15
; %bb.5:
	s_load_dword s0, s[4:5], 0x0
	v_lshrrev_b32_e32 v1, 5, v0
	v_lshl_or_b32 v1, s6, 2, v1
	s_waitcnt lgkmcnt(0)
	v_cmp_gt_i32_e32 vcc_lo, s0, v1
	s_and_saveexec_b32 s0, vcc_lo
	s_cbranch_execz .LBB58_15
; %bb.6:
	s_clause 0x1
	s_load_dwordx2 s[0:1], s[4:5], 0x10
	s_load_dwordx2 s[6:7], s[4:5], 0x38
	v_ashrrev_i32_e32 v2, 31, v1
	v_and_b32_e32 v0, 31, v0
	v_mov_b32_e32 v9, 0
	s_mov_b32 s9, exec_lo
	v_lshlrev_b64 v[1:2], 2, v[1:2]
	v_subrev_nc_u32_e32 v5, s12, v0
	s_waitcnt lgkmcnt(0)
	v_add_co_u32 v3, vcc_lo, s0, v1
	v_add_co_ci_u32_e64 v4, null, s1, v2, vcc_lo
	global_load_dwordx2 v[3:4], v[3:4], off
	s_waitcnt vmcnt(0)
	v_subrev_nc_u32_e32 v10, s12, v4
	v_add_nc_u32_e32 v3, v3, v5
	v_cmpx_lt_i32_e64 v3, v10
	s_cbranch_execz .LBB58_10
; %bb.7:
	s_clause 0x1
	s_load_dwordx4 s[0:3], s[4:5], 0x18
	s_load_dwordx2 s[4:5], s[4:5], 0x28
	v_mad_u64_u32 v[5:6], null, v3, 13, 12
	v_mov_b32_e32 v8, 0
	v_mov_b32_e32 v9, 0
	s_mov_b32 s11, 0
.LBB58_8:                               ; =>This Inner Loop Header: Depth=1
	v_ashrrev_i32_e32 v4, 31, v3
	v_mov_b32_e32 v12, v8
	v_lshlrev_b64 v[6:7], 2, v[3:4]
	v_add_nc_u32_e32 v3, 32, v3
	s_waitcnt lgkmcnt(0)
	v_add_co_u32 v6, vcc_lo, s0, v6
	v_add_co_ci_u32_e64 v7, null, s1, v7, vcc_lo
	global_load_dword v4, v[6:7], off
	v_add_nc_u32_e32 v7, -12, v5
	v_mov_b32_e32 v6, v8
	v_lshlrev_b64 v[13:14], 2, v[7:8]
	v_add_nc_u32_e32 v7, -11, v5
	v_lshlrev_b64 v[15:16], 2, v[5:6]
	v_lshlrev_b64 v[6:7], 2, v[7:8]
	v_add_co_u32 v13, vcc_lo, s2, v13
	v_add_co_ci_u32_e64 v14, null, s3, v14, vcc_lo
	v_add_co_u32 v15, vcc_lo, s2, v15
	v_add_co_ci_u32_e64 v16, null, s3, v16, vcc_lo
	;; [unrolled: 2-line block ×3, first 2 shown]
	s_clause 0x1
	global_load_dword v21, v[13:14], off
	global_load_dword v22, v[6:7], off
	s_waitcnt vmcnt(2)
	v_subrev_nc_u32_e32 v4, s12, v4
	v_mul_lo_u32 v11, v4, 13
	v_add_nc_u32_e32 v7, 1, v11
	v_lshlrev_b64 v[12:13], 2, v[11:12]
	v_lshlrev_b64 v[17:18], 2, v[7:8]
	v_add_nc_u32_e32 v7, -10, v5
	v_add_co_u32 v12, vcc_lo, s4, v12
	v_add_co_ci_u32_e64 v13, null, s5, v13, vcc_lo
	v_add_co_u32 v17, vcc_lo, s4, v17
	v_lshlrev_b64 v[19:20], 2, v[7:8]
	v_add_nc_u32_e32 v7, 2, v11
	v_add_co_ci_u32_e64 v18, null, s5, v18, vcc_lo
	s_clause 0x1
	global_load_dword v4, v[12:13], off
	global_load_dword v23, v[17:18], off
	v_lshlrev_b64 v[12:13], 2, v[7:8]
	v_add_nc_u32_e32 v7, -9, v5
	v_add_co_u32 v17, vcc_lo, s2, v19
	v_add_co_ci_u32_e64 v18, null, s3, v20, vcc_lo
	v_add_co_u32 v12, vcc_lo, s4, v12
	v_lshlrev_b64 v[19:20], 2, v[7:8]
	v_add_co_ci_u32_e64 v13, null, s5, v13, vcc_lo
	v_add_nc_u32_e32 v7, 3, v11
	global_load_dword v24, v[17:18], off
	global_load_dword v25, v[12:13], off
	v_add_co_u32 v12, vcc_lo, s2, v19
	v_add_co_ci_u32_e64 v13, null, s3, v20, vcc_lo
	global_load_dword v26, v[12:13], off
	v_lshlrev_b64 v[17:18], 2, v[7:8]
	v_add_nc_u32_e32 v7, -8, v5
	v_lshlrev_b64 v[19:20], 2, v[7:8]
	v_add_nc_u32_e32 v7, 4, v11
	v_add_co_u32 v17, vcc_lo, s4, v17
	v_add_co_ci_u32_e64 v18, null, s5, v18, vcc_lo
	v_lshlrev_b64 v[12:13], 2, v[7:8]
	v_add_nc_u32_e32 v7, -7, v5
	global_load_dword v27, v[17:18], off
	v_add_co_u32 v17, vcc_lo, s2, v19
	v_add_co_ci_u32_e64 v18, null, s3, v20, vcc_lo
	v_add_co_u32 v12, vcc_lo, s4, v12
	v_lshlrev_b64 v[19:20], 2, v[7:8]
	v_add_co_ci_u32_e64 v13, null, s5, v13, vcc_lo
	v_add_nc_u32_e32 v7, 5, v11
	global_load_dword v28, v[17:18], off
	global_load_dword v29, v[12:13], off
	v_add_co_u32 v12, vcc_lo, s2, v19
	v_add_co_ci_u32_e64 v13, null, s3, v20, vcc_lo
	global_load_dword v30, v[12:13], off
	v_lshlrev_b64 v[17:18], 2, v[7:8]
	v_add_nc_u32_e32 v7, -6, v5
	v_lshlrev_b64 v[19:20], 2, v[7:8]
	v_add_nc_u32_e32 v7, 6, v11
	v_add_co_u32 v17, vcc_lo, s4, v17
	v_add_co_ci_u32_e64 v18, null, s5, v18, vcc_lo
	v_lshlrev_b64 v[12:13], 2, v[7:8]
	v_add_nc_u32_e32 v7, -5, v5
	global_load_dword v31, v[17:18], off
	;; [unrolled: 20-line block ×3, first 2 shown]
	v_add_co_u32 v17, vcc_lo, s2, v19
	v_add_co_ci_u32_e64 v18, null, s3, v20, vcc_lo
	v_add_co_u32 v12, vcc_lo, s4, v12
	v_lshlrev_b64 v[19:20], 2, v[7:8]
	v_add_co_ci_u32_e64 v13, null, s5, v13, vcc_lo
	v_add_nc_u32_e32 v7, 9, v11
	global_load_dword v36, v[17:18], off
	global_load_dword v37, v[12:13], off
	v_add_co_u32 v12, vcc_lo, s2, v19
	v_add_co_ci_u32_e64 v13, null, s3, v20, vcc_lo
	global_load_dword v38, v[12:13], off
	v_lshlrev_b64 v[17:18], 2, v[7:8]
	v_add_nc_u32_e32 v7, -2, v5
	v_lshlrev_b64 v[19:20], 2, v[7:8]
	v_add_nc_u32_e32 v7, 10, v11
	v_add_co_u32 v17, vcc_lo, s4, v17
	v_add_co_ci_u32_e64 v18, null, s5, v18, vcc_lo
	v_lshlrev_b64 v[12:13], 2, v[7:8]
	v_add_nc_u32_e32 v7, -1, v5
	v_add_nc_u32_e32 v5, 0x1a0, v5
	global_load_dword v39, v[17:18], off
	v_add_co_u32 v17, vcc_lo, s2, v19
	v_add_co_ci_u32_e64 v18, null, s3, v20, vcc_lo
	v_lshlrev_b64 v[19:20], 2, v[7:8]
	v_add_nc_u32_e32 v7, 11, v11
	v_add_co_u32 v12, vcc_lo, s4, v12
	global_load_dword v40, v[17:18], off
	v_add_co_ci_u32_e64 v13, null, s5, v13, vcc_lo
	v_lshlrev_b64 v[17:18], 2, v[7:8]
	v_add_nc_u32_e32 v7, 12, v11
	v_add_co_u32 v11, vcc_lo, s2, v19
	global_load_dword v41, v[12:13], off
	v_add_co_ci_u32_e64 v12, null, s3, v20, vcc_lo
	v_lshlrev_b64 v[6:7], 2, v[7:8]
	v_add_co_u32 v13, vcc_lo, s4, v17
	v_add_co_ci_u32_e64 v14, null, s5, v18, vcc_lo
	global_load_dword v11, v[11:12], off
	global_load_dword v12, v[13:14], off
	v_add_co_u32 v6, vcc_lo, s4, v6
	v_add_co_ci_u32_e64 v7, null, s5, v7, vcc_lo
	global_load_dword v13, v[15:16], off
	global_load_dword v6, v[6:7], off
	v_cmp_ge_i32_e32 vcc_lo, v3, v10
	s_or_b32 s11, vcc_lo, s11
	s_waitcnt vmcnt(23)
	v_fmac_f32_e32 v9, v21, v4
	s_waitcnt vmcnt(22)
	v_fmac_f32_e32 v9, v22, v23
	;; [unrolled: 2-line block ×13, first 2 shown]
	s_andn2_b32 exec_lo, exec_lo, s11
	s_cbranch_execnz .LBB58_8
; %bb.9:
	s_or_b32 exec_lo, exec_lo, s11
.LBB58_10:
	s_or_b32 exec_lo, exec_lo, s9
	v_mbcnt_lo_u32_b32 v3, -1, 0
	s_mov_b32 s0, -1
	v_xor_b32_e32 v4, 16, v3
	v_xor_b32_e32 v5, 8, v3
	v_xor_b32_e32 v6, 4, v3
	v_cmp_gt_i32_e32 vcc_lo, 32, v4
	v_cndmask_b32_e32 v4, v3, v4, vcc_lo
	v_cmp_gt_i32_e32 vcc_lo, 32, v5
	v_lshlrev_b32_e32 v4, 2, v4
	v_cndmask_b32_e32 v5, v3, v5, vcc_lo
	v_cmp_gt_i32_e32 vcc_lo, 32, v6
	ds_bpermute_b32 v4, v4, v9
	v_lshlrev_b32_e32 v5, 2, v5
	v_cndmask_b32_e32 v6, v3, v6, vcc_lo
	v_lshlrev_b32_e32 v6, 2, v6
	s_waitcnt lgkmcnt(0)
	v_add_f32_e32 v4, v9, v4
	ds_bpermute_b32 v5, v5, v4
	s_waitcnt lgkmcnt(0)
	v_add_f32_e32 v4, v4, v5
	ds_bpermute_b32 v5, v6, v4
	v_xor_b32_e32 v6, 2, v3
	v_cmp_gt_i32_e32 vcc_lo, 32, v6
	v_cndmask_b32_e32 v6, v3, v6, vcc_lo
	v_lshlrev_b32_e32 v6, 2, v6
	s_waitcnt lgkmcnt(0)
	v_add_f32_e32 v4, v4, v5
	ds_bpermute_b32 v5, v6, v4
	v_xor_b32_e32 v6, 1, v3
	v_cmp_gt_i32_e32 vcc_lo, 32, v6
	v_cndmask_b32_e32 v6, v3, v6, vcc_lo
	v_cmp_eq_u32_e32 vcc_lo, 31, v0
	s_waitcnt lgkmcnt(0)
	v_add_f32_e32 v3, v4, v5
	v_lshlrev_b32_e32 v4, 2, v6
	ds_bpermute_b32 v4, v4, v3
	s_and_b32 exec_lo, exec_lo, vcc_lo
	s_cbranch_execz .LBB58_15
; %bb.11:
	s_waitcnt lgkmcnt(0)
	v_add_f32_e32 v0, v3, v4
	v_cmp_eq_f32_e64 s1, s8, 0
	v_mul_f32_e32 v0, s10, v0
	s_and_b32 vcc_lo, exec_lo, s1
	s_cbranch_vccz .LBB58_13
; %bb.12:
	v_add_co_u32 v3, vcc_lo, s6, v1
	v_add_co_ci_u32_e64 v4, null, s7, v2, vcc_lo
	s_mov_b32 s0, 0
	global_store_dword v[3:4], v0, off
.LBB58_13:
	s_andn2_b32 vcc_lo, exec_lo, s0
	s_cbranch_vccnz .LBB58_15
; %bb.14:
	v_add_co_u32 v1, vcc_lo, s6, v1
	v_add_co_ci_u32_e64 v2, null, s7, v2, vcc_lo
	global_load_dword v3, v[1:2], off
	s_waitcnt vmcnt(0)
	v_fmac_f32_e32 v0, s8, v3
	global_store_dword v[1:2], v0, off
.LBB58_15:
	s_endpgm
	.section	.rodata,"a",@progbits
	.p2align	6, 0x0
	.amdhsa_kernel _ZN9rocsparseL19gebsrmvn_1xn_kernelILj128ELj13ELj32EfEEvi20rocsparse_direction_NS_24const_host_device_scalarIT2_EEPKiS6_PKS3_S8_S4_PS3_21rocsparse_index_base_b
		.amdhsa_group_segment_fixed_size 0
		.amdhsa_private_segment_fixed_size 0
		.amdhsa_kernarg_size 72
		.amdhsa_user_sgpr_count 6
		.amdhsa_user_sgpr_private_segment_buffer 1
		.amdhsa_user_sgpr_dispatch_ptr 0
		.amdhsa_user_sgpr_queue_ptr 0
		.amdhsa_user_sgpr_kernarg_segment_ptr 1
		.amdhsa_user_sgpr_dispatch_id 0
		.amdhsa_user_sgpr_flat_scratch_init 0
		.amdhsa_user_sgpr_private_segment_size 0
		.amdhsa_wavefront_size32 1
		.amdhsa_uses_dynamic_stack 0
		.amdhsa_system_sgpr_private_segment_wavefront_offset 0
		.amdhsa_system_sgpr_workgroup_id_x 1
		.amdhsa_system_sgpr_workgroup_id_y 0
		.amdhsa_system_sgpr_workgroup_id_z 0
		.amdhsa_system_sgpr_workgroup_info 0
		.amdhsa_system_vgpr_workitem_id 0
		.amdhsa_next_free_vgpr 42
		.amdhsa_next_free_sgpr 14
		.amdhsa_reserve_vcc 1
		.amdhsa_reserve_flat_scratch 0
		.amdhsa_float_round_mode_32 0
		.amdhsa_float_round_mode_16_64 0
		.amdhsa_float_denorm_mode_32 3
		.amdhsa_float_denorm_mode_16_64 3
		.amdhsa_dx10_clamp 1
		.amdhsa_ieee_mode 1
		.amdhsa_fp16_overflow 0
		.amdhsa_workgroup_processor_mode 1
		.amdhsa_memory_ordered 1
		.amdhsa_forward_progress 1
		.amdhsa_shared_vgpr_count 0
		.amdhsa_exception_fp_ieee_invalid_op 0
		.amdhsa_exception_fp_denorm_src 0
		.amdhsa_exception_fp_ieee_div_zero 0
		.amdhsa_exception_fp_ieee_overflow 0
		.amdhsa_exception_fp_ieee_underflow 0
		.amdhsa_exception_fp_ieee_inexact 0
		.amdhsa_exception_int_div_zero 0
	.end_amdhsa_kernel
	.section	.text._ZN9rocsparseL19gebsrmvn_1xn_kernelILj128ELj13ELj32EfEEvi20rocsparse_direction_NS_24const_host_device_scalarIT2_EEPKiS6_PKS3_S8_S4_PS3_21rocsparse_index_base_b,"axG",@progbits,_ZN9rocsparseL19gebsrmvn_1xn_kernelILj128ELj13ELj32EfEEvi20rocsparse_direction_NS_24const_host_device_scalarIT2_EEPKiS6_PKS3_S8_S4_PS3_21rocsparse_index_base_b,comdat
.Lfunc_end58:
	.size	_ZN9rocsparseL19gebsrmvn_1xn_kernelILj128ELj13ELj32EfEEvi20rocsparse_direction_NS_24const_host_device_scalarIT2_EEPKiS6_PKS3_S8_S4_PS3_21rocsparse_index_base_b, .Lfunc_end58-_ZN9rocsparseL19gebsrmvn_1xn_kernelILj128ELj13ELj32EfEEvi20rocsparse_direction_NS_24const_host_device_scalarIT2_EEPKiS6_PKS3_S8_S4_PS3_21rocsparse_index_base_b
                                        ; -- End function
	.set _ZN9rocsparseL19gebsrmvn_1xn_kernelILj128ELj13ELj32EfEEvi20rocsparse_direction_NS_24const_host_device_scalarIT2_EEPKiS6_PKS3_S8_S4_PS3_21rocsparse_index_base_b.num_vgpr, 42
	.set _ZN9rocsparseL19gebsrmvn_1xn_kernelILj128ELj13ELj32EfEEvi20rocsparse_direction_NS_24const_host_device_scalarIT2_EEPKiS6_PKS3_S8_S4_PS3_21rocsparse_index_base_b.num_agpr, 0
	.set _ZN9rocsparseL19gebsrmvn_1xn_kernelILj128ELj13ELj32EfEEvi20rocsparse_direction_NS_24const_host_device_scalarIT2_EEPKiS6_PKS3_S8_S4_PS3_21rocsparse_index_base_b.numbered_sgpr, 14
	.set _ZN9rocsparseL19gebsrmvn_1xn_kernelILj128ELj13ELj32EfEEvi20rocsparse_direction_NS_24const_host_device_scalarIT2_EEPKiS6_PKS3_S8_S4_PS3_21rocsparse_index_base_b.num_named_barrier, 0
	.set _ZN9rocsparseL19gebsrmvn_1xn_kernelILj128ELj13ELj32EfEEvi20rocsparse_direction_NS_24const_host_device_scalarIT2_EEPKiS6_PKS3_S8_S4_PS3_21rocsparse_index_base_b.private_seg_size, 0
	.set _ZN9rocsparseL19gebsrmvn_1xn_kernelILj128ELj13ELj32EfEEvi20rocsparse_direction_NS_24const_host_device_scalarIT2_EEPKiS6_PKS3_S8_S4_PS3_21rocsparse_index_base_b.uses_vcc, 1
	.set _ZN9rocsparseL19gebsrmvn_1xn_kernelILj128ELj13ELj32EfEEvi20rocsparse_direction_NS_24const_host_device_scalarIT2_EEPKiS6_PKS3_S8_S4_PS3_21rocsparse_index_base_b.uses_flat_scratch, 0
	.set _ZN9rocsparseL19gebsrmvn_1xn_kernelILj128ELj13ELj32EfEEvi20rocsparse_direction_NS_24const_host_device_scalarIT2_EEPKiS6_PKS3_S8_S4_PS3_21rocsparse_index_base_b.has_dyn_sized_stack, 0
	.set _ZN9rocsparseL19gebsrmvn_1xn_kernelILj128ELj13ELj32EfEEvi20rocsparse_direction_NS_24const_host_device_scalarIT2_EEPKiS6_PKS3_S8_S4_PS3_21rocsparse_index_base_b.has_recursion, 0
	.set _ZN9rocsparseL19gebsrmvn_1xn_kernelILj128ELj13ELj32EfEEvi20rocsparse_direction_NS_24const_host_device_scalarIT2_EEPKiS6_PKS3_S8_S4_PS3_21rocsparse_index_base_b.has_indirect_call, 0
	.section	.AMDGPU.csdata,"",@progbits
; Kernel info:
; codeLenInByte = 1708
; TotalNumSgprs: 16
; NumVgprs: 42
; ScratchSize: 0
; MemoryBound: 0
; FloatMode: 240
; IeeeMode: 1
; LDSByteSize: 0 bytes/workgroup (compile time only)
; SGPRBlocks: 0
; VGPRBlocks: 5
; NumSGPRsForWavesPerEU: 16
; NumVGPRsForWavesPerEU: 42
; Occupancy: 16
; WaveLimiterHint : 1
; COMPUTE_PGM_RSRC2:SCRATCH_EN: 0
; COMPUTE_PGM_RSRC2:USER_SGPR: 6
; COMPUTE_PGM_RSRC2:TRAP_HANDLER: 0
; COMPUTE_PGM_RSRC2:TGID_X_EN: 1
; COMPUTE_PGM_RSRC2:TGID_Y_EN: 0
; COMPUTE_PGM_RSRC2:TGID_Z_EN: 0
; COMPUTE_PGM_RSRC2:TIDIG_COMP_CNT: 0
	.section	.text._ZN9rocsparseL19gebsrmvn_1xn_kernelILj128ELj13ELj64EfEEvi20rocsparse_direction_NS_24const_host_device_scalarIT2_EEPKiS6_PKS3_S8_S4_PS3_21rocsparse_index_base_b,"axG",@progbits,_ZN9rocsparseL19gebsrmvn_1xn_kernelILj128ELj13ELj64EfEEvi20rocsparse_direction_NS_24const_host_device_scalarIT2_EEPKiS6_PKS3_S8_S4_PS3_21rocsparse_index_base_b,comdat
	.globl	_ZN9rocsparseL19gebsrmvn_1xn_kernelILj128ELj13ELj64EfEEvi20rocsparse_direction_NS_24const_host_device_scalarIT2_EEPKiS6_PKS3_S8_S4_PS3_21rocsparse_index_base_b ; -- Begin function _ZN9rocsparseL19gebsrmvn_1xn_kernelILj128ELj13ELj64EfEEvi20rocsparse_direction_NS_24const_host_device_scalarIT2_EEPKiS6_PKS3_S8_S4_PS3_21rocsparse_index_base_b
	.p2align	8
	.type	_ZN9rocsparseL19gebsrmvn_1xn_kernelILj128ELj13ELj64EfEEvi20rocsparse_direction_NS_24const_host_device_scalarIT2_EEPKiS6_PKS3_S8_S4_PS3_21rocsparse_index_base_b,@function
_ZN9rocsparseL19gebsrmvn_1xn_kernelILj128ELj13ELj64EfEEvi20rocsparse_direction_NS_24const_host_device_scalarIT2_EEPKiS6_PKS3_S8_S4_PS3_21rocsparse_index_base_b: ; @_ZN9rocsparseL19gebsrmvn_1xn_kernelILj128ELj13ELj64EfEEvi20rocsparse_direction_NS_24const_host_device_scalarIT2_EEPKiS6_PKS3_S8_S4_PS3_21rocsparse_index_base_b
; %bb.0:
	s_clause 0x2
	s_load_dwordx2 s[12:13], s[4:5], 0x40
	s_load_dwordx2 s[10:11], s[4:5], 0x8
	;; [unrolled: 1-line block ×3, first 2 shown]
	s_waitcnt lgkmcnt(0)
	s_bitcmp1_b32 s13, 0
	s_cselect_b32 s0, -1, 0
	s_and_b32 vcc_lo, exec_lo, s0
	s_xor_b32 s0, s0, -1
	s_cbranch_vccnz .LBB59_2
; %bb.1:
	s_load_dword s10, s[10:11], 0x0
.LBB59_2:
	s_andn2_b32 vcc_lo, exec_lo, s0
	s_cbranch_vccnz .LBB59_4
; %bb.3:
	s_load_dword s8, s[8:9], 0x0
.LBB59_4:
	s_waitcnt lgkmcnt(0)
	v_cmp_eq_f32_e64 s0, s10, 0
	v_cmp_eq_f32_e64 s1, s8, 1.0
	s_and_b32 s0, s0, s1
	s_and_b32 vcc_lo, exec_lo, s0
	s_cbranch_vccnz .LBB59_15
; %bb.5:
	s_load_dword s0, s[4:5], 0x0
	v_lshrrev_b32_e32 v1, 6, v0
	v_lshl_or_b32 v1, s6, 1, v1
	s_waitcnt lgkmcnt(0)
	v_cmp_gt_i32_e32 vcc_lo, s0, v1
	s_and_saveexec_b32 s0, vcc_lo
	s_cbranch_execz .LBB59_15
; %bb.6:
	s_clause 0x1
	s_load_dwordx2 s[0:1], s[4:5], 0x10
	s_load_dwordx2 s[6:7], s[4:5], 0x38
	v_ashrrev_i32_e32 v2, 31, v1
	v_and_b32_e32 v0, 63, v0
	v_mov_b32_e32 v9, 0
	s_mov_b32 s9, exec_lo
	v_lshlrev_b64 v[1:2], 2, v[1:2]
	v_subrev_nc_u32_e32 v5, s12, v0
	s_waitcnt lgkmcnt(0)
	v_add_co_u32 v3, vcc_lo, s0, v1
	v_add_co_ci_u32_e64 v4, null, s1, v2, vcc_lo
	global_load_dwordx2 v[3:4], v[3:4], off
	s_waitcnt vmcnt(0)
	v_subrev_nc_u32_e32 v10, s12, v4
	v_add_nc_u32_e32 v3, v3, v5
	v_cmpx_lt_i32_e64 v3, v10
	s_cbranch_execz .LBB59_10
; %bb.7:
	s_clause 0x1
	s_load_dwordx4 s[0:3], s[4:5], 0x18
	s_load_dwordx2 s[4:5], s[4:5], 0x28
	v_mad_u64_u32 v[5:6], null, v3, 13, 12
	v_mov_b32_e32 v8, 0
	v_mov_b32_e32 v9, 0
	s_mov_b32 s11, 0
.LBB59_8:                               ; =>This Inner Loop Header: Depth=1
	v_ashrrev_i32_e32 v4, 31, v3
	v_mov_b32_e32 v12, v8
	v_lshlrev_b64 v[6:7], 2, v[3:4]
	v_add_nc_u32_e32 v3, 64, v3
	s_waitcnt lgkmcnt(0)
	v_add_co_u32 v6, vcc_lo, s0, v6
	v_add_co_ci_u32_e64 v7, null, s1, v7, vcc_lo
	global_load_dword v4, v[6:7], off
	v_add_nc_u32_e32 v7, -12, v5
	v_mov_b32_e32 v6, v8
	v_lshlrev_b64 v[13:14], 2, v[7:8]
	v_add_nc_u32_e32 v7, -11, v5
	v_lshlrev_b64 v[15:16], 2, v[5:6]
	v_lshlrev_b64 v[6:7], 2, v[7:8]
	v_add_co_u32 v13, vcc_lo, s2, v13
	v_add_co_ci_u32_e64 v14, null, s3, v14, vcc_lo
	v_add_co_u32 v15, vcc_lo, s2, v15
	v_add_co_ci_u32_e64 v16, null, s3, v16, vcc_lo
	;; [unrolled: 2-line block ×3, first 2 shown]
	s_clause 0x1
	global_load_dword v21, v[13:14], off
	global_load_dword v22, v[6:7], off
	s_waitcnt vmcnt(2)
	v_subrev_nc_u32_e32 v4, s12, v4
	v_mul_lo_u32 v11, v4, 13
	v_add_nc_u32_e32 v7, 1, v11
	v_lshlrev_b64 v[12:13], 2, v[11:12]
	v_lshlrev_b64 v[17:18], 2, v[7:8]
	v_add_nc_u32_e32 v7, -10, v5
	v_add_co_u32 v12, vcc_lo, s4, v12
	v_add_co_ci_u32_e64 v13, null, s5, v13, vcc_lo
	v_add_co_u32 v17, vcc_lo, s4, v17
	v_lshlrev_b64 v[19:20], 2, v[7:8]
	v_add_nc_u32_e32 v7, 2, v11
	v_add_co_ci_u32_e64 v18, null, s5, v18, vcc_lo
	s_clause 0x1
	global_load_dword v4, v[12:13], off
	global_load_dword v23, v[17:18], off
	v_lshlrev_b64 v[12:13], 2, v[7:8]
	v_add_nc_u32_e32 v7, -9, v5
	v_add_co_u32 v17, vcc_lo, s2, v19
	v_add_co_ci_u32_e64 v18, null, s3, v20, vcc_lo
	v_add_co_u32 v12, vcc_lo, s4, v12
	v_lshlrev_b64 v[19:20], 2, v[7:8]
	v_add_co_ci_u32_e64 v13, null, s5, v13, vcc_lo
	v_add_nc_u32_e32 v7, 3, v11
	global_load_dword v24, v[17:18], off
	global_load_dword v25, v[12:13], off
	v_add_co_u32 v12, vcc_lo, s2, v19
	v_add_co_ci_u32_e64 v13, null, s3, v20, vcc_lo
	global_load_dword v26, v[12:13], off
	v_lshlrev_b64 v[17:18], 2, v[7:8]
	v_add_nc_u32_e32 v7, -8, v5
	v_lshlrev_b64 v[19:20], 2, v[7:8]
	v_add_nc_u32_e32 v7, 4, v11
	v_add_co_u32 v17, vcc_lo, s4, v17
	v_add_co_ci_u32_e64 v18, null, s5, v18, vcc_lo
	v_lshlrev_b64 v[12:13], 2, v[7:8]
	v_add_nc_u32_e32 v7, -7, v5
	global_load_dword v27, v[17:18], off
	v_add_co_u32 v17, vcc_lo, s2, v19
	v_add_co_ci_u32_e64 v18, null, s3, v20, vcc_lo
	v_add_co_u32 v12, vcc_lo, s4, v12
	v_lshlrev_b64 v[19:20], 2, v[7:8]
	v_add_co_ci_u32_e64 v13, null, s5, v13, vcc_lo
	v_add_nc_u32_e32 v7, 5, v11
	global_load_dword v28, v[17:18], off
	global_load_dword v29, v[12:13], off
	v_add_co_u32 v12, vcc_lo, s2, v19
	v_add_co_ci_u32_e64 v13, null, s3, v20, vcc_lo
	global_load_dword v30, v[12:13], off
	v_lshlrev_b64 v[17:18], 2, v[7:8]
	v_add_nc_u32_e32 v7, -6, v5
	v_lshlrev_b64 v[19:20], 2, v[7:8]
	v_add_nc_u32_e32 v7, 6, v11
	v_add_co_u32 v17, vcc_lo, s4, v17
	v_add_co_ci_u32_e64 v18, null, s5, v18, vcc_lo
	v_lshlrev_b64 v[12:13], 2, v[7:8]
	v_add_nc_u32_e32 v7, -5, v5
	global_load_dword v31, v[17:18], off
	;; [unrolled: 20-line block ×3, first 2 shown]
	v_add_co_u32 v17, vcc_lo, s2, v19
	v_add_co_ci_u32_e64 v18, null, s3, v20, vcc_lo
	v_add_co_u32 v12, vcc_lo, s4, v12
	v_lshlrev_b64 v[19:20], 2, v[7:8]
	v_add_co_ci_u32_e64 v13, null, s5, v13, vcc_lo
	v_add_nc_u32_e32 v7, 9, v11
	global_load_dword v36, v[17:18], off
	global_load_dword v37, v[12:13], off
	v_add_co_u32 v12, vcc_lo, s2, v19
	v_add_co_ci_u32_e64 v13, null, s3, v20, vcc_lo
	global_load_dword v38, v[12:13], off
	v_lshlrev_b64 v[17:18], 2, v[7:8]
	v_add_nc_u32_e32 v7, -2, v5
	v_lshlrev_b64 v[19:20], 2, v[7:8]
	v_add_nc_u32_e32 v7, 10, v11
	v_add_co_u32 v17, vcc_lo, s4, v17
	v_add_co_ci_u32_e64 v18, null, s5, v18, vcc_lo
	v_lshlrev_b64 v[12:13], 2, v[7:8]
	v_add_nc_u32_e32 v7, -1, v5
	v_add_nc_u32_e32 v5, 0x340, v5
	global_load_dword v39, v[17:18], off
	v_add_co_u32 v17, vcc_lo, s2, v19
	v_add_co_ci_u32_e64 v18, null, s3, v20, vcc_lo
	v_lshlrev_b64 v[19:20], 2, v[7:8]
	v_add_nc_u32_e32 v7, 11, v11
	v_add_co_u32 v12, vcc_lo, s4, v12
	global_load_dword v40, v[17:18], off
	v_add_co_ci_u32_e64 v13, null, s5, v13, vcc_lo
	v_lshlrev_b64 v[17:18], 2, v[7:8]
	v_add_nc_u32_e32 v7, 12, v11
	v_add_co_u32 v11, vcc_lo, s2, v19
	global_load_dword v41, v[12:13], off
	v_add_co_ci_u32_e64 v12, null, s3, v20, vcc_lo
	v_lshlrev_b64 v[6:7], 2, v[7:8]
	v_add_co_u32 v13, vcc_lo, s4, v17
	v_add_co_ci_u32_e64 v14, null, s5, v18, vcc_lo
	global_load_dword v11, v[11:12], off
	global_load_dword v12, v[13:14], off
	v_add_co_u32 v6, vcc_lo, s4, v6
	v_add_co_ci_u32_e64 v7, null, s5, v7, vcc_lo
	global_load_dword v13, v[15:16], off
	global_load_dword v6, v[6:7], off
	v_cmp_ge_i32_e32 vcc_lo, v3, v10
	s_or_b32 s11, vcc_lo, s11
	s_waitcnt vmcnt(23)
	v_fmac_f32_e32 v9, v21, v4
	s_waitcnt vmcnt(22)
	v_fmac_f32_e32 v9, v22, v23
	;; [unrolled: 2-line block ×13, first 2 shown]
	s_andn2_b32 exec_lo, exec_lo, s11
	s_cbranch_execnz .LBB59_8
; %bb.9:
	s_or_b32 exec_lo, exec_lo, s11
.LBB59_10:
	s_or_b32 exec_lo, exec_lo, s9
	v_mbcnt_lo_u32_b32 v3, -1, 0
	s_mov_b32 s0, -1
	v_or_b32_e32 v4, 32, v3
	v_xor_b32_e32 v5, 16, v3
	v_xor_b32_e32 v6, 8, v3
	v_cmp_gt_i32_e32 vcc_lo, 32, v4
	v_cndmask_b32_e32 v4, v3, v4, vcc_lo
	v_cmp_gt_i32_e32 vcc_lo, 32, v5
	v_lshlrev_b32_e32 v4, 2, v4
	v_cndmask_b32_e32 v5, v3, v5, vcc_lo
	v_cmp_gt_i32_e32 vcc_lo, 32, v6
	ds_bpermute_b32 v4, v4, v9
	v_lshlrev_b32_e32 v5, 2, v5
	v_cndmask_b32_e32 v6, v3, v6, vcc_lo
	v_lshlrev_b32_e32 v6, 2, v6
	s_waitcnt lgkmcnt(0)
	v_add_f32_e32 v4, v9, v4
	ds_bpermute_b32 v5, v5, v4
	s_waitcnt lgkmcnt(0)
	v_add_f32_e32 v4, v4, v5
	ds_bpermute_b32 v5, v6, v4
	v_xor_b32_e32 v6, 4, v3
	v_cmp_gt_i32_e32 vcc_lo, 32, v6
	v_cndmask_b32_e32 v6, v3, v6, vcc_lo
	v_lshlrev_b32_e32 v6, 2, v6
	s_waitcnt lgkmcnt(0)
	v_add_f32_e32 v4, v4, v5
	ds_bpermute_b32 v5, v6, v4
	v_xor_b32_e32 v6, 2, v3
	v_cmp_gt_i32_e32 vcc_lo, 32, v6
	v_cndmask_b32_e32 v6, v3, v6, vcc_lo
	v_lshlrev_b32_e32 v6, 2, v6
	s_waitcnt lgkmcnt(0)
	v_add_f32_e32 v4, v4, v5
	ds_bpermute_b32 v5, v6, v4
	v_xor_b32_e32 v6, 1, v3
	v_cmp_gt_i32_e32 vcc_lo, 32, v6
	v_cndmask_b32_e32 v6, v3, v6, vcc_lo
	v_cmp_eq_u32_e32 vcc_lo, 63, v0
	s_waitcnt lgkmcnt(0)
	v_add_f32_e32 v3, v4, v5
	v_lshlrev_b32_e32 v4, 2, v6
	ds_bpermute_b32 v4, v4, v3
	s_and_b32 exec_lo, exec_lo, vcc_lo
	s_cbranch_execz .LBB59_15
; %bb.11:
	s_waitcnt lgkmcnt(0)
	v_add_f32_e32 v0, v3, v4
	v_cmp_eq_f32_e64 s1, s8, 0
	v_mul_f32_e32 v0, s10, v0
	s_and_b32 vcc_lo, exec_lo, s1
	s_cbranch_vccz .LBB59_13
; %bb.12:
	v_add_co_u32 v3, vcc_lo, s6, v1
	v_add_co_ci_u32_e64 v4, null, s7, v2, vcc_lo
	s_mov_b32 s0, 0
	global_store_dword v[3:4], v0, off
.LBB59_13:
	s_andn2_b32 vcc_lo, exec_lo, s0
	s_cbranch_vccnz .LBB59_15
; %bb.14:
	v_add_co_u32 v1, vcc_lo, s6, v1
	v_add_co_ci_u32_e64 v2, null, s7, v2, vcc_lo
	global_load_dword v3, v[1:2], off
	s_waitcnt vmcnt(0)
	v_fmac_f32_e32 v0, s8, v3
	global_store_dword v[1:2], v0, off
.LBB59_15:
	s_endpgm
	.section	.rodata,"a",@progbits
	.p2align	6, 0x0
	.amdhsa_kernel _ZN9rocsparseL19gebsrmvn_1xn_kernelILj128ELj13ELj64EfEEvi20rocsparse_direction_NS_24const_host_device_scalarIT2_EEPKiS6_PKS3_S8_S4_PS3_21rocsparse_index_base_b
		.amdhsa_group_segment_fixed_size 0
		.amdhsa_private_segment_fixed_size 0
		.amdhsa_kernarg_size 72
		.amdhsa_user_sgpr_count 6
		.amdhsa_user_sgpr_private_segment_buffer 1
		.amdhsa_user_sgpr_dispatch_ptr 0
		.amdhsa_user_sgpr_queue_ptr 0
		.amdhsa_user_sgpr_kernarg_segment_ptr 1
		.amdhsa_user_sgpr_dispatch_id 0
		.amdhsa_user_sgpr_flat_scratch_init 0
		.amdhsa_user_sgpr_private_segment_size 0
		.amdhsa_wavefront_size32 1
		.amdhsa_uses_dynamic_stack 0
		.amdhsa_system_sgpr_private_segment_wavefront_offset 0
		.amdhsa_system_sgpr_workgroup_id_x 1
		.amdhsa_system_sgpr_workgroup_id_y 0
		.amdhsa_system_sgpr_workgroup_id_z 0
		.amdhsa_system_sgpr_workgroup_info 0
		.amdhsa_system_vgpr_workitem_id 0
		.amdhsa_next_free_vgpr 42
		.amdhsa_next_free_sgpr 14
		.amdhsa_reserve_vcc 1
		.amdhsa_reserve_flat_scratch 0
		.amdhsa_float_round_mode_32 0
		.amdhsa_float_round_mode_16_64 0
		.amdhsa_float_denorm_mode_32 3
		.amdhsa_float_denorm_mode_16_64 3
		.amdhsa_dx10_clamp 1
		.amdhsa_ieee_mode 1
		.amdhsa_fp16_overflow 0
		.amdhsa_workgroup_processor_mode 1
		.amdhsa_memory_ordered 1
		.amdhsa_forward_progress 1
		.amdhsa_shared_vgpr_count 0
		.amdhsa_exception_fp_ieee_invalid_op 0
		.amdhsa_exception_fp_denorm_src 0
		.amdhsa_exception_fp_ieee_div_zero 0
		.amdhsa_exception_fp_ieee_overflow 0
		.amdhsa_exception_fp_ieee_underflow 0
		.amdhsa_exception_fp_ieee_inexact 0
		.amdhsa_exception_int_div_zero 0
	.end_amdhsa_kernel
	.section	.text._ZN9rocsparseL19gebsrmvn_1xn_kernelILj128ELj13ELj64EfEEvi20rocsparse_direction_NS_24const_host_device_scalarIT2_EEPKiS6_PKS3_S8_S4_PS3_21rocsparse_index_base_b,"axG",@progbits,_ZN9rocsparseL19gebsrmvn_1xn_kernelILj128ELj13ELj64EfEEvi20rocsparse_direction_NS_24const_host_device_scalarIT2_EEPKiS6_PKS3_S8_S4_PS3_21rocsparse_index_base_b,comdat
.Lfunc_end59:
	.size	_ZN9rocsparseL19gebsrmvn_1xn_kernelILj128ELj13ELj64EfEEvi20rocsparse_direction_NS_24const_host_device_scalarIT2_EEPKiS6_PKS3_S8_S4_PS3_21rocsparse_index_base_b, .Lfunc_end59-_ZN9rocsparseL19gebsrmvn_1xn_kernelILj128ELj13ELj64EfEEvi20rocsparse_direction_NS_24const_host_device_scalarIT2_EEPKiS6_PKS3_S8_S4_PS3_21rocsparse_index_base_b
                                        ; -- End function
	.set _ZN9rocsparseL19gebsrmvn_1xn_kernelILj128ELj13ELj64EfEEvi20rocsparse_direction_NS_24const_host_device_scalarIT2_EEPKiS6_PKS3_S8_S4_PS3_21rocsparse_index_base_b.num_vgpr, 42
	.set _ZN9rocsparseL19gebsrmvn_1xn_kernelILj128ELj13ELj64EfEEvi20rocsparse_direction_NS_24const_host_device_scalarIT2_EEPKiS6_PKS3_S8_S4_PS3_21rocsparse_index_base_b.num_agpr, 0
	.set _ZN9rocsparseL19gebsrmvn_1xn_kernelILj128ELj13ELj64EfEEvi20rocsparse_direction_NS_24const_host_device_scalarIT2_EEPKiS6_PKS3_S8_S4_PS3_21rocsparse_index_base_b.numbered_sgpr, 14
	.set _ZN9rocsparseL19gebsrmvn_1xn_kernelILj128ELj13ELj64EfEEvi20rocsparse_direction_NS_24const_host_device_scalarIT2_EEPKiS6_PKS3_S8_S4_PS3_21rocsparse_index_base_b.num_named_barrier, 0
	.set _ZN9rocsparseL19gebsrmvn_1xn_kernelILj128ELj13ELj64EfEEvi20rocsparse_direction_NS_24const_host_device_scalarIT2_EEPKiS6_PKS3_S8_S4_PS3_21rocsparse_index_base_b.private_seg_size, 0
	.set _ZN9rocsparseL19gebsrmvn_1xn_kernelILj128ELj13ELj64EfEEvi20rocsparse_direction_NS_24const_host_device_scalarIT2_EEPKiS6_PKS3_S8_S4_PS3_21rocsparse_index_base_b.uses_vcc, 1
	.set _ZN9rocsparseL19gebsrmvn_1xn_kernelILj128ELj13ELj64EfEEvi20rocsparse_direction_NS_24const_host_device_scalarIT2_EEPKiS6_PKS3_S8_S4_PS3_21rocsparse_index_base_b.uses_flat_scratch, 0
	.set _ZN9rocsparseL19gebsrmvn_1xn_kernelILj128ELj13ELj64EfEEvi20rocsparse_direction_NS_24const_host_device_scalarIT2_EEPKiS6_PKS3_S8_S4_PS3_21rocsparse_index_base_b.has_dyn_sized_stack, 0
	.set _ZN9rocsparseL19gebsrmvn_1xn_kernelILj128ELj13ELj64EfEEvi20rocsparse_direction_NS_24const_host_device_scalarIT2_EEPKiS6_PKS3_S8_S4_PS3_21rocsparse_index_base_b.has_recursion, 0
	.set _ZN9rocsparseL19gebsrmvn_1xn_kernelILj128ELj13ELj64EfEEvi20rocsparse_direction_NS_24const_host_device_scalarIT2_EEPKiS6_PKS3_S8_S4_PS3_21rocsparse_index_base_b.has_indirect_call, 0
	.section	.AMDGPU.csdata,"",@progbits
; Kernel info:
; codeLenInByte = 1740
; TotalNumSgprs: 16
; NumVgprs: 42
; ScratchSize: 0
; MemoryBound: 0
; FloatMode: 240
; IeeeMode: 1
; LDSByteSize: 0 bytes/workgroup (compile time only)
; SGPRBlocks: 0
; VGPRBlocks: 5
; NumSGPRsForWavesPerEU: 16
; NumVGPRsForWavesPerEU: 42
; Occupancy: 16
; WaveLimiterHint : 1
; COMPUTE_PGM_RSRC2:SCRATCH_EN: 0
; COMPUTE_PGM_RSRC2:USER_SGPR: 6
; COMPUTE_PGM_RSRC2:TRAP_HANDLER: 0
; COMPUTE_PGM_RSRC2:TGID_X_EN: 1
; COMPUTE_PGM_RSRC2:TGID_Y_EN: 0
; COMPUTE_PGM_RSRC2:TGID_Z_EN: 0
; COMPUTE_PGM_RSRC2:TIDIG_COMP_CNT: 0
	.section	.text._ZN9rocsparseL19gebsrmvn_1xn_kernelILj128ELj14ELj4EfEEvi20rocsparse_direction_NS_24const_host_device_scalarIT2_EEPKiS6_PKS3_S8_S4_PS3_21rocsparse_index_base_b,"axG",@progbits,_ZN9rocsparseL19gebsrmvn_1xn_kernelILj128ELj14ELj4EfEEvi20rocsparse_direction_NS_24const_host_device_scalarIT2_EEPKiS6_PKS3_S8_S4_PS3_21rocsparse_index_base_b,comdat
	.globl	_ZN9rocsparseL19gebsrmvn_1xn_kernelILj128ELj14ELj4EfEEvi20rocsparse_direction_NS_24const_host_device_scalarIT2_EEPKiS6_PKS3_S8_S4_PS3_21rocsparse_index_base_b ; -- Begin function _ZN9rocsparseL19gebsrmvn_1xn_kernelILj128ELj14ELj4EfEEvi20rocsparse_direction_NS_24const_host_device_scalarIT2_EEPKiS6_PKS3_S8_S4_PS3_21rocsparse_index_base_b
	.p2align	8
	.type	_ZN9rocsparseL19gebsrmvn_1xn_kernelILj128ELj14ELj4EfEEvi20rocsparse_direction_NS_24const_host_device_scalarIT2_EEPKiS6_PKS3_S8_S4_PS3_21rocsparse_index_base_b,@function
_ZN9rocsparseL19gebsrmvn_1xn_kernelILj128ELj14ELj4EfEEvi20rocsparse_direction_NS_24const_host_device_scalarIT2_EEPKiS6_PKS3_S8_S4_PS3_21rocsparse_index_base_b: ; @_ZN9rocsparseL19gebsrmvn_1xn_kernelILj128ELj14ELj4EfEEvi20rocsparse_direction_NS_24const_host_device_scalarIT2_EEPKiS6_PKS3_S8_S4_PS3_21rocsparse_index_base_b
; %bb.0:
	s_clause 0x2
	s_load_dwordx2 s[12:13], s[4:5], 0x40
	s_load_dwordx2 s[10:11], s[4:5], 0x8
	;; [unrolled: 1-line block ×3, first 2 shown]
	s_waitcnt lgkmcnt(0)
	s_bitcmp1_b32 s13, 0
	s_cselect_b32 s0, -1, 0
	s_and_b32 vcc_lo, exec_lo, s0
	s_xor_b32 s0, s0, -1
	s_cbranch_vccnz .LBB60_2
; %bb.1:
	s_load_dword s10, s[10:11], 0x0
.LBB60_2:
	s_andn2_b32 vcc_lo, exec_lo, s0
	s_cbranch_vccnz .LBB60_4
; %bb.3:
	s_load_dword s8, s[8:9], 0x0
.LBB60_4:
	s_waitcnt lgkmcnt(0)
	v_cmp_eq_f32_e64 s0, s10, 0
	v_cmp_eq_f32_e64 s1, s8, 1.0
	s_and_b32 s0, s0, s1
	s_and_b32 vcc_lo, exec_lo, s0
	s_cbranch_vccnz .LBB60_15
; %bb.5:
	s_load_dword s0, s[4:5], 0x0
	v_lshrrev_b32_e32 v1, 2, v0
	v_lshl_or_b32 v1, s6, 5, v1
	s_waitcnt lgkmcnt(0)
	v_cmp_gt_i32_e32 vcc_lo, s0, v1
	s_and_saveexec_b32 s0, vcc_lo
	s_cbranch_execz .LBB60_15
; %bb.6:
	s_clause 0x1
	s_load_dwordx2 s[0:1], s[4:5], 0x10
	s_load_dwordx2 s[6:7], s[4:5], 0x38
	v_ashrrev_i32_e32 v2, 31, v1
	v_and_b32_e32 v0, 3, v0
	v_mov_b32_e32 v9, 0
	s_mov_b32 s9, exec_lo
	v_lshlrev_b64 v[1:2], 2, v[1:2]
	v_subrev_nc_u32_e32 v5, s12, v0
	s_waitcnt lgkmcnt(0)
	v_add_co_u32 v3, vcc_lo, s0, v1
	v_add_co_ci_u32_e64 v4, null, s1, v2, vcc_lo
	global_load_dwordx2 v[3:4], v[3:4], off
	s_waitcnt vmcnt(0)
	v_subrev_nc_u32_e32 v10, s12, v4
	v_add_nc_u32_e32 v3, v3, v5
	v_cmpx_lt_i32_e64 v3, v10
	s_cbranch_execz .LBB60_10
; %bb.7:
	s_clause 0x1
	s_load_dwordx4 s[0:3], s[4:5], 0x18
	s_load_dwordx2 s[4:5], s[4:5], 0x28
	v_mad_u64_u32 v[5:6], null, v3, 14, 13
	v_mov_b32_e32 v8, 0
	v_mov_b32_e32 v9, 0
	s_mov_b32 s11, 0
.LBB60_8:                               ; =>This Inner Loop Header: Depth=1
	v_ashrrev_i32_e32 v4, 31, v3
	v_mov_b32_e32 v12, v8
	v_lshlrev_b64 v[6:7], 2, v[3:4]
	v_add_nc_u32_e32 v3, 4, v3
	s_waitcnt lgkmcnt(0)
	v_add_co_u32 v6, vcc_lo, s0, v6
	v_add_co_ci_u32_e64 v7, null, s1, v7, vcc_lo
	global_load_dword v4, v[6:7], off
	v_add_nc_u32_e32 v7, -13, v5
	v_mov_b32_e32 v6, v8
	v_lshlrev_b64 v[13:14], 2, v[7:8]
	v_add_nc_u32_e32 v7, -11, v5
	v_lshlrev_b64 v[15:16], 2, v[5:6]
	v_lshlrev_b64 v[6:7], 2, v[7:8]
	v_add_co_u32 v13, vcc_lo, s2, v13
	v_add_co_ci_u32_e64 v14, null, s3, v14, vcc_lo
	v_add_co_u32 v6, vcc_lo, s2, v6
	v_add_co_ci_u32_e64 v7, null, s3, v7, vcc_lo
	s_clause 0x1
	global_load_dwordx2 v[13:14], v[13:14], off
	global_load_dword v33, v[6:7], off
	s_waitcnt vmcnt(2)
	v_subrev_nc_u32_e32 v4, s12, v4
	v_mul_lo_u32 v11, v4, 14
	v_add_nc_u32_e32 v7, 2, v11
	v_lshlrev_b64 v[17:18], 2, v[11:12]
	v_lshlrev_b64 v[19:20], 2, v[7:8]
	v_add_nc_u32_e32 v7, -10, v5
	v_add_co_u32 v17, vcc_lo, s4, v17
	v_add_co_ci_u32_e64 v18, null, s5, v18, vcc_lo
	v_lshlrev_b64 v[21:22], 2, v[7:8]
	v_add_nc_u32_e32 v7, -9, v5
	v_add_co_u32 v19, vcc_lo, s4, v19
	v_add_co_ci_u32_e64 v20, null, s5, v20, vcc_lo
	v_lshlrev_b64 v[23:24], 2, v[7:8]
	v_add_nc_u32_e32 v7, 4, v11
	v_add_co_u32 v21, vcc_lo, s2, v21
	v_add_co_ci_u32_e64 v22, null, s3, v22, vcc_lo
	v_lshlrev_b64 v[25:26], 2, v[7:8]
	v_add_nc_u32_e32 v7, -8, v5
	s_clause 0x1
	global_load_dwordx2 v[17:18], v[17:18], off
	global_load_dwordx2 v[19:20], v[19:20], off
	global_load_dword v4, v[21:22], off
	v_add_co_u32 v21, vcc_lo, s2, v23
	v_add_co_ci_u32_e64 v22, null, s3, v24, vcc_lo
	v_lshlrev_b64 v[23:24], 2, v[7:8]
	v_add_co_u32 v25, vcc_lo, s4, v25
	v_add_co_ci_u32_e64 v26, null, s5, v26, vcc_lo
	v_add_nc_u32_e32 v7, -7, v5
	v_add_co_u32 v23, vcc_lo, s2, v23
	v_add_co_ci_u32_e64 v24, null, s3, v24, vcc_lo
	global_load_dword v34, v[21:22], off
	global_load_dwordx2 v[25:26], v[25:26], off
	global_load_dword v35, v[23:24], off
	v_lshlrev_b64 v[21:22], 2, v[7:8]
	v_add_nc_u32_e32 v7, 6, v11
	v_lshlrev_b64 v[27:28], 2, v[7:8]
	v_add_nc_u32_e32 v7, -6, v5
	v_add_co_u32 v21, vcc_lo, s2, v21
	v_add_co_ci_u32_e64 v22, null, s3, v22, vcc_lo
	v_lshlrev_b64 v[23:24], 2, v[7:8]
	v_add_nc_u32_e32 v7, -5, v5
	global_load_dword v36, v[21:22], off
	v_add_co_u32 v21, vcc_lo, s4, v27
	v_add_co_ci_u32_e64 v22, null, s5, v28, vcc_lo
	v_lshlrev_b64 v[27:28], 2, v[7:8]
	v_add_nc_u32_e32 v7, 8, v11
	v_add_co_u32 v23, vcc_lo, s2, v23
	v_add_co_ci_u32_e64 v24, null, s3, v24, vcc_lo
	v_lshlrev_b64 v[29:30], 2, v[7:8]
	v_add_nc_u32_e32 v7, -4, v5
	global_load_dwordx2 v[21:22], v[21:22], off
	global_load_dword v37, v[23:24], off
	v_add_co_u32 v23, vcc_lo, s2, v27
	v_add_co_ci_u32_e64 v24, null, s3, v28, vcc_lo
	v_lshlrev_b64 v[27:28], 2, v[7:8]
	v_add_nc_u32_e32 v7, -3, v5
	v_add_co_u32 v29, vcc_lo, s4, v29
	global_load_dword v38, v[23:24], off
	v_add_co_ci_u32_e64 v30, null, s5, v30, vcc_lo
	v_lshlrev_b64 v[23:24], 2, v[7:8]
	v_add_nc_u32_e32 v7, 10, v11
	v_add_co_u32 v27, vcc_lo, s2, v27
	v_add_co_ci_u32_e64 v28, null, s3, v28, vcc_lo
	v_lshlrev_b64 v[31:32], 2, v[7:8]
	v_add_nc_u32_e32 v7, -2, v5
	v_add_co_u32 v23, vcc_lo, s2, v23
	v_add_co_ci_u32_e64 v24, null, s3, v24, vcc_lo
	global_load_dword v39, v[27:28], off
	v_lshlrev_b64 v[27:28], 2, v[7:8]
	v_add_nc_u32_e32 v7, -1, v5
	global_load_dwordx2 v[29:30], v[29:30], off
	global_load_dword v40, v[23:24], off
	v_add_co_u32 v23, vcc_lo, s4, v31
	v_add_co_ci_u32_e64 v24, null, s5, v32, vcc_lo
	v_lshlrev_b64 v[31:32], 2, v[7:8]
	v_add_nc_u32_e32 v7, 12, v11
	v_add_co_u32 v11, vcc_lo, s2, v27
	v_add_co_ci_u32_e64 v12, null, s3, v28, vcc_lo
	v_lshlrev_b64 v[6:7], 2, v[7:8]
	global_load_dwordx2 v[23:24], v[23:24], off
	v_add_nc_u32_e32 v5, 56, v5
	global_load_dword v27, v[11:12], off
	v_add_co_u32 v11, vcc_lo, s2, v31
	v_add_co_ci_u32_e64 v12, null, s3, v32, vcc_lo
	v_add_co_u32 v6, vcc_lo, s4, v6
	v_add_co_ci_u32_e64 v7, null, s5, v7, vcc_lo
	;; [unrolled: 2-line block ×3, first 2 shown]
	global_load_dword v11, v[11:12], off
	global_load_dwordx2 v[6:7], v[6:7], off
	global_load_dword v12, v[15:16], off
	v_cmp_ge_i32_e32 vcc_lo, v3, v10
	s_or_b32 s11, vcc_lo, s11
	s_waitcnt vmcnt(17)
	v_fmac_f32_e32 v9, v13, v17
	v_fmac_f32_e32 v9, v14, v18
	s_waitcnt vmcnt(16)
	v_fmac_f32_e32 v9, v33, v19
	s_waitcnt vmcnt(15)
	;; [unrolled: 2-line block ×7, first 2 shown]
	v_fmac_f32_e32 v9, v38, v29
	v_fmac_f32_e32 v9, v39, v30
	s_waitcnt vmcnt(4)
	v_fmac_f32_e32 v9, v40, v23
	s_waitcnt vmcnt(3)
	;; [unrolled: 2-line block ×4, first 2 shown]
	v_fmac_f32_e32 v9, v12, v7
	s_andn2_b32 exec_lo, exec_lo, s11
	s_cbranch_execnz .LBB60_8
; %bb.9:
	s_or_b32 exec_lo, exec_lo, s11
.LBB60_10:
	s_or_b32 exec_lo, exec_lo, s9
	v_mbcnt_lo_u32_b32 v3, -1, 0
	s_mov_b32 s0, -1
	v_xor_b32_e32 v4, 2, v3
	v_xor_b32_e32 v5, 1, v3
	v_cmp_gt_i32_e32 vcc_lo, 32, v4
	v_cndmask_b32_e32 v4, v3, v4, vcc_lo
	v_cmp_gt_i32_e32 vcc_lo, 32, v5
	v_lshlrev_b32_e32 v4, 2, v4
	v_cndmask_b32_e32 v5, v3, v5, vcc_lo
	v_cmp_eq_u32_e32 vcc_lo, 3, v0
	ds_bpermute_b32 v4, v4, v9
	s_waitcnt lgkmcnt(0)
	v_add_f32_e32 v3, v9, v4
	v_lshlrev_b32_e32 v4, 2, v5
	ds_bpermute_b32 v4, v4, v3
	s_and_b32 exec_lo, exec_lo, vcc_lo
	s_cbranch_execz .LBB60_15
; %bb.11:
	s_waitcnt lgkmcnt(0)
	v_add_f32_e32 v0, v3, v4
	v_cmp_eq_f32_e64 s1, s8, 0
	v_mul_f32_e32 v0, s10, v0
	s_and_b32 vcc_lo, exec_lo, s1
	s_cbranch_vccz .LBB60_13
; %bb.12:
	v_add_co_u32 v3, vcc_lo, s6, v1
	v_add_co_ci_u32_e64 v4, null, s7, v2, vcc_lo
	s_mov_b32 s0, 0
	global_store_dword v[3:4], v0, off
.LBB60_13:
	s_andn2_b32 vcc_lo, exec_lo, s0
	s_cbranch_vccnz .LBB60_15
; %bb.14:
	v_add_co_u32 v1, vcc_lo, s6, v1
	v_add_co_ci_u32_e64 v2, null, s7, v2, vcc_lo
	global_load_dword v3, v[1:2], off
	s_waitcnt vmcnt(0)
	v_fmac_f32_e32 v0, s8, v3
	global_store_dword v[1:2], v0, off
.LBB60_15:
	s_endpgm
	.section	.rodata,"a",@progbits
	.p2align	6, 0x0
	.amdhsa_kernel _ZN9rocsparseL19gebsrmvn_1xn_kernelILj128ELj14ELj4EfEEvi20rocsparse_direction_NS_24const_host_device_scalarIT2_EEPKiS6_PKS3_S8_S4_PS3_21rocsparse_index_base_b
		.amdhsa_group_segment_fixed_size 0
		.amdhsa_private_segment_fixed_size 0
		.amdhsa_kernarg_size 72
		.amdhsa_user_sgpr_count 6
		.amdhsa_user_sgpr_private_segment_buffer 1
		.amdhsa_user_sgpr_dispatch_ptr 0
		.amdhsa_user_sgpr_queue_ptr 0
		.amdhsa_user_sgpr_kernarg_segment_ptr 1
		.amdhsa_user_sgpr_dispatch_id 0
		.amdhsa_user_sgpr_flat_scratch_init 0
		.amdhsa_user_sgpr_private_segment_size 0
		.amdhsa_wavefront_size32 1
		.amdhsa_uses_dynamic_stack 0
		.amdhsa_system_sgpr_private_segment_wavefront_offset 0
		.amdhsa_system_sgpr_workgroup_id_x 1
		.amdhsa_system_sgpr_workgroup_id_y 0
		.amdhsa_system_sgpr_workgroup_id_z 0
		.amdhsa_system_sgpr_workgroup_info 0
		.amdhsa_system_vgpr_workitem_id 0
		.amdhsa_next_free_vgpr 41
		.amdhsa_next_free_sgpr 14
		.amdhsa_reserve_vcc 1
		.amdhsa_reserve_flat_scratch 0
		.amdhsa_float_round_mode_32 0
		.amdhsa_float_round_mode_16_64 0
		.amdhsa_float_denorm_mode_32 3
		.amdhsa_float_denorm_mode_16_64 3
		.amdhsa_dx10_clamp 1
		.amdhsa_ieee_mode 1
		.amdhsa_fp16_overflow 0
		.amdhsa_workgroup_processor_mode 1
		.amdhsa_memory_ordered 1
		.amdhsa_forward_progress 1
		.amdhsa_shared_vgpr_count 0
		.amdhsa_exception_fp_ieee_invalid_op 0
		.amdhsa_exception_fp_denorm_src 0
		.amdhsa_exception_fp_ieee_div_zero 0
		.amdhsa_exception_fp_ieee_overflow 0
		.amdhsa_exception_fp_ieee_underflow 0
		.amdhsa_exception_fp_ieee_inexact 0
		.amdhsa_exception_int_div_zero 0
	.end_amdhsa_kernel
	.section	.text._ZN9rocsparseL19gebsrmvn_1xn_kernelILj128ELj14ELj4EfEEvi20rocsparse_direction_NS_24const_host_device_scalarIT2_EEPKiS6_PKS3_S8_S4_PS3_21rocsparse_index_base_b,"axG",@progbits,_ZN9rocsparseL19gebsrmvn_1xn_kernelILj128ELj14ELj4EfEEvi20rocsparse_direction_NS_24const_host_device_scalarIT2_EEPKiS6_PKS3_S8_S4_PS3_21rocsparse_index_base_b,comdat
.Lfunc_end60:
	.size	_ZN9rocsparseL19gebsrmvn_1xn_kernelILj128ELj14ELj4EfEEvi20rocsparse_direction_NS_24const_host_device_scalarIT2_EEPKiS6_PKS3_S8_S4_PS3_21rocsparse_index_base_b, .Lfunc_end60-_ZN9rocsparseL19gebsrmvn_1xn_kernelILj128ELj14ELj4EfEEvi20rocsparse_direction_NS_24const_host_device_scalarIT2_EEPKiS6_PKS3_S8_S4_PS3_21rocsparse_index_base_b
                                        ; -- End function
	.set _ZN9rocsparseL19gebsrmvn_1xn_kernelILj128ELj14ELj4EfEEvi20rocsparse_direction_NS_24const_host_device_scalarIT2_EEPKiS6_PKS3_S8_S4_PS3_21rocsparse_index_base_b.num_vgpr, 41
	.set _ZN9rocsparseL19gebsrmvn_1xn_kernelILj128ELj14ELj4EfEEvi20rocsparse_direction_NS_24const_host_device_scalarIT2_EEPKiS6_PKS3_S8_S4_PS3_21rocsparse_index_base_b.num_agpr, 0
	.set _ZN9rocsparseL19gebsrmvn_1xn_kernelILj128ELj14ELj4EfEEvi20rocsparse_direction_NS_24const_host_device_scalarIT2_EEPKiS6_PKS3_S8_S4_PS3_21rocsparse_index_base_b.numbered_sgpr, 14
	.set _ZN9rocsparseL19gebsrmvn_1xn_kernelILj128ELj14ELj4EfEEvi20rocsparse_direction_NS_24const_host_device_scalarIT2_EEPKiS6_PKS3_S8_S4_PS3_21rocsparse_index_base_b.num_named_barrier, 0
	.set _ZN9rocsparseL19gebsrmvn_1xn_kernelILj128ELj14ELj4EfEEvi20rocsparse_direction_NS_24const_host_device_scalarIT2_EEPKiS6_PKS3_S8_S4_PS3_21rocsparse_index_base_b.private_seg_size, 0
	.set _ZN9rocsparseL19gebsrmvn_1xn_kernelILj128ELj14ELj4EfEEvi20rocsparse_direction_NS_24const_host_device_scalarIT2_EEPKiS6_PKS3_S8_S4_PS3_21rocsparse_index_base_b.uses_vcc, 1
	.set _ZN9rocsparseL19gebsrmvn_1xn_kernelILj128ELj14ELj4EfEEvi20rocsparse_direction_NS_24const_host_device_scalarIT2_EEPKiS6_PKS3_S8_S4_PS3_21rocsparse_index_base_b.uses_flat_scratch, 0
	.set _ZN9rocsparseL19gebsrmvn_1xn_kernelILj128ELj14ELj4EfEEvi20rocsparse_direction_NS_24const_host_device_scalarIT2_EEPKiS6_PKS3_S8_S4_PS3_21rocsparse_index_base_b.has_dyn_sized_stack, 0
	.set _ZN9rocsparseL19gebsrmvn_1xn_kernelILj128ELj14ELj4EfEEvi20rocsparse_direction_NS_24const_host_device_scalarIT2_EEPKiS6_PKS3_S8_S4_PS3_21rocsparse_index_base_b.has_recursion, 0
	.set _ZN9rocsparseL19gebsrmvn_1xn_kernelILj128ELj14ELj4EfEEvi20rocsparse_direction_NS_24const_host_device_scalarIT2_EEPKiS6_PKS3_S8_S4_PS3_21rocsparse_index_base_b.has_indirect_call, 0
	.section	.AMDGPU.csdata,"",@progbits
; Kernel info:
; codeLenInByte = 1392
; TotalNumSgprs: 16
; NumVgprs: 41
; ScratchSize: 0
; MemoryBound: 0
; FloatMode: 240
; IeeeMode: 1
; LDSByteSize: 0 bytes/workgroup (compile time only)
; SGPRBlocks: 0
; VGPRBlocks: 5
; NumSGPRsForWavesPerEU: 16
; NumVGPRsForWavesPerEU: 41
; Occupancy: 16
; WaveLimiterHint : 1
; COMPUTE_PGM_RSRC2:SCRATCH_EN: 0
; COMPUTE_PGM_RSRC2:USER_SGPR: 6
; COMPUTE_PGM_RSRC2:TRAP_HANDLER: 0
; COMPUTE_PGM_RSRC2:TGID_X_EN: 1
; COMPUTE_PGM_RSRC2:TGID_Y_EN: 0
; COMPUTE_PGM_RSRC2:TGID_Z_EN: 0
; COMPUTE_PGM_RSRC2:TIDIG_COMP_CNT: 0
	.section	.text._ZN9rocsparseL19gebsrmvn_1xn_kernelILj128ELj14ELj8EfEEvi20rocsparse_direction_NS_24const_host_device_scalarIT2_EEPKiS6_PKS3_S8_S4_PS3_21rocsparse_index_base_b,"axG",@progbits,_ZN9rocsparseL19gebsrmvn_1xn_kernelILj128ELj14ELj8EfEEvi20rocsparse_direction_NS_24const_host_device_scalarIT2_EEPKiS6_PKS3_S8_S4_PS3_21rocsparse_index_base_b,comdat
	.globl	_ZN9rocsparseL19gebsrmvn_1xn_kernelILj128ELj14ELj8EfEEvi20rocsparse_direction_NS_24const_host_device_scalarIT2_EEPKiS6_PKS3_S8_S4_PS3_21rocsparse_index_base_b ; -- Begin function _ZN9rocsparseL19gebsrmvn_1xn_kernelILj128ELj14ELj8EfEEvi20rocsparse_direction_NS_24const_host_device_scalarIT2_EEPKiS6_PKS3_S8_S4_PS3_21rocsparse_index_base_b
	.p2align	8
	.type	_ZN9rocsparseL19gebsrmvn_1xn_kernelILj128ELj14ELj8EfEEvi20rocsparse_direction_NS_24const_host_device_scalarIT2_EEPKiS6_PKS3_S8_S4_PS3_21rocsparse_index_base_b,@function
_ZN9rocsparseL19gebsrmvn_1xn_kernelILj128ELj14ELj8EfEEvi20rocsparse_direction_NS_24const_host_device_scalarIT2_EEPKiS6_PKS3_S8_S4_PS3_21rocsparse_index_base_b: ; @_ZN9rocsparseL19gebsrmvn_1xn_kernelILj128ELj14ELj8EfEEvi20rocsparse_direction_NS_24const_host_device_scalarIT2_EEPKiS6_PKS3_S8_S4_PS3_21rocsparse_index_base_b
; %bb.0:
	s_clause 0x2
	s_load_dwordx2 s[12:13], s[4:5], 0x40
	s_load_dwordx2 s[10:11], s[4:5], 0x8
	;; [unrolled: 1-line block ×3, first 2 shown]
	s_waitcnt lgkmcnt(0)
	s_bitcmp1_b32 s13, 0
	s_cselect_b32 s0, -1, 0
	s_and_b32 vcc_lo, exec_lo, s0
	s_xor_b32 s0, s0, -1
	s_cbranch_vccnz .LBB61_2
; %bb.1:
	s_load_dword s10, s[10:11], 0x0
.LBB61_2:
	s_andn2_b32 vcc_lo, exec_lo, s0
	s_cbranch_vccnz .LBB61_4
; %bb.3:
	s_load_dword s8, s[8:9], 0x0
.LBB61_4:
	s_waitcnt lgkmcnt(0)
	v_cmp_eq_f32_e64 s0, s10, 0
	v_cmp_eq_f32_e64 s1, s8, 1.0
	s_and_b32 s0, s0, s1
	s_and_b32 vcc_lo, exec_lo, s0
	s_cbranch_vccnz .LBB61_15
; %bb.5:
	s_load_dword s0, s[4:5], 0x0
	v_lshrrev_b32_e32 v1, 3, v0
	v_lshl_or_b32 v1, s6, 4, v1
	s_waitcnt lgkmcnt(0)
	v_cmp_gt_i32_e32 vcc_lo, s0, v1
	s_and_saveexec_b32 s0, vcc_lo
	s_cbranch_execz .LBB61_15
; %bb.6:
	s_clause 0x1
	s_load_dwordx2 s[0:1], s[4:5], 0x10
	s_load_dwordx2 s[6:7], s[4:5], 0x38
	v_ashrrev_i32_e32 v2, 31, v1
	v_and_b32_e32 v0, 7, v0
	v_mov_b32_e32 v9, 0
	s_mov_b32 s9, exec_lo
	v_lshlrev_b64 v[1:2], 2, v[1:2]
	v_subrev_nc_u32_e32 v5, s12, v0
	s_waitcnt lgkmcnt(0)
	v_add_co_u32 v3, vcc_lo, s0, v1
	v_add_co_ci_u32_e64 v4, null, s1, v2, vcc_lo
	global_load_dwordx2 v[3:4], v[3:4], off
	s_waitcnt vmcnt(0)
	v_subrev_nc_u32_e32 v10, s12, v4
	v_add_nc_u32_e32 v3, v3, v5
	v_cmpx_lt_i32_e64 v3, v10
	s_cbranch_execz .LBB61_10
; %bb.7:
	s_clause 0x1
	s_load_dwordx4 s[0:3], s[4:5], 0x18
	s_load_dwordx2 s[4:5], s[4:5], 0x28
	v_mad_u64_u32 v[5:6], null, v3, 14, 13
	v_mov_b32_e32 v8, 0
	v_mov_b32_e32 v9, 0
	s_mov_b32 s11, 0
.LBB61_8:                               ; =>This Inner Loop Header: Depth=1
	v_ashrrev_i32_e32 v4, 31, v3
	v_mov_b32_e32 v12, v8
	v_lshlrev_b64 v[6:7], 2, v[3:4]
	v_add_nc_u32_e32 v3, 8, v3
	s_waitcnt lgkmcnt(0)
	v_add_co_u32 v6, vcc_lo, s0, v6
	v_add_co_ci_u32_e64 v7, null, s1, v7, vcc_lo
	global_load_dword v4, v[6:7], off
	v_add_nc_u32_e32 v7, -13, v5
	v_mov_b32_e32 v6, v8
	v_lshlrev_b64 v[13:14], 2, v[7:8]
	v_add_nc_u32_e32 v7, -11, v5
	v_lshlrev_b64 v[15:16], 2, v[5:6]
	v_lshlrev_b64 v[6:7], 2, v[7:8]
	v_add_co_u32 v13, vcc_lo, s2, v13
	v_add_co_ci_u32_e64 v14, null, s3, v14, vcc_lo
	v_add_co_u32 v6, vcc_lo, s2, v6
	v_add_co_ci_u32_e64 v7, null, s3, v7, vcc_lo
	s_clause 0x1
	global_load_dwordx2 v[13:14], v[13:14], off
	global_load_dword v33, v[6:7], off
	s_waitcnt vmcnt(2)
	v_subrev_nc_u32_e32 v4, s12, v4
	v_mul_lo_u32 v11, v4, 14
	v_add_nc_u32_e32 v7, 2, v11
	v_lshlrev_b64 v[17:18], 2, v[11:12]
	v_lshlrev_b64 v[19:20], 2, v[7:8]
	v_add_nc_u32_e32 v7, -10, v5
	v_add_co_u32 v17, vcc_lo, s4, v17
	v_add_co_ci_u32_e64 v18, null, s5, v18, vcc_lo
	v_lshlrev_b64 v[21:22], 2, v[7:8]
	v_add_nc_u32_e32 v7, -9, v5
	v_add_co_u32 v19, vcc_lo, s4, v19
	v_add_co_ci_u32_e64 v20, null, s5, v20, vcc_lo
	v_lshlrev_b64 v[23:24], 2, v[7:8]
	v_add_nc_u32_e32 v7, 4, v11
	v_add_co_u32 v21, vcc_lo, s2, v21
	v_add_co_ci_u32_e64 v22, null, s3, v22, vcc_lo
	v_lshlrev_b64 v[25:26], 2, v[7:8]
	v_add_nc_u32_e32 v7, -8, v5
	s_clause 0x1
	global_load_dwordx2 v[17:18], v[17:18], off
	global_load_dwordx2 v[19:20], v[19:20], off
	global_load_dword v4, v[21:22], off
	v_add_co_u32 v21, vcc_lo, s2, v23
	v_add_co_ci_u32_e64 v22, null, s3, v24, vcc_lo
	v_lshlrev_b64 v[23:24], 2, v[7:8]
	v_add_co_u32 v25, vcc_lo, s4, v25
	v_add_co_ci_u32_e64 v26, null, s5, v26, vcc_lo
	v_add_nc_u32_e32 v7, -7, v5
	v_add_co_u32 v23, vcc_lo, s2, v23
	v_add_co_ci_u32_e64 v24, null, s3, v24, vcc_lo
	global_load_dword v34, v[21:22], off
	global_load_dwordx2 v[25:26], v[25:26], off
	global_load_dword v35, v[23:24], off
	v_lshlrev_b64 v[21:22], 2, v[7:8]
	v_add_nc_u32_e32 v7, 6, v11
	v_lshlrev_b64 v[27:28], 2, v[7:8]
	v_add_nc_u32_e32 v7, -6, v5
	v_add_co_u32 v21, vcc_lo, s2, v21
	v_add_co_ci_u32_e64 v22, null, s3, v22, vcc_lo
	v_lshlrev_b64 v[23:24], 2, v[7:8]
	v_add_nc_u32_e32 v7, -5, v5
	global_load_dword v36, v[21:22], off
	v_add_co_u32 v21, vcc_lo, s4, v27
	v_add_co_ci_u32_e64 v22, null, s5, v28, vcc_lo
	v_lshlrev_b64 v[27:28], 2, v[7:8]
	v_add_nc_u32_e32 v7, 8, v11
	v_add_co_u32 v23, vcc_lo, s2, v23
	v_add_co_ci_u32_e64 v24, null, s3, v24, vcc_lo
	v_lshlrev_b64 v[29:30], 2, v[7:8]
	v_add_nc_u32_e32 v7, -4, v5
	global_load_dwordx2 v[21:22], v[21:22], off
	global_load_dword v37, v[23:24], off
	v_add_co_u32 v23, vcc_lo, s2, v27
	v_add_co_ci_u32_e64 v24, null, s3, v28, vcc_lo
	v_lshlrev_b64 v[27:28], 2, v[7:8]
	v_add_nc_u32_e32 v7, -3, v5
	v_add_co_u32 v29, vcc_lo, s4, v29
	global_load_dword v38, v[23:24], off
	v_add_co_ci_u32_e64 v30, null, s5, v30, vcc_lo
	v_lshlrev_b64 v[23:24], 2, v[7:8]
	v_add_nc_u32_e32 v7, 10, v11
	v_add_co_u32 v27, vcc_lo, s2, v27
	v_add_co_ci_u32_e64 v28, null, s3, v28, vcc_lo
	v_lshlrev_b64 v[31:32], 2, v[7:8]
	v_add_nc_u32_e32 v7, -2, v5
	v_add_co_u32 v23, vcc_lo, s2, v23
	v_add_co_ci_u32_e64 v24, null, s3, v24, vcc_lo
	global_load_dword v39, v[27:28], off
	v_lshlrev_b64 v[27:28], 2, v[7:8]
	v_add_nc_u32_e32 v7, -1, v5
	global_load_dwordx2 v[29:30], v[29:30], off
	global_load_dword v40, v[23:24], off
	v_add_co_u32 v23, vcc_lo, s4, v31
	v_add_co_ci_u32_e64 v24, null, s5, v32, vcc_lo
	v_lshlrev_b64 v[31:32], 2, v[7:8]
	v_add_nc_u32_e32 v7, 12, v11
	v_add_co_u32 v11, vcc_lo, s2, v27
	v_add_co_ci_u32_e64 v12, null, s3, v28, vcc_lo
	v_lshlrev_b64 v[6:7], 2, v[7:8]
	global_load_dwordx2 v[23:24], v[23:24], off
	v_add_nc_u32_e32 v5, 0x70, v5
	global_load_dword v27, v[11:12], off
	v_add_co_u32 v11, vcc_lo, s2, v31
	v_add_co_ci_u32_e64 v12, null, s3, v32, vcc_lo
	v_add_co_u32 v6, vcc_lo, s4, v6
	v_add_co_ci_u32_e64 v7, null, s5, v7, vcc_lo
	;; [unrolled: 2-line block ×3, first 2 shown]
	global_load_dword v11, v[11:12], off
	global_load_dwordx2 v[6:7], v[6:7], off
	global_load_dword v12, v[15:16], off
	v_cmp_ge_i32_e32 vcc_lo, v3, v10
	s_or_b32 s11, vcc_lo, s11
	s_waitcnt vmcnt(17)
	v_fmac_f32_e32 v9, v13, v17
	v_fmac_f32_e32 v9, v14, v18
	s_waitcnt vmcnt(16)
	v_fmac_f32_e32 v9, v33, v19
	s_waitcnt vmcnt(15)
	;; [unrolled: 2-line block ×7, first 2 shown]
	v_fmac_f32_e32 v9, v38, v29
	v_fmac_f32_e32 v9, v39, v30
	s_waitcnt vmcnt(4)
	v_fmac_f32_e32 v9, v40, v23
	s_waitcnt vmcnt(3)
	;; [unrolled: 2-line block ×4, first 2 shown]
	v_fmac_f32_e32 v9, v12, v7
	s_andn2_b32 exec_lo, exec_lo, s11
	s_cbranch_execnz .LBB61_8
; %bb.9:
	s_or_b32 exec_lo, exec_lo, s11
.LBB61_10:
	s_or_b32 exec_lo, exec_lo, s9
	v_mbcnt_lo_u32_b32 v3, -1, 0
	s_mov_b32 s0, -1
	v_xor_b32_e32 v4, 4, v3
	v_xor_b32_e32 v5, 2, v3
	;; [unrolled: 1-line block ×3, first 2 shown]
	v_cmp_gt_i32_e32 vcc_lo, 32, v4
	v_cndmask_b32_e32 v4, v3, v4, vcc_lo
	v_cmp_gt_i32_e32 vcc_lo, 32, v5
	v_lshlrev_b32_e32 v4, 2, v4
	v_cndmask_b32_e32 v5, v3, v5, vcc_lo
	v_cmp_gt_i32_e32 vcc_lo, 32, v6
	ds_bpermute_b32 v4, v4, v9
	v_lshlrev_b32_e32 v5, 2, v5
	v_cndmask_b32_e32 v6, v3, v6, vcc_lo
	v_cmp_eq_u32_e32 vcc_lo, 7, v0
	s_waitcnt lgkmcnt(0)
	v_add_f32_e32 v4, v9, v4
	ds_bpermute_b32 v5, v5, v4
	s_waitcnt lgkmcnt(0)
	v_add_f32_e32 v3, v4, v5
	v_lshlrev_b32_e32 v4, 2, v6
	ds_bpermute_b32 v4, v4, v3
	s_and_b32 exec_lo, exec_lo, vcc_lo
	s_cbranch_execz .LBB61_15
; %bb.11:
	s_waitcnt lgkmcnt(0)
	v_add_f32_e32 v0, v3, v4
	v_cmp_eq_f32_e64 s1, s8, 0
	v_mul_f32_e32 v0, s10, v0
	s_and_b32 vcc_lo, exec_lo, s1
	s_cbranch_vccz .LBB61_13
; %bb.12:
	v_add_co_u32 v3, vcc_lo, s6, v1
	v_add_co_ci_u32_e64 v4, null, s7, v2, vcc_lo
	s_mov_b32 s0, 0
	global_store_dword v[3:4], v0, off
.LBB61_13:
	s_andn2_b32 vcc_lo, exec_lo, s0
	s_cbranch_vccnz .LBB61_15
; %bb.14:
	v_add_co_u32 v1, vcc_lo, s6, v1
	v_add_co_ci_u32_e64 v2, null, s7, v2, vcc_lo
	global_load_dword v3, v[1:2], off
	s_waitcnt vmcnt(0)
	v_fmac_f32_e32 v0, s8, v3
	global_store_dword v[1:2], v0, off
.LBB61_15:
	s_endpgm
	.section	.rodata,"a",@progbits
	.p2align	6, 0x0
	.amdhsa_kernel _ZN9rocsparseL19gebsrmvn_1xn_kernelILj128ELj14ELj8EfEEvi20rocsparse_direction_NS_24const_host_device_scalarIT2_EEPKiS6_PKS3_S8_S4_PS3_21rocsparse_index_base_b
		.amdhsa_group_segment_fixed_size 0
		.amdhsa_private_segment_fixed_size 0
		.amdhsa_kernarg_size 72
		.amdhsa_user_sgpr_count 6
		.amdhsa_user_sgpr_private_segment_buffer 1
		.amdhsa_user_sgpr_dispatch_ptr 0
		.amdhsa_user_sgpr_queue_ptr 0
		.amdhsa_user_sgpr_kernarg_segment_ptr 1
		.amdhsa_user_sgpr_dispatch_id 0
		.amdhsa_user_sgpr_flat_scratch_init 0
		.amdhsa_user_sgpr_private_segment_size 0
		.amdhsa_wavefront_size32 1
		.amdhsa_uses_dynamic_stack 0
		.amdhsa_system_sgpr_private_segment_wavefront_offset 0
		.amdhsa_system_sgpr_workgroup_id_x 1
		.amdhsa_system_sgpr_workgroup_id_y 0
		.amdhsa_system_sgpr_workgroup_id_z 0
		.amdhsa_system_sgpr_workgroup_info 0
		.amdhsa_system_vgpr_workitem_id 0
		.amdhsa_next_free_vgpr 41
		.amdhsa_next_free_sgpr 14
		.amdhsa_reserve_vcc 1
		.amdhsa_reserve_flat_scratch 0
		.amdhsa_float_round_mode_32 0
		.amdhsa_float_round_mode_16_64 0
		.amdhsa_float_denorm_mode_32 3
		.amdhsa_float_denorm_mode_16_64 3
		.amdhsa_dx10_clamp 1
		.amdhsa_ieee_mode 1
		.amdhsa_fp16_overflow 0
		.amdhsa_workgroup_processor_mode 1
		.amdhsa_memory_ordered 1
		.amdhsa_forward_progress 1
		.amdhsa_shared_vgpr_count 0
		.amdhsa_exception_fp_ieee_invalid_op 0
		.amdhsa_exception_fp_denorm_src 0
		.amdhsa_exception_fp_ieee_div_zero 0
		.amdhsa_exception_fp_ieee_overflow 0
		.amdhsa_exception_fp_ieee_underflow 0
		.amdhsa_exception_fp_ieee_inexact 0
		.amdhsa_exception_int_div_zero 0
	.end_amdhsa_kernel
	.section	.text._ZN9rocsparseL19gebsrmvn_1xn_kernelILj128ELj14ELj8EfEEvi20rocsparse_direction_NS_24const_host_device_scalarIT2_EEPKiS6_PKS3_S8_S4_PS3_21rocsparse_index_base_b,"axG",@progbits,_ZN9rocsparseL19gebsrmvn_1xn_kernelILj128ELj14ELj8EfEEvi20rocsparse_direction_NS_24const_host_device_scalarIT2_EEPKiS6_PKS3_S8_S4_PS3_21rocsparse_index_base_b,comdat
.Lfunc_end61:
	.size	_ZN9rocsparseL19gebsrmvn_1xn_kernelILj128ELj14ELj8EfEEvi20rocsparse_direction_NS_24const_host_device_scalarIT2_EEPKiS6_PKS3_S8_S4_PS3_21rocsparse_index_base_b, .Lfunc_end61-_ZN9rocsparseL19gebsrmvn_1xn_kernelILj128ELj14ELj8EfEEvi20rocsparse_direction_NS_24const_host_device_scalarIT2_EEPKiS6_PKS3_S8_S4_PS3_21rocsparse_index_base_b
                                        ; -- End function
	.set _ZN9rocsparseL19gebsrmvn_1xn_kernelILj128ELj14ELj8EfEEvi20rocsparse_direction_NS_24const_host_device_scalarIT2_EEPKiS6_PKS3_S8_S4_PS3_21rocsparse_index_base_b.num_vgpr, 41
	.set _ZN9rocsparseL19gebsrmvn_1xn_kernelILj128ELj14ELj8EfEEvi20rocsparse_direction_NS_24const_host_device_scalarIT2_EEPKiS6_PKS3_S8_S4_PS3_21rocsparse_index_base_b.num_agpr, 0
	.set _ZN9rocsparseL19gebsrmvn_1xn_kernelILj128ELj14ELj8EfEEvi20rocsparse_direction_NS_24const_host_device_scalarIT2_EEPKiS6_PKS3_S8_S4_PS3_21rocsparse_index_base_b.numbered_sgpr, 14
	.set _ZN9rocsparseL19gebsrmvn_1xn_kernelILj128ELj14ELj8EfEEvi20rocsparse_direction_NS_24const_host_device_scalarIT2_EEPKiS6_PKS3_S8_S4_PS3_21rocsparse_index_base_b.num_named_barrier, 0
	.set _ZN9rocsparseL19gebsrmvn_1xn_kernelILj128ELj14ELj8EfEEvi20rocsparse_direction_NS_24const_host_device_scalarIT2_EEPKiS6_PKS3_S8_S4_PS3_21rocsparse_index_base_b.private_seg_size, 0
	.set _ZN9rocsparseL19gebsrmvn_1xn_kernelILj128ELj14ELj8EfEEvi20rocsparse_direction_NS_24const_host_device_scalarIT2_EEPKiS6_PKS3_S8_S4_PS3_21rocsparse_index_base_b.uses_vcc, 1
	.set _ZN9rocsparseL19gebsrmvn_1xn_kernelILj128ELj14ELj8EfEEvi20rocsparse_direction_NS_24const_host_device_scalarIT2_EEPKiS6_PKS3_S8_S4_PS3_21rocsparse_index_base_b.uses_flat_scratch, 0
	.set _ZN9rocsparseL19gebsrmvn_1xn_kernelILj128ELj14ELj8EfEEvi20rocsparse_direction_NS_24const_host_device_scalarIT2_EEPKiS6_PKS3_S8_S4_PS3_21rocsparse_index_base_b.has_dyn_sized_stack, 0
	.set _ZN9rocsparseL19gebsrmvn_1xn_kernelILj128ELj14ELj8EfEEvi20rocsparse_direction_NS_24const_host_device_scalarIT2_EEPKiS6_PKS3_S8_S4_PS3_21rocsparse_index_base_b.has_recursion, 0
	.set _ZN9rocsparseL19gebsrmvn_1xn_kernelILj128ELj14ELj8EfEEvi20rocsparse_direction_NS_24const_host_device_scalarIT2_EEPKiS6_PKS3_S8_S4_PS3_21rocsparse_index_base_b.has_indirect_call, 0
	.section	.AMDGPU.csdata,"",@progbits
; Kernel info:
; codeLenInByte = 1428
; TotalNumSgprs: 16
; NumVgprs: 41
; ScratchSize: 0
; MemoryBound: 0
; FloatMode: 240
; IeeeMode: 1
; LDSByteSize: 0 bytes/workgroup (compile time only)
; SGPRBlocks: 0
; VGPRBlocks: 5
; NumSGPRsForWavesPerEU: 16
; NumVGPRsForWavesPerEU: 41
; Occupancy: 16
; WaveLimiterHint : 1
; COMPUTE_PGM_RSRC2:SCRATCH_EN: 0
; COMPUTE_PGM_RSRC2:USER_SGPR: 6
; COMPUTE_PGM_RSRC2:TRAP_HANDLER: 0
; COMPUTE_PGM_RSRC2:TGID_X_EN: 1
; COMPUTE_PGM_RSRC2:TGID_Y_EN: 0
; COMPUTE_PGM_RSRC2:TGID_Z_EN: 0
; COMPUTE_PGM_RSRC2:TIDIG_COMP_CNT: 0
	.section	.text._ZN9rocsparseL19gebsrmvn_1xn_kernelILj128ELj14ELj16EfEEvi20rocsparse_direction_NS_24const_host_device_scalarIT2_EEPKiS6_PKS3_S8_S4_PS3_21rocsparse_index_base_b,"axG",@progbits,_ZN9rocsparseL19gebsrmvn_1xn_kernelILj128ELj14ELj16EfEEvi20rocsparse_direction_NS_24const_host_device_scalarIT2_EEPKiS6_PKS3_S8_S4_PS3_21rocsparse_index_base_b,comdat
	.globl	_ZN9rocsparseL19gebsrmvn_1xn_kernelILj128ELj14ELj16EfEEvi20rocsparse_direction_NS_24const_host_device_scalarIT2_EEPKiS6_PKS3_S8_S4_PS3_21rocsparse_index_base_b ; -- Begin function _ZN9rocsparseL19gebsrmvn_1xn_kernelILj128ELj14ELj16EfEEvi20rocsparse_direction_NS_24const_host_device_scalarIT2_EEPKiS6_PKS3_S8_S4_PS3_21rocsparse_index_base_b
	.p2align	8
	.type	_ZN9rocsparseL19gebsrmvn_1xn_kernelILj128ELj14ELj16EfEEvi20rocsparse_direction_NS_24const_host_device_scalarIT2_EEPKiS6_PKS3_S8_S4_PS3_21rocsparse_index_base_b,@function
_ZN9rocsparseL19gebsrmvn_1xn_kernelILj128ELj14ELj16EfEEvi20rocsparse_direction_NS_24const_host_device_scalarIT2_EEPKiS6_PKS3_S8_S4_PS3_21rocsparse_index_base_b: ; @_ZN9rocsparseL19gebsrmvn_1xn_kernelILj128ELj14ELj16EfEEvi20rocsparse_direction_NS_24const_host_device_scalarIT2_EEPKiS6_PKS3_S8_S4_PS3_21rocsparse_index_base_b
; %bb.0:
	s_clause 0x2
	s_load_dwordx2 s[12:13], s[4:5], 0x40
	s_load_dwordx2 s[10:11], s[4:5], 0x8
	;; [unrolled: 1-line block ×3, first 2 shown]
	s_waitcnt lgkmcnt(0)
	s_bitcmp1_b32 s13, 0
	s_cselect_b32 s0, -1, 0
	s_and_b32 vcc_lo, exec_lo, s0
	s_xor_b32 s0, s0, -1
	s_cbranch_vccnz .LBB62_2
; %bb.1:
	s_load_dword s10, s[10:11], 0x0
.LBB62_2:
	s_andn2_b32 vcc_lo, exec_lo, s0
	s_cbranch_vccnz .LBB62_4
; %bb.3:
	s_load_dword s8, s[8:9], 0x0
.LBB62_4:
	s_waitcnt lgkmcnt(0)
	v_cmp_eq_f32_e64 s0, s10, 0
	v_cmp_eq_f32_e64 s1, s8, 1.0
	s_and_b32 s0, s0, s1
	s_and_b32 vcc_lo, exec_lo, s0
	s_cbranch_vccnz .LBB62_15
; %bb.5:
	s_load_dword s0, s[4:5], 0x0
	v_lshrrev_b32_e32 v1, 4, v0
	v_lshl_or_b32 v1, s6, 3, v1
	s_waitcnt lgkmcnt(0)
	v_cmp_gt_i32_e32 vcc_lo, s0, v1
	s_and_saveexec_b32 s0, vcc_lo
	s_cbranch_execz .LBB62_15
; %bb.6:
	s_clause 0x1
	s_load_dwordx2 s[0:1], s[4:5], 0x10
	s_load_dwordx2 s[6:7], s[4:5], 0x38
	v_ashrrev_i32_e32 v2, 31, v1
	v_and_b32_e32 v0, 15, v0
	v_mov_b32_e32 v9, 0
	s_mov_b32 s9, exec_lo
	v_lshlrev_b64 v[1:2], 2, v[1:2]
	v_subrev_nc_u32_e32 v5, s12, v0
	s_waitcnt lgkmcnt(0)
	v_add_co_u32 v3, vcc_lo, s0, v1
	v_add_co_ci_u32_e64 v4, null, s1, v2, vcc_lo
	global_load_dwordx2 v[3:4], v[3:4], off
	s_waitcnt vmcnt(0)
	v_subrev_nc_u32_e32 v10, s12, v4
	v_add_nc_u32_e32 v3, v3, v5
	v_cmpx_lt_i32_e64 v3, v10
	s_cbranch_execz .LBB62_10
; %bb.7:
	s_clause 0x1
	s_load_dwordx4 s[0:3], s[4:5], 0x18
	s_load_dwordx2 s[4:5], s[4:5], 0x28
	v_mad_u64_u32 v[5:6], null, v3, 14, 13
	v_mov_b32_e32 v8, 0
	v_mov_b32_e32 v9, 0
	s_mov_b32 s11, 0
.LBB62_8:                               ; =>This Inner Loop Header: Depth=1
	v_ashrrev_i32_e32 v4, 31, v3
	v_mov_b32_e32 v12, v8
	v_lshlrev_b64 v[6:7], 2, v[3:4]
	v_add_nc_u32_e32 v3, 16, v3
	s_waitcnt lgkmcnt(0)
	v_add_co_u32 v6, vcc_lo, s0, v6
	v_add_co_ci_u32_e64 v7, null, s1, v7, vcc_lo
	global_load_dword v4, v[6:7], off
	v_add_nc_u32_e32 v7, -13, v5
	v_mov_b32_e32 v6, v8
	v_lshlrev_b64 v[13:14], 2, v[7:8]
	v_add_nc_u32_e32 v7, -11, v5
	v_lshlrev_b64 v[15:16], 2, v[5:6]
	v_lshlrev_b64 v[6:7], 2, v[7:8]
	v_add_co_u32 v13, vcc_lo, s2, v13
	v_add_co_ci_u32_e64 v14, null, s3, v14, vcc_lo
	v_add_co_u32 v6, vcc_lo, s2, v6
	v_add_co_ci_u32_e64 v7, null, s3, v7, vcc_lo
	s_clause 0x1
	global_load_dwordx2 v[13:14], v[13:14], off
	global_load_dword v33, v[6:7], off
	s_waitcnt vmcnt(2)
	v_subrev_nc_u32_e32 v4, s12, v4
	v_mul_lo_u32 v11, v4, 14
	v_add_nc_u32_e32 v7, 2, v11
	v_lshlrev_b64 v[17:18], 2, v[11:12]
	v_lshlrev_b64 v[19:20], 2, v[7:8]
	v_add_nc_u32_e32 v7, -10, v5
	v_add_co_u32 v17, vcc_lo, s4, v17
	v_add_co_ci_u32_e64 v18, null, s5, v18, vcc_lo
	v_lshlrev_b64 v[21:22], 2, v[7:8]
	v_add_nc_u32_e32 v7, -9, v5
	v_add_co_u32 v19, vcc_lo, s4, v19
	v_add_co_ci_u32_e64 v20, null, s5, v20, vcc_lo
	v_lshlrev_b64 v[23:24], 2, v[7:8]
	v_add_nc_u32_e32 v7, 4, v11
	v_add_co_u32 v21, vcc_lo, s2, v21
	v_add_co_ci_u32_e64 v22, null, s3, v22, vcc_lo
	v_lshlrev_b64 v[25:26], 2, v[7:8]
	v_add_nc_u32_e32 v7, -8, v5
	s_clause 0x1
	global_load_dwordx2 v[17:18], v[17:18], off
	global_load_dwordx2 v[19:20], v[19:20], off
	global_load_dword v4, v[21:22], off
	v_add_co_u32 v21, vcc_lo, s2, v23
	v_add_co_ci_u32_e64 v22, null, s3, v24, vcc_lo
	v_lshlrev_b64 v[23:24], 2, v[7:8]
	v_add_co_u32 v25, vcc_lo, s4, v25
	v_add_co_ci_u32_e64 v26, null, s5, v26, vcc_lo
	v_add_nc_u32_e32 v7, -7, v5
	v_add_co_u32 v23, vcc_lo, s2, v23
	v_add_co_ci_u32_e64 v24, null, s3, v24, vcc_lo
	global_load_dword v34, v[21:22], off
	global_load_dwordx2 v[25:26], v[25:26], off
	global_load_dword v35, v[23:24], off
	v_lshlrev_b64 v[21:22], 2, v[7:8]
	v_add_nc_u32_e32 v7, 6, v11
	v_lshlrev_b64 v[27:28], 2, v[7:8]
	v_add_nc_u32_e32 v7, -6, v5
	v_add_co_u32 v21, vcc_lo, s2, v21
	v_add_co_ci_u32_e64 v22, null, s3, v22, vcc_lo
	v_lshlrev_b64 v[23:24], 2, v[7:8]
	v_add_nc_u32_e32 v7, -5, v5
	global_load_dword v36, v[21:22], off
	v_add_co_u32 v21, vcc_lo, s4, v27
	v_add_co_ci_u32_e64 v22, null, s5, v28, vcc_lo
	v_lshlrev_b64 v[27:28], 2, v[7:8]
	v_add_nc_u32_e32 v7, 8, v11
	v_add_co_u32 v23, vcc_lo, s2, v23
	v_add_co_ci_u32_e64 v24, null, s3, v24, vcc_lo
	v_lshlrev_b64 v[29:30], 2, v[7:8]
	v_add_nc_u32_e32 v7, -4, v5
	global_load_dwordx2 v[21:22], v[21:22], off
	global_load_dword v37, v[23:24], off
	v_add_co_u32 v23, vcc_lo, s2, v27
	v_add_co_ci_u32_e64 v24, null, s3, v28, vcc_lo
	v_lshlrev_b64 v[27:28], 2, v[7:8]
	v_add_nc_u32_e32 v7, -3, v5
	v_add_co_u32 v29, vcc_lo, s4, v29
	global_load_dword v38, v[23:24], off
	v_add_co_ci_u32_e64 v30, null, s5, v30, vcc_lo
	v_lshlrev_b64 v[23:24], 2, v[7:8]
	v_add_nc_u32_e32 v7, 10, v11
	v_add_co_u32 v27, vcc_lo, s2, v27
	v_add_co_ci_u32_e64 v28, null, s3, v28, vcc_lo
	v_lshlrev_b64 v[31:32], 2, v[7:8]
	v_add_nc_u32_e32 v7, -2, v5
	v_add_co_u32 v23, vcc_lo, s2, v23
	v_add_co_ci_u32_e64 v24, null, s3, v24, vcc_lo
	global_load_dword v39, v[27:28], off
	v_lshlrev_b64 v[27:28], 2, v[7:8]
	v_add_nc_u32_e32 v7, -1, v5
	global_load_dwordx2 v[29:30], v[29:30], off
	global_load_dword v40, v[23:24], off
	v_add_co_u32 v23, vcc_lo, s4, v31
	v_add_co_ci_u32_e64 v24, null, s5, v32, vcc_lo
	v_lshlrev_b64 v[31:32], 2, v[7:8]
	v_add_nc_u32_e32 v7, 12, v11
	v_add_co_u32 v11, vcc_lo, s2, v27
	v_add_co_ci_u32_e64 v12, null, s3, v28, vcc_lo
	v_lshlrev_b64 v[6:7], 2, v[7:8]
	global_load_dwordx2 v[23:24], v[23:24], off
	v_add_nc_u32_e32 v5, 0xe0, v5
	global_load_dword v27, v[11:12], off
	v_add_co_u32 v11, vcc_lo, s2, v31
	v_add_co_ci_u32_e64 v12, null, s3, v32, vcc_lo
	v_add_co_u32 v6, vcc_lo, s4, v6
	v_add_co_ci_u32_e64 v7, null, s5, v7, vcc_lo
	;; [unrolled: 2-line block ×3, first 2 shown]
	global_load_dword v11, v[11:12], off
	global_load_dwordx2 v[6:7], v[6:7], off
	global_load_dword v12, v[15:16], off
	v_cmp_ge_i32_e32 vcc_lo, v3, v10
	s_or_b32 s11, vcc_lo, s11
	s_waitcnt vmcnt(17)
	v_fmac_f32_e32 v9, v13, v17
	v_fmac_f32_e32 v9, v14, v18
	s_waitcnt vmcnt(16)
	v_fmac_f32_e32 v9, v33, v19
	s_waitcnt vmcnt(15)
	;; [unrolled: 2-line block ×7, first 2 shown]
	v_fmac_f32_e32 v9, v38, v29
	v_fmac_f32_e32 v9, v39, v30
	s_waitcnt vmcnt(4)
	v_fmac_f32_e32 v9, v40, v23
	s_waitcnt vmcnt(3)
	;; [unrolled: 2-line block ×4, first 2 shown]
	v_fmac_f32_e32 v9, v12, v7
	s_andn2_b32 exec_lo, exec_lo, s11
	s_cbranch_execnz .LBB62_8
; %bb.9:
	s_or_b32 exec_lo, exec_lo, s11
.LBB62_10:
	s_or_b32 exec_lo, exec_lo, s9
	v_mbcnt_lo_u32_b32 v3, -1, 0
	s_mov_b32 s0, -1
	v_xor_b32_e32 v4, 8, v3
	v_xor_b32_e32 v5, 4, v3
	;; [unrolled: 1-line block ×3, first 2 shown]
	v_cmp_gt_i32_e32 vcc_lo, 32, v4
	v_cndmask_b32_e32 v4, v3, v4, vcc_lo
	v_cmp_gt_i32_e32 vcc_lo, 32, v5
	v_lshlrev_b32_e32 v4, 2, v4
	v_cndmask_b32_e32 v5, v3, v5, vcc_lo
	v_cmp_gt_i32_e32 vcc_lo, 32, v6
	ds_bpermute_b32 v4, v4, v9
	v_lshlrev_b32_e32 v5, 2, v5
	v_cndmask_b32_e32 v6, v3, v6, vcc_lo
	v_lshlrev_b32_e32 v6, 2, v6
	s_waitcnt lgkmcnt(0)
	v_add_f32_e32 v4, v9, v4
	ds_bpermute_b32 v5, v5, v4
	s_waitcnt lgkmcnt(0)
	v_add_f32_e32 v4, v4, v5
	ds_bpermute_b32 v5, v6, v4
	v_xor_b32_e32 v6, 1, v3
	v_cmp_gt_i32_e32 vcc_lo, 32, v6
	v_cndmask_b32_e32 v6, v3, v6, vcc_lo
	v_cmp_eq_u32_e32 vcc_lo, 15, v0
	s_waitcnt lgkmcnt(0)
	v_add_f32_e32 v3, v4, v5
	v_lshlrev_b32_e32 v4, 2, v6
	ds_bpermute_b32 v4, v4, v3
	s_and_b32 exec_lo, exec_lo, vcc_lo
	s_cbranch_execz .LBB62_15
; %bb.11:
	s_waitcnt lgkmcnt(0)
	v_add_f32_e32 v0, v3, v4
	v_cmp_eq_f32_e64 s1, s8, 0
	v_mul_f32_e32 v0, s10, v0
	s_and_b32 vcc_lo, exec_lo, s1
	s_cbranch_vccz .LBB62_13
; %bb.12:
	v_add_co_u32 v3, vcc_lo, s6, v1
	v_add_co_ci_u32_e64 v4, null, s7, v2, vcc_lo
	s_mov_b32 s0, 0
	global_store_dword v[3:4], v0, off
.LBB62_13:
	s_andn2_b32 vcc_lo, exec_lo, s0
	s_cbranch_vccnz .LBB62_15
; %bb.14:
	v_add_co_u32 v1, vcc_lo, s6, v1
	v_add_co_ci_u32_e64 v2, null, s7, v2, vcc_lo
	global_load_dword v3, v[1:2], off
	s_waitcnt vmcnt(0)
	v_fmac_f32_e32 v0, s8, v3
	global_store_dword v[1:2], v0, off
.LBB62_15:
	s_endpgm
	.section	.rodata,"a",@progbits
	.p2align	6, 0x0
	.amdhsa_kernel _ZN9rocsparseL19gebsrmvn_1xn_kernelILj128ELj14ELj16EfEEvi20rocsparse_direction_NS_24const_host_device_scalarIT2_EEPKiS6_PKS3_S8_S4_PS3_21rocsparse_index_base_b
		.amdhsa_group_segment_fixed_size 0
		.amdhsa_private_segment_fixed_size 0
		.amdhsa_kernarg_size 72
		.amdhsa_user_sgpr_count 6
		.amdhsa_user_sgpr_private_segment_buffer 1
		.amdhsa_user_sgpr_dispatch_ptr 0
		.amdhsa_user_sgpr_queue_ptr 0
		.amdhsa_user_sgpr_kernarg_segment_ptr 1
		.amdhsa_user_sgpr_dispatch_id 0
		.amdhsa_user_sgpr_flat_scratch_init 0
		.amdhsa_user_sgpr_private_segment_size 0
		.amdhsa_wavefront_size32 1
		.amdhsa_uses_dynamic_stack 0
		.amdhsa_system_sgpr_private_segment_wavefront_offset 0
		.amdhsa_system_sgpr_workgroup_id_x 1
		.amdhsa_system_sgpr_workgroup_id_y 0
		.amdhsa_system_sgpr_workgroup_id_z 0
		.amdhsa_system_sgpr_workgroup_info 0
		.amdhsa_system_vgpr_workitem_id 0
		.amdhsa_next_free_vgpr 41
		.amdhsa_next_free_sgpr 14
		.amdhsa_reserve_vcc 1
		.amdhsa_reserve_flat_scratch 0
		.amdhsa_float_round_mode_32 0
		.amdhsa_float_round_mode_16_64 0
		.amdhsa_float_denorm_mode_32 3
		.amdhsa_float_denorm_mode_16_64 3
		.amdhsa_dx10_clamp 1
		.amdhsa_ieee_mode 1
		.amdhsa_fp16_overflow 0
		.amdhsa_workgroup_processor_mode 1
		.amdhsa_memory_ordered 1
		.amdhsa_forward_progress 1
		.amdhsa_shared_vgpr_count 0
		.amdhsa_exception_fp_ieee_invalid_op 0
		.amdhsa_exception_fp_denorm_src 0
		.amdhsa_exception_fp_ieee_div_zero 0
		.amdhsa_exception_fp_ieee_overflow 0
		.amdhsa_exception_fp_ieee_underflow 0
		.amdhsa_exception_fp_ieee_inexact 0
		.amdhsa_exception_int_div_zero 0
	.end_amdhsa_kernel
	.section	.text._ZN9rocsparseL19gebsrmvn_1xn_kernelILj128ELj14ELj16EfEEvi20rocsparse_direction_NS_24const_host_device_scalarIT2_EEPKiS6_PKS3_S8_S4_PS3_21rocsparse_index_base_b,"axG",@progbits,_ZN9rocsparseL19gebsrmvn_1xn_kernelILj128ELj14ELj16EfEEvi20rocsparse_direction_NS_24const_host_device_scalarIT2_EEPKiS6_PKS3_S8_S4_PS3_21rocsparse_index_base_b,comdat
.Lfunc_end62:
	.size	_ZN9rocsparseL19gebsrmvn_1xn_kernelILj128ELj14ELj16EfEEvi20rocsparse_direction_NS_24const_host_device_scalarIT2_EEPKiS6_PKS3_S8_S4_PS3_21rocsparse_index_base_b, .Lfunc_end62-_ZN9rocsparseL19gebsrmvn_1xn_kernelILj128ELj14ELj16EfEEvi20rocsparse_direction_NS_24const_host_device_scalarIT2_EEPKiS6_PKS3_S8_S4_PS3_21rocsparse_index_base_b
                                        ; -- End function
	.set _ZN9rocsparseL19gebsrmvn_1xn_kernelILj128ELj14ELj16EfEEvi20rocsparse_direction_NS_24const_host_device_scalarIT2_EEPKiS6_PKS3_S8_S4_PS3_21rocsparse_index_base_b.num_vgpr, 41
	.set _ZN9rocsparseL19gebsrmvn_1xn_kernelILj128ELj14ELj16EfEEvi20rocsparse_direction_NS_24const_host_device_scalarIT2_EEPKiS6_PKS3_S8_S4_PS3_21rocsparse_index_base_b.num_agpr, 0
	.set _ZN9rocsparseL19gebsrmvn_1xn_kernelILj128ELj14ELj16EfEEvi20rocsparse_direction_NS_24const_host_device_scalarIT2_EEPKiS6_PKS3_S8_S4_PS3_21rocsparse_index_base_b.numbered_sgpr, 14
	.set _ZN9rocsparseL19gebsrmvn_1xn_kernelILj128ELj14ELj16EfEEvi20rocsparse_direction_NS_24const_host_device_scalarIT2_EEPKiS6_PKS3_S8_S4_PS3_21rocsparse_index_base_b.num_named_barrier, 0
	.set _ZN9rocsparseL19gebsrmvn_1xn_kernelILj128ELj14ELj16EfEEvi20rocsparse_direction_NS_24const_host_device_scalarIT2_EEPKiS6_PKS3_S8_S4_PS3_21rocsparse_index_base_b.private_seg_size, 0
	.set _ZN9rocsparseL19gebsrmvn_1xn_kernelILj128ELj14ELj16EfEEvi20rocsparse_direction_NS_24const_host_device_scalarIT2_EEPKiS6_PKS3_S8_S4_PS3_21rocsparse_index_base_b.uses_vcc, 1
	.set _ZN9rocsparseL19gebsrmvn_1xn_kernelILj128ELj14ELj16EfEEvi20rocsparse_direction_NS_24const_host_device_scalarIT2_EEPKiS6_PKS3_S8_S4_PS3_21rocsparse_index_base_b.uses_flat_scratch, 0
	.set _ZN9rocsparseL19gebsrmvn_1xn_kernelILj128ELj14ELj16EfEEvi20rocsparse_direction_NS_24const_host_device_scalarIT2_EEPKiS6_PKS3_S8_S4_PS3_21rocsparse_index_base_b.has_dyn_sized_stack, 0
	.set _ZN9rocsparseL19gebsrmvn_1xn_kernelILj128ELj14ELj16EfEEvi20rocsparse_direction_NS_24const_host_device_scalarIT2_EEPKiS6_PKS3_S8_S4_PS3_21rocsparse_index_base_b.has_recursion, 0
	.set _ZN9rocsparseL19gebsrmvn_1xn_kernelILj128ELj14ELj16EfEEvi20rocsparse_direction_NS_24const_host_device_scalarIT2_EEPKiS6_PKS3_S8_S4_PS3_21rocsparse_index_base_b.has_indirect_call, 0
	.section	.AMDGPU.csdata,"",@progbits
; Kernel info:
; codeLenInByte = 1460
; TotalNumSgprs: 16
; NumVgprs: 41
; ScratchSize: 0
; MemoryBound: 0
; FloatMode: 240
; IeeeMode: 1
; LDSByteSize: 0 bytes/workgroup (compile time only)
; SGPRBlocks: 0
; VGPRBlocks: 5
; NumSGPRsForWavesPerEU: 16
; NumVGPRsForWavesPerEU: 41
; Occupancy: 16
; WaveLimiterHint : 1
; COMPUTE_PGM_RSRC2:SCRATCH_EN: 0
; COMPUTE_PGM_RSRC2:USER_SGPR: 6
; COMPUTE_PGM_RSRC2:TRAP_HANDLER: 0
; COMPUTE_PGM_RSRC2:TGID_X_EN: 1
; COMPUTE_PGM_RSRC2:TGID_Y_EN: 0
; COMPUTE_PGM_RSRC2:TGID_Z_EN: 0
; COMPUTE_PGM_RSRC2:TIDIG_COMP_CNT: 0
	.section	.text._ZN9rocsparseL19gebsrmvn_1xn_kernelILj128ELj14ELj32EfEEvi20rocsparse_direction_NS_24const_host_device_scalarIT2_EEPKiS6_PKS3_S8_S4_PS3_21rocsparse_index_base_b,"axG",@progbits,_ZN9rocsparseL19gebsrmvn_1xn_kernelILj128ELj14ELj32EfEEvi20rocsparse_direction_NS_24const_host_device_scalarIT2_EEPKiS6_PKS3_S8_S4_PS3_21rocsparse_index_base_b,comdat
	.globl	_ZN9rocsparseL19gebsrmvn_1xn_kernelILj128ELj14ELj32EfEEvi20rocsparse_direction_NS_24const_host_device_scalarIT2_EEPKiS6_PKS3_S8_S4_PS3_21rocsparse_index_base_b ; -- Begin function _ZN9rocsparseL19gebsrmvn_1xn_kernelILj128ELj14ELj32EfEEvi20rocsparse_direction_NS_24const_host_device_scalarIT2_EEPKiS6_PKS3_S8_S4_PS3_21rocsparse_index_base_b
	.p2align	8
	.type	_ZN9rocsparseL19gebsrmvn_1xn_kernelILj128ELj14ELj32EfEEvi20rocsparse_direction_NS_24const_host_device_scalarIT2_EEPKiS6_PKS3_S8_S4_PS3_21rocsparse_index_base_b,@function
_ZN9rocsparseL19gebsrmvn_1xn_kernelILj128ELj14ELj32EfEEvi20rocsparse_direction_NS_24const_host_device_scalarIT2_EEPKiS6_PKS3_S8_S4_PS3_21rocsparse_index_base_b: ; @_ZN9rocsparseL19gebsrmvn_1xn_kernelILj128ELj14ELj32EfEEvi20rocsparse_direction_NS_24const_host_device_scalarIT2_EEPKiS6_PKS3_S8_S4_PS3_21rocsparse_index_base_b
; %bb.0:
	s_clause 0x2
	s_load_dwordx2 s[12:13], s[4:5], 0x40
	s_load_dwordx2 s[10:11], s[4:5], 0x8
	;; [unrolled: 1-line block ×3, first 2 shown]
	s_waitcnt lgkmcnt(0)
	s_bitcmp1_b32 s13, 0
	s_cselect_b32 s0, -1, 0
	s_and_b32 vcc_lo, exec_lo, s0
	s_xor_b32 s0, s0, -1
	s_cbranch_vccnz .LBB63_2
; %bb.1:
	s_load_dword s10, s[10:11], 0x0
.LBB63_2:
	s_andn2_b32 vcc_lo, exec_lo, s0
	s_cbranch_vccnz .LBB63_4
; %bb.3:
	s_load_dword s8, s[8:9], 0x0
.LBB63_4:
	s_waitcnt lgkmcnt(0)
	v_cmp_eq_f32_e64 s0, s10, 0
	v_cmp_eq_f32_e64 s1, s8, 1.0
	s_and_b32 s0, s0, s1
	s_and_b32 vcc_lo, exec_lo, s0
	s_cbranch_vccnz .LBB63_15
; %bb.5:
	s_load_dword s0, s[4:5], 0x0
	v_lshrrev_b32_e32 v1, 5, v0
	v_lshl_or_b32 v1, s6, 2, v1
	s_waitcnt lgkmcnt(0)
	v_cmp_gt_i32_e32 vcc_lo, s0, v1
	s_and_saveexec_b32 s0, vcc_lo
	s_cbranch_execz .LBB63_15
; %bb.6:
	s_clause 0x1
	s_load_dwordx2 s[0:1], s[4:5], 0x10
	s_load_dwordx2 s[6:7], s[4:5], 0x38
	v_ashrrev_i32_e32 v2, 31, v1
	v_and_b32_e32 v0, 31, v0
	v_mov_b32_e32 v9, 0
	s_mov_b32 s9, exec_lo
	v_lshlrev_b64 v[1:2], 2, v[1:2]
	v_subrev_nc_u32_e32 v5, s12, v0
	s_waitcnt lgkmcnt(0)
	v_add_co_u32 v3, vcc_lo, s0, v1
	v_add_co_ci_u32_e64 v4, null, s1, v2, vcc_lo
	global_load_dwordx2 v[3:4], v[3:4], off
	s_waitcnt vmcnt(0)
	v_subrev_nc_u32_e32 v10, s12, v4
	v_add_nc_u32_e32 v3, v3, v5
	v_cmpx_lt_i32_e64 v3, v10
	s_cbranch_execz .LBB63_10
; %bb.7:
	s_clause 0x1
	s_load_dwordx4 s[0:3], s[4:5], 0x18
	s_load_dwordx2 s[4:5], s[4:5], 0x28
	v_mad_u64_u32 v[5:6], null, v3, 14, 13
	v_mov_b32_e32 v8, 0
	v_mov_b32_e32 v9, 0
	s_mov_b32 s11, 0
.LBB63_8:                               ; =>This Inner Loop Header: Depth=1
	v_ashrrev_i32_e32 v4, 31, v3
	v_mov_b32_e32 v12, v8
	v_lshlrev_b64 v[6:7], 2, v[3:4]
	v_add_nc_u32_e32 v3, 32, v3
	s_waitcnt lgkmcnt(0)
	v_add_co_u32 v6, vcc_lo, s0, v6
	v_add_co_ci_u32_e64 v7, null, s1, v7, vcc_lo
	global_load_dword v4, v[6:7], off
	v_add_nc_u32_e32 v7, -13, v5
	v_mov_b32_e32 v6, v8
	v_lshlrev_b64 v[13:14], 2, v[7:8]
	v_add_nc_u32_e32 v7, -11, v5
	v_lshlrev_b64 v[15:16], 2, v[5:6]
	v_lshlrev_b64 v[6:7], 2, v[7:8]
	v_add_co_u32 v13, vcc_lo, s2, v13
	v_add_co_ci_u32_e64 v14, null, s3, v14, vcc_lo
	v_add_co_u32 v6, vcc_lo, s2, v6
	v_add_co_ci_u32_e64 v7, null, s3, v7, vcc_lo
	s_clause 0x1
	global_load_dwordx2 v[13:14], v[13:14], off
	global_load_dword v33, v[6:7], off
	s_waitcnt vmcnt(2)
	v_subrev_nc_u32_e32 v4, s12, v4
	v_mul_lo_u32 v11, v4, 14
	v_add_nc_u32_e32 v7, 2, v11
	v_lshlrev_b64 v[17:18], 2, v[11:12]
	v_lshlrev_b64 v[19:20], 2, v[7:8]
	v_add_nc_u32_e32 v7, -10, v5
	v_add_co_u32 v17, vcc_lo, s4, v17
	v_add_co_ci_u32_e64 v18, null, s5, v18, vcc_lo
	v_lshlrev_b64 v[21:22], 2, v[7:8]
	v_add_nc_u32_e32 v7, -9, v5
	v_add_co_u32 v19, vcc_lo, s4, v19
	v_add_co_ci_u32_e64 v20, null, s5, v20, vcc_lo
	v_lshlrev_b64 v[23:24], 2, v[7:8]
	v_add_nc_u32_e32 v7, 4, v11
	v_add_co_u32 v21, vcc_lo, s2, v21
	v_add_co_ci_u32_e64 v22, null, s3, v22, vcc_lo
	v_lshlrev_b64 v[25:26], 2, v[7:8]
	v_add_nc_u32_e32 v7, -8, v5
	s_clause 0x1
	global_load_dwordx2 v[17:18], v[17:18], off
	global_load_dwordx2 v[19:20], v[19:20], off
	global_load_dword v4, v[21:22], off
	v_add_co_u32 v21, vcc_lo, s2, v23
	v_add_co_ci_u32_e64 v22, null, s3, v24, vcc_lo
	v_lshlrev_b64 v[23:24], 2, v[7:8]
	v_add_co_u32 v25, vcc_lo, s4, v25
	v_add_co_ci_u32_e64 v26, null, s5, v26, vcc_lo
	v_add_nc_u32_e32 v7, -7, v5
	v_add_co_u32 v23, vcc_lo, s2, v23
	v_add_co_ci_u32_e64 v24, null, s3, v24, vcc_lo
	global_load_dword v34, v[21:22], off
	global_load_dwordx2 v[25:26], v[25:26], off
	global_load_dword v35, v[23:24], off
	v_lshlrev_b64 v[21:22], 2, v[7:8]
	v_add_nc_u32_e32 v7, 6, v11
	v_lshlrev_b64 v[27:28], 2, v[7:8]
	v_add_nc_u32_e32 v7, -6, v5
	v_add_co_u32 v21, vcc_lo, s2, v21
	v_add_co_ci_u32_e64 v22, null, s3, v22, vcc_lo
	v_lshlrev_b64 v[23:24], 2, v[7:8]
	v_add_nc_u32_e32 v7, -5, v5
	global_load_dword v36, v[21:22], off
	v_add_co_u32 v21, vcc_lo, s4, v27
	v_add_co_ci_u32_e64 v22, null, s5, v28, vcc_lo
	v_lshlrev_b64 v[27:28], 2, v[7:8]
	v_add_nc_u32_e32 v7, 8, v11
	v_add_co_u32 v23, vcc_lo, s2, v23
	v_add_co_ci_u32_e64 v24, null, s3, v24, vcc_lo
	v_lshlrev_b64 v[29:30], 2, v[7:8]
	v_add_nc_u32_e32 v7, -4, v5
	global_load_dwordx2 v[21:22], v[21:22], off
	global_load_dword v37, v[23:24], off
	v_add_co_u32 v23, vcc_lo, s2, v27
	v_add_co_ci_u32_e64 v24, null, s3, v28, vcc_lo
	v_lshlrev_b64 v[27:28], 2, v[7:8]
	v_add_nc_u32_e32 v7, -3, v5
	v_add_co_u32 v29, vcc_lo, s4, v29
	global_load_dword v38, v[23:24], off
	v_add_co_ci_u32_e64 v30, null, s5, v30, vcc_lo
	v_lshlrev_b64 v[23:24], 2, v[7:8]
	v_add_nc_u32_e32 v7, 10, v11
	v_add_co_u32 v27, vcc_lo, s2, v27
	v_add_co_ci_u32_e64 v28, null, s3, v28, vcc_lo
	v_lshlrev_b64 v[31:32], 2, v[7:8]
	v_add_nc_u32_e32 v7, -2, v5
	v_add_co_u32 v23, vcc_lo, s2, v23
	v_add_co_ci_u32_e64 v24, null, s3, v24, vcc_lo
	global_load_dword v39, v[27:28], off
	v_lshlrev_b64 v[27:28], 2, v[7:8]
	v_add_nc_u32_e32 v7, -1, v5
	global_load_dwordx2 v[29:30], v[29:30], off
	global_load_dword v40, v[23:24], off
	v_add_co_u32 v23, vcc_lo, s4, v31
	v_add_co_ci_u32_e64 v24, null, s5, v32, vcc_lo
	v_lshlrev_b64 v[31:32], 2, v[7:8]
	v_add_nc_u32_e32 v7, 12, v11
	v_add_co_u32 v11, vcc_lo, s2, v27
	v_add_co_ci_u32_e64 v12, null, s3, v28, vcc_lo
	v_lshlrev_b64 v[6:7], 2, v[7:8]
	global_load_dwordx2 v[23:24], v[23:24], off
	v_add_nc_u32_e32 v5, 0x1c0, v5
	global_load_dword v27, v[11:12], off
	v_add_co_u32 v11, vcc_lo, s2, v31
	v_add_co_ci_u32_e64 v12, null, s3, v32, vcc_lo
	v_add_co_u32 v6, vcc_lo, s4, v6
	v_add_co_ci_u32_e64 v7, null, s5, v7, vcc_lo
	;; [unrolled: 2-line block ×3, first 2 shown]
	global_load_dword v11, v[11:12], off
	global_load_dwordx2 v[6:7], v[6:7], off
	global_load_dword v12, v[15:16], off
	v_cmp_ge_i32_e32 vcc_lo, v3, v10
	s_or_b32 s11, vcc_lo, s11
	s_waitcnt vmcnt(17)
	v_fmac_f32_e32 v9, v13, v17
	v_fmac_f32_e32 v9, v14, v18
	s_waitcnt vmcnt(16)
	v_fmac_f32_e32 v9, v33, v19
	s_waitcnt vmcnt(15)
	;; [unrolled: 2-line block ×7, first 2 shown]
	v_fmac_f32_e32 v9, v38, v29
	v_fmac_f32_e32 v9, v39, v30
	s_waitcnt vmcnt(4)
	v_fmac_f32_e32 v9, v40, v23
	s_waitcnt vmcnt(3)
	;; [unrolled: 2-line block ×4, first 2 shown]
	v_fmac_f32_e32 v9, v12, v7
	s_andn2_b32 exec_lo, exec_lo, s11
	s_cbranch_execnz .LBB63_8
; %bb.9:
	s_or_b32 exec_lo, exec_lo, s11
.LBB63_10:
	s_or_b32 exec_lo, exec_lo, s9
	v_mbcnt_lo_u32_b32 v3, -1, 0
	s_mov_b32 s0, -1
	v_xor_b32_e32 v4, 16, v3
	v_xor_b32_e32 v5, 8, v3
	;; [unrolled: 1-line block ×3, first 2 shown]
	v_cmp_gt_i32_e32 vcc_lo, 32, v4
	v_cndmask_b32_e32 v4, v3, v4, vcc_lo
	v_cmp_gt_i32_e32 vcc_lo, 32, v5
	v_lshlrev_b32_e32 v4, 2, v4
	v_cndmask_b32_e32 v5, v3, v5, vcc_lo
	v_cmp_gt_i32_e32 vcc_lo, 32, v6
	ds_bpermute_b32 v4, v4, v9
	v_lshlrev_b32_e32 v5, 2, v5
	v_cndmask_b32_e32 v6, v3, v6, vcc_lo
	v_lshlrev_b32_e32 v6, 2, v6
	s_waitcnt lgkmcnt(0)
	v_add_f32_e32 v4, v9, v4
	ds_bpermute_b32 v5, v5, v4
	s_waitcnt lgkmcnt(0)
	v_add_f32_e32 v4, v4, v5
	ds_bpermute_b32 v5, v6, v4
	v_xor_b32_e32 v6, 2, v3
	v_cmp_gt_i32_e32 vcc_lo, 32, v6
	v_cndmask_b32_e32 v6, v3, v6, vcc_lo
	v_lshlrev_b32_e32 v6, 2, v6
	s_waitcnt lgkmcnt(0)
	v_add_f32_e32 v4, v4, v5
	ds_bpermute_b32 v5, v6, v4
	v_xor_b32_e32 v6, 1, v3
	v_cmp_gt_i32_e32 vcc_lo, 32, v6
	v_cndmask_b32_e32 v6, v3, v6, vcc_lo
	v_cmp_eq_u32_e32 vcc_lo, 31, v0
	s_waitcnt lgkmcnt(0)
	v_add_f32_e32 v3, v4, v5
	v_lshlrev_b32_e32 v4, 2, v6
	ds_bpermute_b32 v4, v4, v3
	s_and_b32 exec_lo, exec_lo, vcc_lo
	s_cbranch_execz .LBB63_15
; %bb.11:
	s_waitcnt lgkmcnt(0)
	v_add_f32_e32 v0, v3, v4
	v_cmp_eq_f32_e64 s1, s8, 0
	v_mul_f32_e32 v0, s10, v0
	s_and_b32 vcc_lo, exec_lo, s1
	s_cbranch_vccz .LBB63_13
; %bb.12:
	v_add_co_u32 v3, vcc_lo, s6, v1
	v_add_co_ci_u32_e64 v4, null, s7, v2, vcc_lo
	s_mov_b32 s0, 0
	global_store_dword v[3:4], v0, off
.LBB63_13:
	s_andn2_b32 vcc_lo, exec_lo, s0
	s_cbranch_vccnz .LBB63_15
; %bb.14:
	v_add_co_u32 v1, vcc_lo, s6, v1
	v_add_co_ci_u32_e64 v2, null, s7, v2, vcc_lo
	global_load_dword v3, v[1:2], off
	s_waitcnt vmcnt(0)
	v_fmac_f32_e32 v0, s8, v3
	global_store_dword v[1:2], v0, off
.LBB63_15:
	s_endpgm
	.section	.rodata,"a",@progbits
	.p2align	6, 0x0
	.amdhsa_kernel _ZN9rocsparseL19gebsrmvn_1xn_kernelILj128ELj14ELj32EfEEvi20rocsparse_direction_NS_24const_host_device_scalarIT2_EEPKiS6_PKS3_S8_S4_PS3_21rocsparse_index_base_b
		.amdhsa_group_segment_fixed_size 0
		.amdhsa_private_segment_fixed_size 0
		.amdhsa_kernarg_size 72
		.amdhsa_user_sgpr_count 6
		.amdhsa_user_sgpr_private_segment_buffer 1
		.amdhsa_user_sgpr_dispatch_ptr 0
		.amdhsa_user_sgpr_queue_ptr 0
		.amdhsa_user_sgpr_kernarg_segment_ptr 1
		.amdhsa_user_sgpr_dispatch_id 0
		.amdhsa_user_sgpr_flat_scratch_init 0
		.amdhsa_user_sgpr_private_segment_size 0
		.amdhsa_wavefront_size32 1
		.amdhsa_uses_dynamic_stack 0
		.amdhsa_system_sgpr_private_segment_wavefront_offset 0
		.amdhsa_system_sgpr_workgroup_id_x 1
		.amdhsa_system_sgpr_workgroup_id_y 0
		.amdhsa_system_sgpr_workgroup_id_z 0
		.amdhsa_system_sgpr_workgroup_info 0
		.amdhsa_system_vgpr_workitem_id 0
		.amdhsa_next_free_vgpr 41
		.amdhsa_next_free_sgpr 14
		.amdhsa_reserve_vcc 1
		.amdhsa_reserve_flat_scratch 0
		.amdhsa_float_round_mode_32 0
		.amdhsa_float_round_mode_16_64 0
		.amdhsa_float_denorm_mode_32 3
		.amdhsa_float_denorm_mode_16_64 3
		.amdhsa_dx10_clamp 1
		.amdhsa_ieee_mode 1
		.amdhsa_fp16_overflow 0
		.amdhsa_workgroup_processor_mode 1
		.amdhsa_memory_ordered 1
		.amdhsa_forward_progress 1
		.amdhsa_shared_vgpr_count 0
		.amdhsa_exception_fp_ieee_invalid_op 0
		.amdhsa_exception_fp_denorm_src 0
		.amdhsa_exception_fp_ieee_div_zero 0
		.amdhsa_exception_fp_ieee_overflow 0
		.amdhsa_exception_fp_ieee_underflow 0
		.amdhsa_exception_fp_ieee_inexact 0
		.amdhsa_exception_int_div_zero 0
	.end_amdhsa_kernel
	.section	.text._ZN9rocsparseL19gebsrmvn_1xn_kernelILj128ELj14ELj32EfEEvi20rocsparse_direction_NS_24const_host_device_scalarIT2_EEPKiS6_PKS3_S8_S4_PS3_21rocsparse_index_base_b,"axG",@progbits,_ZN9rocsparseL19gebsrmvn_1xn_kernelILj128ELj14ELj32EfEEvi20rocsparse_direction_NS_24const_host_device_scalarIT2_EEPKiS6_PKS3_S8_S4_PS3_21rocsparse_index_base_b,comdat
.Lfunc_end63:
	.size	_ZN9rocsparseL19gebsrmvn_1xn_kernelILj128ELj14ELj32EfEEvi20rocsparse_direction_NS_24const_host_device_scalarIT2_EEPKiS6_PKS3_S8_S4_PS3_21rocsparse_index_base_b, .Lfunc_end63-_ZN9rocsparseL19gebsrmvn_1xn_kernelILj128ELj14ELj32EfEEvi20rocsparse_direction_NS_24const_host_device_scalarIT2_EEPKiS6_PKS3_S8_S4_PS3_21rocsparse_index_base_b
                                        ; -- End function
	.set _ZN9rocsparseL19gebsrmvn_1xn_kernelILj128ELj14ELj32EfEEvi20rocsparse_direction_NS_24const_host_device_scalarIT2_EEPKiS6_PKS3_S8_S4_PS3_21rocsparse_index_base_b.num_vgpr, 41
	.set _ZN9rocsparseL19gebsrmvn_1xn_kernelILj128ELj14ELj32EfEEvi20rocsparse_direction_NS_24const_host_device_scalarIT2_EEPKiS6_PKS3_S8_S4_PS3_21rocsparse_index_base_b.num_agpr, 0
	.set _ZN9rocsparseL19gebsrmvn_1xn_kernelILj128ELj14ELj32EfEEvi20rocsparse_direction_NS_24const_host_device_scalarIT2_EEPKiS6_PKS3_S8_S4_PS3_21rocsparse_index_base_b.numbered_sgpr, 14
	.set _ZN9rocsparseL19gebsrmvn_1xn_kernelILj128ELj14ELj32EfEEvi20rocsparse_direction_NS_24const_host_device_scalarIT2_EEPKiS6_PKS3_S8_S4_PS3_21rocsparse_index_base_b.num_named_barrier, 0
	.set _ZN9rocsparseL19gebsrmvn_1xn_kernelILj128ELj14ELj32EfEEvi20rocsparse_direction_NS_24const_host_device_scalarIT2_EEPKiS6_PKS3_S8_S4_PS3_21rocsparse_index_base_b.private_seg_size, 0
	.set _ZN9rocsparseL19gebsrmvn_1xn_kernelILj128ELj14ELj32EfEEvi20rocsparse_direction_NS_24const_host_device_scalarIT2_EEPKiS6_PKS3_S8_S4_PS3_21rocsparse_index_base_b.uses_vcc, 1
	.set _ZN9rocsparseL19gebsrmvn_1xn_kernelILj128ELj14ELj32EfEEvi20rocsparse_direction_NS_24const_host_device_scalarIT2_EEPKiS6_PKS3_S8_S4_PS3_21rocsparse_index_base_b.uses_flat_scratch, 0
	.set _ZN9rocsparseL19gebsrmvn_1xn_kernelILj128ELj14ELj32EfEEvi20rocsparse_direction_NS_24const_host_device_scalarIT2_EEPKiS6_PKS3_S8_S4_PS3_21rocsparse_index_base_b.has_dyn_sized_stack, 0
	.set _ZN9rocsparseL19gebsrmvn_1xn_kernelILj128ELj14ELj32EfEEvi20rocsparse_direction_NS_24const_host_device_scalarIT2_EEPKiS6_PKS3_S8_S4_PS3_21rocsparse_index_base_b.has_recursion, 0
	.set _ZN9rocsparseL19gebsrmvn_1xn_kernelILj128ELj14ELj32EfEEvi20rocsparse_direction_NS_24const_host_device_scalarIT2_EEPKiS6_PKS3_S8_S4_PS3_21rocsparse_index_base_b.has_indirect_call, 0
	.section	.AMDGPU.csdata,"",@progbits
; Kernel info:
; codeLenInByte = 1492
; TotalNumSgprs: 16
; NumVgprs: 41
; ScratchSize: 0
; MemoryBound: 0
; FloatMode: 240
; IeeeMode: 1
; LDSByteSize: 0 bytes/workgroup (compile time only)
; SGPRBlocks: 0
; VGPRBlocks: 5
; NumSGPRsForWavesPerEU: 16
; NumVGPRsForWavesPerEU: 41
; Occupancy: 16
; WaveLimiterHint : 1
; COMPUTE_PGM_RSRC2:SCRATCH_EN: 0
; COMPUTE_PGM_RSRC2:USER_SGPR: 6
; COMPUTE_PGM_RSRC2:TRAP_HANDLER: 0
; COMPUTE_PGM_RSRC2:TGID_X_EN: 1
; COMPUTE_PGM_RSRC2:TGID_Y_EN: 0
; COMPUTE_PGM_RSRC2:TGID_Z_EN: 0
; COMPUTE_PGM_RSRC2:TIDIG_COMP_CNT: 0
	.section	.text._ZN9rocsparseL19gebsrmvn_1xn_kernelILj128ELj14ELj64EfEEvi20rocsparse_direction_NS_24const_host_device_scalarIT2_EEPKiS6_PKS3_S8_S4_PS3_21rocsparse_index_base_b,"axG",@progbits,_ZN9rocsparseL19gebsrmvn_1xn_kernelILj128ELj14ELj64EfEEvi20rocsparse_direction_NS_24const_host_device_scalarIT2_EEPKiS6_PKS3_S8_S4_PS3_21rocsparse_index_base_b,comdat
	.globl	_ZN9rocsparseL19gebsrmvn_1xn_kernelILj128ELj14ELj64EfEEvi20rocsparse_direction_NS_24const_host_device_scalarIT2_EEPKiS6_PKS3_S8_S4_PS3_21rocsparse_index_base_b ; -- Begin function _ZN9rocsparseL19gebsrmvn_1xn_kernelILj128ELj14ELj64EfEEvi20rocsparse_direction_NS_24const_host_device_scalarIT2_EEPKiS6_PKS3_S8_S4_PS3_21rocsparse_index_base_b
	.p2align	8
	.type	_ZN9rocsparseL19gebsrmvn_1xn_kernelILj128ELj14ELj64EfEEvi20rocsparse_direction_NS_24const_host_device_scalarIT2_EEPKiS6_PKS3_S8_S4_PS3_21rocsparse_index_base_b,@function
_ZN9rocsparseL19gebsrmvn_1xn_kernelILj128ELj14ELj64EfEEvi20rocsparse_direction_NS_24const_host_device_scalarIT2_EEPKiS6_PKS3_S8_S4_PS3_21rocsparse_index_base_b: ; @_ZN9rocsparseL19gebsrmvn_1xn_kernelILj128ELj14ELj64EfEEvi20rocsparse_direction_NS_24const_host_device_scalarIT2_EEPKiS6_PKS3_S8_S4_PS3_21rocsparse_index_base_b
; %bb.0:
	s_clause 0x2
	s_load_dwordx2 s[12:13], s[4:5], 0x40
	s_load_dwordx2 s[10:11], s[4:5], 0x8
	;; [unrolled: 1-line block ×3, first 2 shown]
	s_waitcnt lgkmcnt(0)
	s_bitcmp1_b32 s13, 0
	s_cselect_b32 s0, -1, 0
	s_and_b32 vcc_lo, exec_lo, s0
	s_xor_b32 s0, s0, -1
	s_cbranch_vccnz .LBB64_2
; %bb.1:
	s_load_dword s10, s[10:11], 0x0
.LBB64_2:
	s_andn2_b32 vcc_lo, exec_lo, s0
	s_cbranch_vccnz .LBB64_4
; %bb.3:
	s_load_dword s8, s[8:9], 0x0
.LBB64_4:
	s_waitcnt lgkmcnt(0)
	v_cmp_eq_f32_e64 s0, s10, 0
	v_cmp_eq_f32_e64 s1, s8, 1.0
	s_and_b32 s0, s0, s1
	s_and_b32 vcc_lo, exec_lo, s0
	s_cbranch_vccnz .LBB64_15
; %bb.5:
	s_load_dword s0, s[4:5], 0x0
	v_lshrrev_b32_e32 v1, 6, v0
	v_lshl_or_b32 v1, s6, 1, v1
	s_waitcnt lgkmcnt(0)
	v_cmp_gt_i32_e32 vcc_lo, s0, v1
	s_and_saveexec_b32 s0, vcc_lo
	s_cbranch_execz .LBB64_15
; %bb.6:
	s_clause 0x1
	s_load_dwordx2 s[0:1], s[4:5], 0x10
	s_load_dwordx2 s[6:7], s[4:5], 0x38
	v_ashrrev_i32_e32 v2, 31, v1
	v_and_b32_e32 v0, 63, v0
	v_mov_b32_e32 v9, 0
	s_mov_b32 s9, exec_lo
	v_lshlrev_b64 v[1:2], 2, v[1:2]
	v_subrev_nc_u32_e32 v5, s12, v0
	s_waitcnt lgkmcnt(0)
	v_add_co_u32 v3, vcc_lo, s0, v1
	v_add_co_ci_u32_e64 v4, null, s1, v2, vcc_lo
	global_load_dwordx2 v[3:4], v[3:4], off
	s_waitcnt vmcnt(0)
	v_subrev_nc_u32_e32 v10, s12, v4
	v_add_nc_u32_e32 v3, v3, v5
	v_cmpx_lt_i32_e64 v3, v10
	s_cbranch_execz .LBB64_10
; %bb.7:
	s_clause 0x1
	s_load_dwordx4 s[0:3], s[4:5], 0x18
	s_load_dwordx2 s[4:5], s[4:5], 0x28
	v_mad_u64_u32 v[5:6], null, v3, 14, 13
	v_mov_b32_e32 v8, 0
	v_mov_b32_e32 v9, 0
	s_mov_b32 s11, 0
.LBB64_8:                               ; =>This Inner Loop Header: Depth=1
	v_ashrrev_i32_e32 v4, 31, v3
	v_mov_b32_e32 v12, v8
	v_lshlrev_b64 v[6:7], 2, v[3:4]
	v_add_nc_u32_e32 v3, 64, v3
	s_waitcnt lgkmcnt(0)
	v_add_co_u32 v6, vcc_lo, s0, v6
	v_add_co_ci_u32_e64 v7, null, s1, v7, vcc_lo
	global_load_dword v4, v[6:7], off
	v_add_nc_u32_e32 v7, -13, v5
	v_mov_b32_e32 v6, v8
	v_lshlrev_b64 v[13:14], 2, v[7:8]
	v_add_nc_u32_e32 v7, -11, v5
	v_lshlrev_b64 v[15:16], 2, v[5:6]
	v_lshlrev_b64 v[6:7], 2, v[7:8]
	v_add_co_u32 v13, vcc_lo, s2, v13
	v_add_co_ci_u32_e64 v14, null, s3, v14, vcc_lo
	v_add_co_u32 v6, vcc_lo, s2, v6
	v_add_co_ci_u32_e64 v7, null, s3, v7, vcc_lo
	s_clause 0x1
	global_load_dwordx2 v[13:14], v[13:14], off
	global_load_dword v33, v[6:7], off
	s_waitcnt vmcnt(2)
	v_subrev_nc_u32_e32 v4, s12, v4
	v_mul_lo_u32 v11, v4, 14
	v_add_nc_u32_e32 v7, 2, v11
	v_lshlrev_b64 v[17:18], 2, v[11:12]
	v_lshlrev_b64 v[19:20], 2, v[7:8]
	v_add_nc_u32_e32 v7, -10, v5
	v_add_co_u32 v17, vcc_lo, s4, v17
	v_add_co_ci_u32_e64 v18, null, s5, v18, vcc_lo
	v_lshlrev_b64 v[21:22], 2, v[7:8]
	v_add_nc_u32_e32 v7, -9, v5
	v_add_co_u32 v19, vcc_lo, s4, v19
	v_add_co_ci_u32_e64 v20, null, s5, v20, vcc_lo
	v_lshlrev_b64 v[23:24], 2, v[7:8]
	v_add_nc_u32_e32 v7, 4, v11
	v_add_co_u32 v21, vcc_lo, s2, v21
	v_add_co_ci_u32_e64 v22, null, s3, v22, vcc_lo
	v_lshlrev_b64 v[25:26], 2, v[7:8]
	v_add_nc_u32_e32 v7, -8, v5
	s_clause 0x1
	global_load_dwordx2 v[17:18], v[17:18], off
	global_load_dwordx2 v[19:20], v[19:20], off
	global_load_dword v4, v[21:22], off
	v_add_co_u32 v21, vcc_lo, s2, v23
	v_add_co_ci_u32_e64 v22, null, s3, v24, vcc_lo
	v_lshlrev_b64 v[23:24], 2, v[7:8]
	v_add_co_u32 v25, vcc_lo, s4, v25
	v_add_co_ci_u32_e64 v26, null, s5, v26, vcc_lo
	v_add_nc_u32_e32 v7, -7, v5
	v_add_co_u32 v23, vcc_lo, s2, v23
	v_add_co_ci_u32_e64 v24, null, s3, v24, vcc_lo
	global_load_dword v34, v[21:22], off
	global_load_dwordx2 v[25:26], v[25:26], off
	global_load_dword v35, v[23:24], off
	v_lshlrev_b64 v[21:22], 2, v[7:8]
	v_add_nc_u32_e32 v7, 6, v11
	v_lshlrev_b64 v[27:28], 2, v[7:8]
	v_add_nc_u32_e32 v7, -6, v5
	v_add_co_u32 v21, vcc_lo, s2, v21
	v_add_co_ci_u32_e64 v22, null, s3, v22, vcc_lo
	v_lshlrev_b64 v[23:24], 2, v[7:8]
	v_add_nc_u32_e32 v7, -5, v5
	global_load_dword v36, v[21:22], off
	v_add_co_u32 v21, vcc_lo, s4, v27
	v_add_co_ci_u32_e64 v22, null, s5, v28, vcc_lo
	v_lshlrev_b64 v[27:28], 2, v[7:8]
	v_add_nc_u32_e32 v7, 8, v11
	v_add_co_u32 v23, vcc_lo, s2, v23
	v_add_co_ci_u32_e64 v24, null, s3, v24, vcc_lo
	v_lshlrev_b64 v[29:30], 2, v[7:8]
	v_add_nc_u32_e32 v7, -4, v5
	global_load_dwordx2 v[21:22], v[21:22], off
	global_load_dword v37, v[23:24], off
	v_add_co_u32 v23, vcc_lo, s2, v27
	v_add_co_ci_u32_e64 v24, null, s3, v28, vcc_lo
	v_lshlrev_b64 v[27:28], 2, v[7:8]
	v_add_nc_u32_e32 v7, -3, v5
	v_add_co_u32 v29, vcc_lo, s4, v29
	global_load_dword v38, v[23:24], off
	v_add_co_ci_u32_e64 v30, null, s5, v30, vcc_lo
	v_lshlrev_b64 v[23:24], 2, v[7:8]
	v_add_nc_u32_e32 v7, 10, v11
	v_add_co_u32 v27, vcc_lo, s2, v27
	v_add_co_ci_u32_e64 v28, null, s3, v28, vcc_lo
	v_lshlrev_b64 v[31:32], 2, v[7:8]
	v_add_nc_u32_e32 v7, -2, v5
	v_add_co_u32 v23, vcc_lo, s2, v23
	v_add_co_ci_u32_e64 v24, null, s3, v24, vcc_lo
	global_load_dword v39, v[27:28], off
	v_lshlrev_b64 v[27:28], 2, v[7:8]
	v_add_nc_u32_e32 v7, -1, v5
	global_load_dwordx2 v[29:30], v[29:30], off
	global_load_dword v40, v[23:24], off
	v_add_co_u32 v23, vcc_lo, s4, v31
	v_add_co_ci_u32_e64 v24, null, s5, v32, vcc_lo
	v_lshlrev_b64 v[31:32], 2, v[7:8]
	v_add_nc_u32_e32 v7, 12, v11
	v_add_co_u32 v11, vcc_lo, s2, v27
	v_add_co_ci_u32_e64 v12, null, s3, v28, vcc_lo
	v_lshlrev_b64 v[6:7], 2, v[7:8]
	global_load_dwordx2 v[23:24], v[23:24], off
	v_add_nc_u32_e32 v5, 0x380, v5
	global_load_dword v27, v[11:12], off
	v_add_co_u32 v11, vcc_lo, s2, v31
	v_add_co_ci_u32_e64 v12, null, s3, v32, vcc_lo
	v_add_co_u32 v6, vcc_lo, s4, v6
	v_add_co_ci_u32_e64 v7, null, s5, v7, vcc_lo
	;; [unrolled: 2-line block ×3, first 2 shown]
	global_load_dword v11, v[11:12], off
	global_load_dwordx2 v[6:7], v[6:7], off
	global_load_dword v12, v[15:16], off
	v_cmp_ge_i32_e32 vcc_lo, v3, v10
	s_or_b32 s11, vcc_lo, s11
	s_waitcnt vmcnt(17)
	v_fmac_f32_e32 v9, v13, v17
	v_fmac_f32_e32 v9, v14, v18
	s_waitcnt vmcnt(16)
	v_fmac_f32_e32 v9, v33, v19
	s_waitcnt vmcnt(15)
	;; [unrolled: 2-line block ×7, first 2 shown]
	v_fmac_f32_e32 v9, v38, v29
	v_fmac_f32_e32 v9, v39, v30
	s_waitcnt vmcnt(4)
	v_fmac_f32_e32 v9, v40, v23
	s_waitcnt vmcnt(3)
	;; [unrolled: 2-line block ×4, first 2 shown]
	v_fmac_f32_e32 v9, v12, v7
	s_andn2_b32 exec_lo, exec_lo, s11
	s_cbranch_execnz .LBB64_8
; %bb.9:
	s_or_b32 exec_lo, exec_lo, s11
.LBB64_10:
	s_or_b32 exec_lo, exec_lo, s9
	v_mbcnt_lo_u32_b32 v3, -1, 0
	s_mov_b32 s0, -1
	v_or_b32_e32 v4, 32, v3
	v_xor_b32_e32 v5, 16, v3
	v_xor_b32_e32 v6, 8, v3
	v_cmp_gt_i32_e32 vcc_lo, 32, v4
	v_cndmask_b32_e32 v4, v3, v4, vcc_lo
	v_cmp_gt_i32_e32 vcc_lo, 32, v5
	v_lshlrev_b32_e32 v4, 2, v4
	v_cndmask_b32_e32 v5, v3, v5, vcc_lo
	v_cmp_gt_i32_e32 vcc_lo, 32, v6
	ds_bpermute_b32 v4, v4, v9
	v_lshlrev_b32_e32 v5, 2, v5
	v_cndmask_b32_e32 v6, v3, v6, vcc_lo
	v_lshlrev_b32_e32 v6, 2, v6
	s_waitcnt lgkmcnt(0)
	v_add_f32_e32 v4, v9, v4
	ds_bpermute_b32 v5, v5, v4
	s_waitcnt lgkmcnt(0)
	v_add_f32_e32 v4, v4, v5
	ds_bpermute_b32 v5, v6, v4
	v_xor_b32_e32 v6, 4, v3
	v_cmp_gt_i32_e32 vcc_lo, 32, v6
	v_cndmask_b32_e32 v6, v3, v6, vcc_lo
	v_lshlrev_b32_e32 v6, 2, v6
	s_waitcnt lgkmcnt(0)
	v_add_f32_e32 v4, v4, v5
	ds_bpermute_b32 v5, v6, v4
	v_xor_b32_e32 v6, 2, v3
	v_cmp_gt_i32_e32 vcc_lo, 32, v6
	v_cndmask_b32_e32 v6, v3, v6, vcc_lo
	v_lshlrev_b32_e32 v6, 2, v6
	s_waitcnt lgkmcnt(0)
	v_add_f32_e32 v4, v4, v5
	ds_bpermute_b32 v5, v6, v4
	v_xor_b32_e32 v6, 1, v3
	v_cmp_gt_i32_e32 vcc_lo, 32, v6
	v_cndmask_b32_e32 v6, v3, v6, vcc_lo
	v_cmp_eq_u32_e32 vcc_lo, 63, v0
	s_waitcnt lgkmcnt(0)
	v_add_f32_e32 v3, v4, v5
	v_lshlrev_b32_e32 v4, 2, v6
	ds_bpermute_b32 v4, v4, v3
	s_and_b32 exec_lo, exec_lo, vcc_lo
	s_cbranch_execz .LBB64_15
; %bb.11:
	s_waitcnt lgkmcnt(0)
	v_add_f32_e32 v0, v3, v4
	v_cmp_eq_f32_e64 s1, s8, 0
	v_mul_f32_e32 v0, s10, v0
	s_and_b32 vcc_lo, exec_lo, s1
	s_cbranch_vccz .LBB64_13
; %bb.12:
	v_add_co_u32 v3, vcc_lo, s6, v1
	v_add_co_ci_u32_e64 v4, null, s7, v2, vcc_lo
	s_mov_b32 s0, 0
	global_store_dword v[3:4], v0, off
.LBB64_13:
	s_andn2_b32 vcc_lo, exec_lo, s0
	s_cbranch_vccnz .LBB64_15
; %bb.14:
	v_add_co_u32 v1, vcc_lo, s6, v1
	v_add_co_ci_u32_e64 v2, null, s7, v2, vcc_lo
	global_load_dword v3, v[1:2], off
	s_waitcnt vmcnt(0)
	v_fmac_f32_e32 v0, s8, v3
	global_store_dword v[1:2], v0, off
.LBB64_15:
	s_endpgm
	.section	.rodata,"a",@progbits
	.p2align	6, 0x0
	.amdhsa_kernel _ZN9rocsparseL19gebsrmvn_1xn_kernelILj128ELj14ELj64EfEEvi20rocsparse_direction_NS_24const_host_device_scalarIT2_EEPKiS6_PKS3_S8_S4_PS3_21rocsparse_index_base_b
		.amdhsa_group_segment_fixed_size 0
		.amdhsa_private_segment_fixed_size 0
		.amdhsa_kernarg_size 72
		.amdhsa_user_sgpr_count 6
		.amdhsa_user_sgpr_private_segment_buffer 1
		.amdhsa_user_sgpr_dispatch_ptr 0
		.amdhsa_user_sgpr_queue_ptr 0
		.amdhsa_user_sgpr_kernarg_segment_ptr 1
		.amdhsa_user_sgpr_dispatch_id 0
		.amdhsa_user_sgpr_flat_scratch_init 0
		.amdhsa_user_sgpr_private_segment_size 0
		.amdhsa_wavefront_size32 1
		.amdhsa_uses_dynamic_stack 0
		.amdhsa_system_sgpr_private_segment_wavefront_offset 0
		.amdhsa_system_sgpr_workgroup_id_x 1
		.amdhsa_system_sgpr_workgroup_id_y 0
		.amdhsa_system_sgpr_workgroup_id_z 0
		.amdhsa_system_sgpr_workgroup_info 0
		.amdhsa_system_vgpr_workitem_id 0
		.amdhsa_next_free_vgpr 41
		.amdhsa_next_free_sgpr 14
		.amdhsa_reserve_vcc 1
		.amdhsa_reserve_flat_scratch 0
		.amdhsa_float_round_mode_32 0
		.amdhsa_float_round_mode_16_64 0
		.amdhsa_float_denorm_mode_32 3
		.amdhsa_float_denorm_mode_16_64 3
		.amdhsa_dx10_clamp 1
		.amdhsa_ieee_mode 1
		.amdhsa_fp16_overflow 0
		.amdhsa_workgroup_processor_mode 1
		.amdhsa_memory_ordered 1
		.amdhsa_forward_progress 1
		.amdhsa_shared_vgpr_count 0
		.amdhsa_exception_fp_ieee_invalid_op 0
		.amdhsa_exception_fp_denorm_src 0
		.amdhsa_exception_fp_ieee_div_zero 0
		.amdhsa_exception_fp_ieee_overflow 0
		.amdhsa_exception_fp_ieee_underflow 0
		.amdhsa_exception_fp_ieee_inexact 0
		.amdhsa_exception_int_div_zero 0
	.end_amdhsa_kernel
	.section	.text._ZN9rocsparseL19gebsrmvn_1xn_kernelILj128ELj14ELj64EfEEvi20rocsparse_direction_NS_24const_host_device_scalarIT2_EEPKiS6_PKS3_S8_S4_PS3_21rocsparse_index_base_b,"axG",@progbits,_ZN9rocsparseL19gebsrmvn_1xn_kernelILj128ELj14ELj64EfEEvi20rocsparse_direction_NS_24const_host_device_scalarIT2_EEPKiS6_PKS3_S8_S4_PS3_21rocsparse_index_base_b,comdat
.Lfunc_end64:
	.size	_ZN9rocsparseL19gebsrmvn_1xn_kernelILj128ELj14ELj64EfEEvi20rocsparse_direction_NS_24const_host_device_scalarIT2_EEPKiS6_PKS3_S8_S4_PS3_21rocsparse_index_base_b, .Lfunc_end64-_ZN9rocsparseL19gebsrmvn_1xn_kernelILj128ELj14ELj64EfEEvi20rocsparse_direction_NS_24const_host_device_scalarIT2_EEPKiS6_PKS3_S8_S4_PS3_21rocsparse_index_base_b
                                        ; -- End function
	.set _ZN9rocsparseL19gebsrmvn_1xn_kernelILj128ELj14ELj64EfEEvi20rocsparse_direction_NS_24const_host_device_scalarIT2_EEPKiS6_PKS3_S8_S4_PS3_21rocsparse_index_base_b.num_vgpr, 41
	.set _ZN9rocsparseL19gebsrmvn_1xn_kernelILj128ELj14ELj64EfEEvi20rocsparse_direction_NS_24const_host_device_scalarIT2_EEPKiS6_PKS3_S8_S4_PS3_21rocsparse_index_base_b.num_agpr, 0
	.set _ZN9rocsparseL19gebsrmvn_1xn_kernelILj128ELj14ELj64EfEEvi20rocsparse_direction_NS_24const_host_device_scalarIT2_EEPKiS6_PKS3_S8_S4_PS3_21rocsparse_index_base_b.numbered_sgpr, 14
	.set _ZN9rocsparseL19gebsrmvn_1xn_kernelILj128ELj14ELj64EfEEvi20rocsparse_direction_NS_24const_host_device_scalarIT2_EEPKiS6_PKS3_S8_S4_PS3_21rocsparse_index_base_b.num_named_barrier, 0
	.set _ZN9rocsparseL19gebsrmvn_1xn_kernelILj128ELj14ELj64EfEEvi20rocsparse_direction_NS_24const_host_device_scalarIT2_EEPKiS6_PKS3_S8_S4_PS3_21rocsparse_index_base_b.private_seg_size, 0
	.set _ZN9rocsparseL19gebsrmvn_1xn_kernelILj128ELj14ELj64EfEEvi20rocsparse_direction_NS_24const_host_device_scalarIT2_EEPKiS6_PKS3_S8_S4_PS3_21rocsparse_index_base_b.uses_vcc, 1
	.set _ZN9rocsparseL19gebsrmvn_1xn_kernelILj128ELj14ELj64EfEEvi20rocsparse_direction_NS_24const_host_device_scalarIT2_EEPKiS6_PKS3_S8_S4_PS3_21rocsparse_index_base_b.uses_flat_scratch, 0
	.set _ZN9rocsparseL19gebsrmvn_1xn_kernelILj128ELj14ELj64EfEEvi20rocsparse_direction_NS_24const_host_device_scalarIT2_EEPKiS6_PKS3_S8_S4_PS3_21rocsparse_index_base_b.has_dyn_sized_stack, 0
	.set _ZN9rocsparseL19gebsrmvn_1xn_kernelILj128ELj14ELj64EfEEvi20rocsparse_direction_NS_24const_host_device_scalarIT2_EEPKiS6_PKS3_S8_S4_PS3_21rocsparse_index_base_b.has_recursion, 0
	.set _ZN9rocsparseL19gebsrmvn_1xn_kernelILj128ELj14ELj64EfEEvi20rocsparse_direction_NS_24const_host_device_scalarIT2_EEPKiS6_PKS3_S8_S4_PS3_21rocsparse_index_base_b.has_indirect_call, 0
	.section	.AMDGPU.csdata,"",@progbits
; Kernel info:
; codeLenInByte = 1524
; TotalNumSgprs: 16
; NumVgprs: 41
; ScratchSize: 0
; MemoryBound: 0
; FloatMode: 240
; IeeeMode: 1
; LDSByteSize: 0 bytes/workgroup (compile time only)
; SGPRBlocks: 0
; VGPRBlocks: 5
; NumSGPRsForWavesPerEU: 16
; NumVGPRsForWavesPerEU: 41
; Occupancy: 16
; WaveLimiterHint : 1
; COMPUTE_PGM_RSRC2:SCRATCH_EN: 0
; COMPUTE_PGM_RSRC2:USER_SGPR: 6
; COMPUTE_PGM_RSRC2:TRAP_HANDLER: 0
; COMPUTE_PGM_RSRC2:TGID_X_EN: 1
; COMPUTE_PGM_RSRC2:TGID_Y_EN: 0
; COMPUTE_PGM_RSRC2:TGID_Z_EN: 0
; COMPUTE_PGM_RSRC2:TIDIG_COMP_CNT: 0
	.section	.text._ZN9rocsparseL19gebsrmvn_1xn_kernelILj128ELj15ELj4EfEEvi20rocsparse_direction_NS_24const_host_device_scalarIT2_EEPKiS6_PKS3_S8_S4_PS3_21rocsparse_index_base_b,"axG",@progbits,_ZN9rocsparseL19gebsrmvn_1xn_kernelILj128ELj15ELj4EfEEvi20rocsparse_direction_NS_24const_host_device_scalarIT2_EEPKiS6_PKS3_S8_S4_PS3_21rocsparse_index_base_b,comdat
	.globl	_ZN9rocsparseL19gebsrmvn_1xn_kernelILj128ELj15ELj4EfEEvi20rocsparse_direction_NS_24const_host_device_scalarIT2_EEPKiS6_PKS3_S8_S4_PS3_21rocsparse_index_base_b ; -- Begin function _ZN9rocsparseL19gebsrmvn_1xn_kernelILj128ELj15ELj4EfEEvi20rocsparse_direction_NS_24const_host_device_scalarIT2_EEPKiS6_PKS3_S8_S4_PS3_21rocsparse_index_base_b
	.p2align	8
	.type	_ZN9rocsparseL19gebsrmvn_1xn_kernelILj128ELj15ELj4EfEEvi20rocsparse_direction_NS_24const_host_device_scalarIT2_EEPKiS6_PKS3_S8_S4_PS3_21rocsparse_index_base_b,@function
_ZN9rocsparseL19gebsrmvn_1xn_kernelILj128ELj15ELj4EfEEvi20rocsparse_direction_NS_24const_host_device_scalarIT2_EEPKiS6_PKS3_S8_S4_PS3_21rocsparse_index_base_b: ; @_ZN9rocsparseL19gebsrmvn_1xn_kernelILj128ELj15ELj4EfEEvi20rocsparse_direction_NS_24const_host_device_scalarIT2_EEPKiS6_PKS3_S8_S4_PS3_21rocsparse_index_base_b
; %bb.0:
	s_clause 0x2
	s_load_dwordx2 s[12:13], s[4:5], 0x40
	s_load_dwordx2 s[10:11], s[4:5], 0x8
	;; [unrolled: 1-line block ×3, first 2 shown]
	s_waitcnt lgkmcnt(0)
	s_bitcmp1_b32 s13, 0
	s_cselect_b32 s0, -1, 0
	s_and_b32 vcc_lo, exec_lo, s0
	s_xor_b32 s0, s0, -1
	s_cbranch_vccnz .LBB65_2
; %bb.1:
	s_load_dword s10, s[10:11], 0x0
.LBB65_2:
	s_andn2_b32 vcc_lo, exec_lo, s0
	s_cbranch_vccnz .LBB65_4
; %bb.3:
	s_load_dword s8, s[8:9], 0x0
.LBB65_4:
	s_waitcnt lgkmcnt(0)
	v_cmp_eq_f32_e64 s0, s10, 0
	v_cmp_eq_f32_e64 s1, s8, 1.0
	s_and_b32 s0, s0, s1
	s_and_b32 vcc_lo, exec_lo, s0
	s_cbranch_vccnz .LBB65_15
; %bb.5:
	s_load_dword s0, s[4:5], 0x0
	v_lshrrev_b32_e32 v1, 2, v0
	v_lshl_or_b32 v1, s6, 5, v1
	s_waitcnt lgkmcnt(0)
	v_cmp_gt_i32_e32 vcc_lo, s0, v1
	s_and_saveexec_b32 s0, vcc_lo
	s_cbranch_execz .LBB65_15
; %bb.6:
	s_clause 0x1
	s_load_dwordx2 s[0:1], s[4:5], 0x10
	s_load_dwordx2 s[6:7], s[4:5], 0x38
	v_ashrrev_i32_e32 v2, 31, v1
	v_and_b32_e32 v0, 3, v0
	v_mov_b32_e32 v9, 0
	s_mov_b32 s9, exec_lo
	v_lshlrev_b64 v[1:2], 2, v[1:2]
	v_subrev_nc_u32_e32 v5, s12, v0
	s_waitcnt lgkmcnt(0)
	v_add_co_u32 v3, vcc_lo, s0, v1
	v_add_co_ci_u32_e64 v4, null, s1, v2, vcc_lo
	global_load_dwordx2 v[3:4], v[3:4], off
	s_waitcnt vmcnt(0)
	v_subrev_nc_u32_e32 v10, s12, v4
	v_add_nc_u32_e32 v3, v3, v5
	v_cmpx_lt_i32_e64 v3, v10
	s_cbranch_execz .LBB65_10
; %bb.7:
	s_clause 0x1
	s_load_dwordx4 s[0:3], s[4:5], 0x18
	s_load_dwordx2 s[4:5], s[4:5], 0x28
	v_mad_u64_u32 v[5:6], null, v3, 15, 14
	v_mov_b32_e32 v8, 0
	v_mov_b32_e32 v9, 0
	s_mov_b32 s11, 0
.LBB65_8:                               ; =>This Inner Loop Header: Depth=1
	v_ashrrev_i32_e32 v4, 31, v3
	v_mov_b32_e32 v12, v8
	v_lshlrev_b64 v[6:7], 2, v[3:4]
	v_add_nc_u32_e32 v3, 4, v3
	s_waitcnt lgkmcnt(0)
	v_add_co_u32 v6, vcc_lo, s0, v6
	v_add_co_ci_u32_e64 v7, null, s1, v7, vcc_lo
	global_load_dword v4, v[6:7], off
	v_add_nc_u32_e32 v7, -14, v5
	v_mov_b32_e32 v6, v8
	v_lshlrev_b64 v[13:14], 2, v[7:8]
	v_add_nc_u32_e32 v7, -13, v5
	v_lshlrev_b64 v[15:16], 2, v[5:6]
	v_lshlrev_b64 v[6:7], 2, v[7:8]
	v_add_co_u32 v13, vcc_lo, s2, v13
	v_add_co_ci_u32_e64 v14, null, s3, v14, vcc_lo
	v_add_co_u32 v15, vcc_lo, s2, v15
	v_add_co_ci_u32_e64 v16, null, s3, v16, vcc_lo
	;; [unrolled: 2-line block ×3, first 2 shown]
	s_clause 0x1
	global_load_dword v21, v[13:14], off
	global_load_dword v22, v[6:7], off
	s_waitcnt vmcnt(2)
	v_subrev_nc_u32_e32 v4, s12, v4
	v_mul_lo_u32 v11, v4, 15
	v_add_nc_u32_e32 v7, 1, v11
	v_lshlrev_b64 v[12:13], 2, v[11:12]
	v_lshlrev_b64 v[17:18], 2, v[7:8]
	v_add_nc_u32_e32 v7, -12, v5
	v_add_co_u32 v12, vcc_lo, s4, v12
	v_add_co_ci_u32_e64 v13, null, s5, v13, vcc_lo
	v_add_co_u32 v17, vcc_lo, s4, v17
	v_lshlrev_b64 v[19:20], 2, v[7:8]
	v_add_nc_u32_e32 v7, 2, v11
	v_add_co_ci_u32_e64 v18, null, s5, v18, vcc_lo
	s_clause 0x1
	global_load_dword v4, v[12:13], off
	global_load_dword v23, v[17:18], off
	v_lshlrev_b64 v[12:13], 2, v[7:8]
	v_add_nc_u32_e32 v7, -11, v5
	v_add_co_u32 v17, vcc_lo, s2, v19
	v_add_co_ci_u32_e64 v18, null, s3, v20, vcc_lo
	v_add_co_u32 v12, vcc_lo, s4, v12
	v_lshlrev_b64 v[19:20], 2, v[7:8]
	v_add_co_ci_u32_e64 v13, null, s5, v13, vcc_lo
	v_add_nc_u32_e32 v7, 3, v11
	global_load_dword v24, v[17:18], off
	global_load_dword v25, v[12:13], off
	v_add_co_u32 v12, vcc_lo, s2, v19
	v_add_co_ci_u32_e64 v13, null, s3, v20, vcc_lo
	global_load_dword v26, v[12:13], off
	v_lshlrev_b64 v[17:18], 2, v[7:8]
	v_add_nc_u32_e32 v7, -10, v5
	v_lshlrev_b64 v[19:20], 2, v[7:8]
	v_add_nc_u32_e32 v7, 4, v11
	v_add_co_u32 v17, vcc_lo, s4, v17
	v_add_co_ci_u32_e64 v18, null, s5, v18, vcc_lo
	v_lshlrev_b64 v[12:13], 2, v[7:8]
	v_add_nc_u32_e32 v7, -9, v5
	global_load_dword v27, v[17:18], off
	v_add_co_u32 v17, vcc_lo, s2, v19
	v_add_co_ci_u32_e64 v18, null, s3, v20, vcc_lo
	v_add_co_u32 v12, vcc_lo, s4, v12
	v_lshlrev_b64 v[19:20], 2, v[7:8]
	v_add_co_ci_u32_e64 v13, null, s5, v13, vcc_lo
	v_add_nc_u32_e32 v7, 5, v11
	global_load_dword v28, v[17:18], off
	global_load_dword v29, v[12:13], off
	v_add_co_u32 v12, vcc_lo, s2, v19
	v_add_co_ci_u32_e64 v13, null, s3, v20, vcc_lo
	global_load_dword v30, v[12:13], off
	v_lshlrev_b64 v[17:18], 2, v[7:8]
	v_add_nc_u32_e32 v7, -8, v5
	v_lshlrev_b64 v[19:20], 2, v[7:8]
	v_add_nc_u32_e32 v7, 6, v11
	v_add_co_u32 v17, vcc_lo, s4, v17
	v_add_co_ci_u32_e64 v18, null, s5, v18, vcc_lo
	v_lshlrev_b64 v[12:13], 2, v[7:8]
	v_add_nc_u32_e32 v7, -7, v5
	global_load_dword v31, v[17:18], off
	;; [unrolled: 20-line block ×4, first 2 shown]
	v_add_co_u32 v17, vcc_lo, s2, v19
	v_add_co_ci_u32_e64 v18, null, s3, v20, vcc_lo
	v_add_co_u32 v12, vcc_lo, s4, v12
	v_lshlrev_b64 v[19:20], 2, v[7:8]
	v_add_co_ci_u32_e64 v13, null, s5, v13, vcc_lo
	v_add_nc_u32_e32 v7, 11, v11
	global_load_dword v40, v[17:18], off
	global_load_dword v41, v[12:13], off
	v_add_co_u32 v12, vcc_lo, s2, v19
	v_add_co_ci_u32_e64 v13, null, s3, v20, vcc_lo
	global_load_dword v42, v[12:13], off
	v_lshlrev_b64 v[17:18], 2, v[7:8]
	v_add_nc_u32_e32 v7, -2, v5
	v_lshlrev_b64 v[19:20], 2, v[7:8]
	v_add_nc_u32_e32 v7, 12, v11
	v_add_co_u32 v17, vcc_lo, s4, v17
	v_add_co_ci_u32_e64 v18, null, s5, v18, vcc_lo
	v_lshlrev_b64 v[12:13], 2, v[7:8]
	v_add_nc_u32_e32 v7, -1, v5
	v_add_nc_u32_e32 v5, 60, v5
	global_load_dword v43, v[17:18], off
	v_add_co_u32 v17, vcc_lo, s2, v19
	v_add_co_ci_u32_e64 v18, null, s3, v20, vcc_lo
	v_lshlrev_b64 v[19:20], 2, v[7:8]
	v_add_nc_u32_e32 v7, 13, v11
	v_add_co_u32 v12, vcc_lo, s4, v12
	global_load_dword v44, v[17:18], off
	v_add_co_ci_u32_e64 v13, null, s5, v13, vcc_lo
	v_lshlrev_b64 v[17:18], 2, v[7:8]
	v_add_nc_u32_e32 v7, 14, v11
	v_add_co_u32 v11, vcc_lo, s2, v19
	global_load_dword v45, v[12:13], off
	v_add_co_ci_u32_e64 v12, null, s3, v20, vcc_lo
	v_lshlrev_b64 v[6:7], 2, v[7:8]
	v_add_co_u32 v13, vcc_lo, s4, v17
	v_add_co_ci_u32_e64 v14, null, s5, v18, vcc_lo
	global_load_dword v11, v[11:12], off
	global_load_dword v12, v[13:14], off
	v_add_co_u32 v6, vcc_lo, s4, v6
	v_add_co_ci_u32_e64 v7, null, s5, v7, vcc_lo
	global_load_dword v13, v[15:16], off
	global_load_dword v6, v[6:7], off
	v_cmp_ge_i32_e32 vcc_lo, v3, v10
	s_or_b32 s11, vcc_lo, s11
	s_waitcnt vmcnt(27)
	v_fmac_f32_e32 v9, v21, v4
	s_waitcnt vmcnt(26)
	v_fmac_f32_e32 v9, v22, v23
	;; [unrolled: 2-line block ×15, first 2 shown]
	s_andn2_b32 exec_lo, exec_lo, s11
	s_cbranch_execnz .LBB65_8
; %bb.9:
	s_or_b32 exec_lo, exec_lo, s11
.LBB65_10:
	s_or_b32 exec_lo, exec_lo, s9
	v_mbcnt_lo_u32_b32 v3, -1, 0
	s_mov_b32 s0, -1
	v_xor_b32_e32 v4, 2, v3
	v_xor_b32_e32 v5, 1, v3
	v_cmp_gt_i32_e32 vcc_lo, 32, v4
	v_cndmask_b32_e32 v4, v3, v4, vcc_lo
	v_cmp_gt_i32_e32 vcc_lo, 32, v5
	v_lshlrev_b32_e32 v4, 2, v4
	v_cndmask_b32_e32 v5, v3, v5, vcc_lo
	v_cmp_eq_u32_e32 vcc_lo, 3, v0
	ds_bpermute_b32 v4, v4, v9
	s_waitcnt lgkmcnt(0)
	v_add_f32_e32 v3, v9, v4
	v_lshlrev_b32_e32 v4, 2, v5
	ds_bpermute_b32 v4, v4, v3
	s_and_b32 exec_lo, exec_lo, vcc_lo
	s_cbranch_execz .LBB65_15
; %bb.11:
	s_waitcnt lgkmcnt(0)
	v_add_f32_e32 v0, v3, v4
	v_cmp_eq_f32_e64 s1, s8, 0
	v_mul_f32_e32 v0, s10, v0
	s_and_b32 vcc_lo, exec_lo, s1
	s_cbranch_vccz .LBB65_13
; %bb.12:
	v_add_co_u32 v3, vcc_lo, s6, v1
	v_add_co_ci_u32_e64 v4, null, s7, v2, vcc_lo
	s_mov_b32 s0, 0
	global_store_dword v[3:4], v0, off
.LBB65_13:
	s_andn2_b32 vcc_lo, exec_lo, s0
	s_cbranch_vccnz .LBB65_15
; %bb.14:
	v_add_co_u32 v1, vcc_lo, s6, v1
	v_add_co_ci_u32_e64 v2, null, s7, v2, vcc_lo
	global_load_dword v3, v[1:2], off
	s_waitcnt vmcnt(0)
	v_fmac_f32_e32 v0, s8, v3
	global_store_dword v[1:2], v0, off
.LBB65_15:
	s_endpgm
	.section	.rodata,"a",@progbits
	.p2align	6, 0x0
	.amdhsa_kernel _ZN9rocsparseL19gebsrmvn_1xn_kernelILj128ELj15ELj4EfEEvi20rocsparse_direction_NS_24const_host_device_scalarIT2_EEPKiS6_PKS3_S8_S4_PS3_21rocsparse_index_base_b
		.amdhsa_group_segment_fixed_size 0
		.amdhsa_private_segment_fixed_size 0
		.amdhsa_kernarg_size 72
		.amdhsa_user_sgpr_count 6
		.amdhsa_user_sgpr_private_segment_buffer 1
		.amdhsa_user_sgpr_dispatch_ptr 0
		.amdhsa_user_sgpr_queue_ptr 0
		.amdhsa_user_sgpr_kernarg_segment_ptr 1
		.amdhsa_user_sgpr_dispatch_id 0
		.amdhsa_user_sgpr_flat_scratch_init 0
		.amdhsa_user_sgpr_private_segment_size 0
		.amdhsa_wavefront_size32 1
		.amdhsa_uses_dynamic_stack 0
		.amdhsa_system_sgpr_private_segment_wavefront_offset 0
		.amdhsa_system_sgpr_workgroup_id_x 1
		.amdhsa_system_sgpr_workgroup_id_y 0
		.amdhsa_system_sgpr_workgroup_id_z 0
		.amdhsa_system_sgpr_workgroup_info 0
		.amdhsa_system_vgpr_workitem_id 0
		.amdhsa_next_free_vgpr 46
		.amdhsa_next_free_sgpr 14
		.amdhsa_reserve_vcc 1
		.amdhsa_reserve_flat_scratch 0
		.amdhsa_float_round_mode_32 0
		.amdhsa_float_round_mode_16_64 0
		.amdhsa_float_denorm_mode_32 3
		.amdhsa_float_denorm_mode_16_64 3
		.amdhsa_dx10_clamp 1
		.amdhsa_ieee_mode 1
		.amdhsa_fp16_overflow 0
		.amdhsa_workgroup_processor_mode 1
		.amdhsa_memory_ordered 1
		.amdhsa_forward_progress 1
		.amdhsa_shared_vgpr_count 0
		.amdhsa_exception_fp_ieee_invalid_op 0
		.amdhsa_exception_fp_denorm_src 0
		.amdhsa_exception_fp_ieee_div_zero 0
		.amdhsa_exception_fp_ieee_overflow 0
		.amdhsa_exception_fp_ieee_underflow 0
		.amdhsa_exception_fp_ieee_inexact 0
		.amdhsa_exception_int_div_zero 0
	.end_amdhsa_kernel
	.section	.text._ZN9rocsparseL19gebsrmvn_1xn_kernelILj128ELj15ELj4EfEEvi20rocsparse_direction_NS_24const_host_device_scalarIT2_EEPKiS6_PKS3_S8_S4_PS3_21rocsparse_index_base_b,"axG",@progbits,_ZN9rocsparseL19gebsrmvn_1xn_kernelILj128ELj15ELj4EfEEvi20rocsparse_direction_NS_24const_host_device_scalarIT2_EEPKiS6_PKS3_S8_S4_PS3_21rocsparse_index_base_b,comdat
.Lfunc_end65:
	.size	_ZN9rocsparseL19gebsrmvn_1xn_kernelILj128ELj15ELj4EfEEvi20rocsparse_direction_NS_24const_host_device_scalarIT2_EEPKiS6_PKS3_S8_S4_PS3_21rocsparse_index_base_b, .Lfunc_end65-_ZN9rocsparseL19gebsrmvn_1xn_kernelILj128ELj15ELj4EfEEvi20rocsparse_direction_NS_24const_host_device_scalarIT2_EEPKiS6_PKS3_S8_S4_PS3_21rocsparse_index_base_b
                                        ; -- End function
	.set _ZN9rocsparseL19gebsrmvn_1xn_kernelILj128ELj15ELj4EfEEvi20rocsparse_direction_NS_24const_host_device_scalarIT2_EEPKiS6_PKS3_S8_S4_PS3_21rocsparse_index_base_b.num_vgpr, 46
	.set _ZN9rocsparseL19gebsrmvn_1xn_kernelILj128ELj15ELj4EfEEvi20rocsparse_direction_NS_24const_host_device_scalarIT2_EEPKiS6_PKS3_S8_S4_PS3_21rocsparse_index_base_b.num_agpr, 0
	.set _ZN9rocsparseL19gebsrmvn_1xn_kernelILj128ELj15ELj4EfEEvi20rocsparse_direction_NS_24const_host_device_scalarIT2_EEPKiS6_PKS3_S8_S4_PS3_21rocsparse_index_base_b.numbered_sgpr, 14
	.set _ZN9rocsparseL19gebsrmvn_1xn_kernelILj128ELj15ELj4EfEEvi20rocsparse_direction_NS_24const_host_device_scalarIT2_EEPKiS6_PKS3_S8_S4_PS3_21rocsparse_index_base_b.num_named_barrier, 0
	.set _ZN9rocsparseL19gebsrmvn_1xn_kernelILj128ELj15ELj4EfEEvi20rocsparse_direction_NS_24const_host_device_scalarIT2_EEPKiS6_PKS3_S8_S4_PS3_21rocsparse_index_base_b.private_seg_size, 0
	.set _ZN9rocsparseL19gebsrmvn_1xn_kernelILj128ELj15ELj4EfEEvi20rocsparse_direction_NS_24const_host_device_scalarIT2_EEPKiS6_PKS3_S8_S4_PS3_21rocsparse_index_base_b.uses_vcc, 1
	.set _ZN9rocsparseL19gebsrmvn_1xn_kernelILj128ELj15ELj4EfEEvi20rocsparse_direction_NS_24const_host_device_scalarIT2_EEPKiS6_PKS3_S8_S4_PS3_21rocsparse_index_base_b.uses_flat_scratch, 0
	.set _ZN9rocsparseL19gebsrmvn_1xn_kernelILj128ELj15ELj4EfEEvi20rocsparse_direction_NS_24const_host_device_scalarIT2_EEPKiS6_PKS3_S8_S4_PS3_21rocsparse_index_base_b.has_dyn_sized_stack, 0
	.set _ZN9rocsparseL19gebsrmvn_1xn_kernelILj128ELj15ELj4EfEEvi20rocsparse_direction_NS_24const_host_device_scalarIT2_EEPKiS6_PKS3_S8_S4_PS3_21rocsparse_index_base_b.has_recursion, 0
	.set _ZN9rocsparseL19gebsrmvn_1xn_kernelILj128ELj15ELj4EfEEvi20rocsparse_direction_NS_24const_host_device_scalarIT2_EEPKiS6_PKS3_S8_S4_PS3_21rocsparse_index_base_b.has_indirect_call, 0
	.section	.AMDGPU.csdata,"",@progbits
; Kernel info:
; codeLenInByte = 1768
; TotalNumSgprs: 16
; NumVgprs: 46
; ScratchSize: 0
; MemoryBound: 0
; FloatMode: 240
; IeeeMode: 1
; LDSByteSize: 0 bytes/workgroup (compile time only)
; SGPRBlocks: 0
; VGPRBlocks: 5
; NumSGPRsForWavesPerEU: 16
; NumVGPRsForWavesPerEU: 46
; Occupancy: 16
; WaveLimiterHint : 1
; COMPUTE_PGM_RSRC2:SCRATCH_EN: 0
; COMPUTE_PGM_RSRC2:USER_SGPR: 6
; COMPUTE_PGM_RSRC2:TRAP_HANDLER: 0
; COMPUTE_PGM_RSRC2:TGID_X_EN: 1
; COMPUTE_PGM_RSRC2:TGID_Y_EN: 0
; COMPUTE_PGM_RSRC2:TGID_Z_EN: 0
; COMPUTE_PGM_RSRC2:TIDIG_COMP_CNT: 0
	.section	.text._ZN9rocsparseL19gebsrmvn_1xn_kernelILj128ELj15ELj8EfEEvi20rocsparse_direction_NS_24const_host_device_scalarIT2_EEPKiS6_PKS3_S8_S4_PS3_21rocsparse_index_base_b,"axG",@progbits,_ZN9rocsparseL19gebsrmvn_1xn_kernelILj128ELj15ELj8EfEEvi20rocsparse_direction_NS_24const_host_device_scalarIT2_EEPKiS6_PKS3_S8_S4_PS3_21rocsparse_index_base_b,comdat
	.globl	_ZN9rocsparseL19gebsrmvn_1xn_kernelILj128ELj15ELj8EfEEvi20rocsparse_direction_NS_24const_host_device_scalarIT2_EEPKiS6_PKS3_S8_S4_PS3_21rocsparse_index_base_b ; -- Begin function _ZN9rocsparseL19gebsrmvn_1xn_kernelILj128ELj15ELj8EfEEvi20rocsparse_direction_NS_24const_host_device_scalarIT2_EEPKiS6_PKS3_S8_S4_PS3_21rocsparse_index_base_b
	.p2align	8
	.type	_ZN9rocsparseL19gebsrmvn_1xn_kernelILj128ELj15ELj8EfEEvi20rocsparse_direction_NS_24const_host_device_scalarIT2_EEPKiS6_PKS3_S8_S4_PS3_21rocsparse_index_base_b,@function
_ZN9rocsparseL19gebsrmvn_1xn_kernelILj128ELj15ELj8EfEEvi20rocsparse_direction_NS_24const_host_device_scalarIT2_EEPKiS6_PKS3_S8_S4_PS3_21rocsparse_index_base_b: ; @_ZN9rocsparseL19gebsrmvn_1xn_kernelILj128ELj15ELj8EfEEvi20rocsparse_direction_NS_24const_host_device_scalarIT2_EEPKiS6_PKS3_S8_S4_PS3_21rocsparse_index_base_b
; %bb.0:
	s_clause 0x2
	s_load_dwordx2 s[12:13], s[4:5], 0x40
	s_load_dwordx2 s[10:11], s[4:5], 0x8
	;; [unrolled: 1-line block ×3, first 2 shown]
	s_waitcnt lgkmcnt(0)
	s_bitcmp1_b32 s13, 0
	s_cselect_b32 s0, -1, 0
	s_and_b32 vcc_lo, exec_lo, s0
	s_xor_b32 s0, s0, -1
	s_cbranch_vccnz .LBB66_2
; %bb.1:
	s_load_dword s10, s[10:11], 0x0
.LBB66_2:
	s_andn2_b32 vcc_lo, exec_lo, s0
	s_cbranch_vccnz .LBB66_4
; %bb.3:
	s_load_dword s8, s[8:9], 0x0
.LBB66_4:
	s_waitcnt lgkmcnt(0)
	v_cmp_eq_f32_e64 s0, s10, 0
	v_cmp_eq_f32_e64 s1, s8, 1.0
	s_and_b32 s0, s0, s1
	s_and_b32 vcc_lo, exec_lo, s0
	s_cbranch_vccnz .LBB66_15
; %bb.5:
	s_load_dword s0, s[4:5], 0x0
	v_lshrrev_b32_e32 v1, 3, v0
	v_lshl_or_b32 v1, s6, 4, v1
	s_waitcnt lgkmcnt(0)
	v_cmp_gt_i32_e32 vcc_lo, s0, v1
	s_and_saveexec_b32 s0, vcc_lo
	s_cbranch_execz .LBB66_15
; %bb.6:
	s_clause 0x1
	s_load_dwordx2 s[0:1], s[4:5], 0x10
	s_load_dwordx2 s[6:7], s[4:5], 0x38
	v_ashrrev_i32_e32 v2, 31, v1
	v_and_b32_e32 v0, 7, v0
	v_mov_b32_e32 v9, 0
	s_mov_b32 s9, exec_lo
	v_lshlrev_b64 v[1:2], 2, v[1:2]
	v_subrev_nc_u32_e32 v5, s12, v0
	s_waitcnt lgkmcnt(0)
	v_add_co_u32 v3, vcc_lo, s0, v1
	v_add_co_ci_u32_e64 v4, null, s1, v2, vcc_lo
	global_load_dwordx2 v[3:4], v[3:4], off
	s_waitcnt vmcnt(0)
	v_subrev_nc_u32_e32 v10, s12, v4
	v_add_nc_u32_e32 v3, v3, v5
	v_cmpx_lt_i32_e64 v3, v10
	s_cbranch_execz .LBB66_10
; %bb.7:
	s_clause 0x1
	s_load_dwordx4 s[0:3], s[4:5], 0x18
	s_load_dwordx2 s[4:5], s[4:5], 0x28
	v_mad_u64_u32 v[5:6], null, v3, 15, 14
	v_mov_b32_e32 v8, 0
	v_mov_b32_e32 v9, 0
	s_mov_b32 s11, 0
.LBB66_8:                               ; =>This Inner Loop Header: Depth=1
	v_ashrrev_i32_e32 v4, 31, v3
	v_mov_b32_e32 v12, v8
	v_lshlrev_b64 v[6:7], 2, v[3:4]
	v_add_nc_u32_e32 v3, 8, v3
	s_waitcnt lgkmcnt(0)
	v_add_co_u32 v6, vcc_lo, s0, v6
	v_add_co_ci_u32_e64 v7, null, s1, v7, vcc_lo
	global_load_dword v4, v[6:7], off
	v_add_nc_u32_e32 v7, -14, v5
	v_mov_b32_e32 v6, v8
	v_lshlrev_b64 v[13:14], 2, v[7:8]
	v_add_nc_u32_e32 v7, -13, v5
	v_lshlrev_b64 v[15:16], 2, v[5:6]
	v_lshlrev_b64 v[6:7], 2, v[7:8]
	v_add_co_u32 v13, vcc_lo, s2, v13
	v_add_co_ci_u32_e64 v14, null, s3, v14, vcc_lo
	v_add_co_u32 v15, vcc_lo, s2, v15
	v_add_co_ci_u32_e64 v16, null, s3, v16, vcc_lo
	;; [unrolled: 2-line block ×3, first 2 shown]
	s_clause 0x1
	global_load_dword v21, v[13:14], off
	global_load_dword v22, v[6:7], off
	s_waitcnt vmcnt(2)
	v_subrev_nc_u32_e32 v4, s12, v4
	v_mul_lo_u32 v11, v4, 15
	v_add_nc_u32_e32 v7, 1, v11
	v_lshlrev_b64 v[12:13], 2, v[11:12]
	v_lshlrev_b64 v[17:18], 2, v[7:8]
	v_add_nc_u32_e32 v7, -12, v5
	v_add_co_u32 v12, vcc_lo, s4, v12
	v_add_co_ci_u32_e64 v13, null, s5, v13, vcc_lo
	v_add_co_u32 v17, vcc_lo, s4, v17
	v_lshlrev_b64 v[19:20], 2, v[7:8]
	v_add_nc_u32_e32 v7, 2, v11
	v_add_co_ci_u32_e64 v18, null, s5, v18, vcc_lo
	s_clause 0x1
	global_load_dword v4, v[12:13], off
	global_load_dword v23, v[17:18], off
	v_lshlrev_b64 v[12:13], 2, v[7:8]
	v_add_nc_u32_e32 v7, -11, v5
	v_add_co_u32 v17, vcc_lo, s2, v19
	v_add_co_ci_u32_e64 v18, null, s3, v20, vcc_lo
	v_add_co_u32 v12, vcc_lo, s4, v12
	v_lshlrev_b64 v[19:20], 2, v[7:8]
	v_add_co_ci_u32_e64 v13, null, s5, v13, vcc_lo
	v_add_nc_u32_e32 v7, 3, v11
	global_load_dword v24, v[17:18], off
	global_load_dword v25, v[12:13], off
	v_add_co_u32 v12, vcc_lo, s2, v19
	v_add_co_ci_u32_e64 v13, null, s3, v20, vcc_lo
	global_load_dword v26, v[12:13], off
	v_lshlrev_b64 v[17:18], 2, v[7:8]
	v_add_nc_u32_e32 v7, -10, v5
	v_lshlrev_b64 v[19:20], 2, v[7:8]
	v_add_nc_u32_e32 v7, 4, v11
	v_add_co_u32 v17, vcc_lo, s4, v17
	v_add_co_ci_u32_e64 v18, null, s5, v18, vcc_lo
	v_lshlrev_b64 v[12:13], 2, v[7:8]
	v_add_nc_u32_e32 v7, -9, v5
	global_load_dword v27, v[17:18], off
	v_add_co_u32 v17, vcc_lo, s2, v19
	v_add_co_ci_u32_e64 v18, null, s3, v20, vcc_lo
	v_add_co_u32 v12, vcc_lo, s4, v12
	v_lshlrev_b64 v[19:20], 2, v[7:8]
	v_add_co_ci_u32_e64 v13, null, s5, v13, vcc_lo
	v_add_nc_u32_e32 v7, 5, v11
	global_load_dword v28, v[17:18], off
	global_load_dword v29, v[12:13], off
	v_add_co_u32 v12, vcc_lo, s2, v19
	v_add_co_ci_u32_e64 v13, null, s3, v20, vcc_lo
	global_load_dword v30, v[12:13], off
	v_lshlrev_b64 v[17:18], 2, v[7:8]
	v_add_nc_u32_e32 v7, -8, v5
	v_lshlrev_b64 v[19:20], 2, v[7:8]
	v_add_nc_u32_e32 v7, 6, v11
	v_add_co_u32 v17, vcc_lo, s4, v17
	v_add_co_ci_u32_e64 v18, null, s5, v18, vcc_lo
	v_lshlrev_b64 v[12:13], 2, v[7:8]
	v_add_nc_u32_e32 v7, -7, v5
	global_load_dword v31, v[17:18], off
	;; [unrolled: 20-line block ×4, first 2 shown]
	v_add_co_u32 v17, vcc_lo, s2, v19
	v_add_co_ci_u32_e64 v18, null, s3, v20, vcc_lo
	v_add_co_u32 v12, vcc_lo, s4, v12
	v_lshlrev_b64 v[19:20], 2, v[7:8]
	v_add_co_ci_u32_e64 v13, null, s5, v13, vcc_lo
	v_add_nc_u32_e32 v7, 11, v11
	global_load_dword v40, v[17:18], off
	global_load_dword v41, v[12:13], off
	v_add_co_u32 v12, vcc_lo, s2, v19
	v_add_co_ci_u32_e64 v13, null, s3, v20, vcc_lo
	global_load_dword v42, v[12:13], off
	v_lshlrev_b64 v[17:18], 2, v[7:8]
	v_add_nc_u32_e32 v7, -2, v5
	v_lshlrev_b64 v[19:20], 2, v[7:8]
	v_add_nc_u32_e32 v7, 12, v11
	v_add_co_u32 v17, vcc_lo, s4, v17
	v_add_co_ci_u32_e64 v18, null, s5, v18, vcc_lo
	v_lshlrev_b64 v[12:13], 2, v[7:8]
	v_add_nc_u32_e32 v7, -1, v5
	v_add_nc_u32_e32 v5, 0x78, v5
	global_load_dword v43, v[17:18], off
	v_add_co_u32 v17, vcc_lo, s2, v19
	v_add_co_ci_u32_e64 v18, null, s3, v20, vcc_lo
	v_lshlrev_b64 v[19:20], 2, v[7:8]
	v_add_nc_u32_e32 v7, 13, v11
	v_add_co_u32 v12, vcc_lo, s4, v12
	global_load_dword v44, v[17:18], off
	v_add_co_ci_u32_e64 v13, null, s5, v13, vcc_lo
	v_lshlrev_b64 v[17:18], 2, v[7:8]
	v_add_nc_u32_e32 v7, 14, v11
	v_add_co_u32 v11, vcc_lo, s2, v19
	global_load_dword v45, v[12:13], off
	v_add_co_ci_u32_e64 v12, null, s3, v20, vcc_lo
	v_lshlrev_b64 v[6:7], 2, v[7:8]
	v_add_co_u32 v13, vcc_lo, s4, v17
	v_add_co_ci_u32_e64 v14, null, s5, v18, vcc_lo
	global_load_dword v11, v[11:12], off
	global_load_dword v12, v[13:14], off
	v_add_co_u32 v6, vcc_lo, s4, v6
	v_add_co_ci_u32_e64 v7, null, s5, v7, vcc_lo
	global_load_dword v13, v[15:16], off
	global_load_dword v6, v[6:7], off
	v_cmp_ge_i32_e32 vcc_lo, v3, v10
	s_or_b32 s11, vcc_lo, s11
	s_waitcnt vmcnt(27)
	v_fmac_f32_e32 v9, v21, v4
	s_waitcnt vmcnt(26)
	v_fmac_f32_e32 v9, v22, v23
	;; [unrolled: 2-line block ×15, first 2 shown]
	s_andn2_b32 exec_lo, exec_lo, s11
	s_cbranch_execnz .LBB66_8
; %bb.9:
	s_or_b32 exec_lo, exec_lo, s11
.LBB66_10:
	s_or_b32 exec_lo, exec_lo, s9
	v_mbcnt_lo_u32_b32 v3, -1, 0
	s_mov_b32 s0, -1
	v_xor_b32_e32 v4, 4, v3
	v_xor_b32_e32 v5, 2, v3
	;; [unrolled: 1-line block ×3, first 2 shown]
	v_cmp_gt_i32_e32 vcc_lo, 32, v4
	v_cndmask_b32_e32 v4, v3, v4, vcc_lo
	v_cmp_gt_i32_e32 vcc_lo, 32, v5
	v_lshlrev_b32_e32 v4, 2, v4
	v_cndmask_b32_e32 v5, v3, v5, vcc_lo
	v_cmp_gt_i32_e32 vcc_lo, 32, v6
	ds_bpermute_b32 v4, v4, v9
	v_lshlrev_b32_e32 v5, 2, v5
	v_cndmask_b32_e32 v6, v3, v6, vcc_lo
	v_cmp_eq_u32_e32 vcc_lo, 7, v0
	s_waitcnt lgkmcnt(0)
	v_add_f32_e32 v4, v9, v4
	ds_bpermute_b32 v5, v5, v4
	s_waitcnt lgkmcnt(0)
	v_add_f32_e32 v3, v4, v5
	v_lshlrev_b32_e32 v4, 2, v6
	ds_bpermute_b32 v4, v4, v3
	s_and_b32 exec_lo, exec_lo, vcc_lo
	s_cbranch_execz .LBB66_15
; %bb.11:
	s_waitcnt lgkmcnt(0)
	v_add_f32_e32 v0, v3, v4
	v_cmp_eq_f32_e64 s1, s8, 0
	v_mul_f32_e32 v0, s10, v0
	s_and_b32 vcc_lo, exec_lo, s1
	s_cbranch_vccz .LBB66_13
; %bb.12:
	v_add_co_u32 v3, vcc_lo, s6, v1
	v_add_co_ci_u32_e64 v4, null, s7, v2, vcc_lo
	s_mov_b32 s0, 0
	global_store_dword v[3:4], v0, off
.LBB66_13:
	s_andn2_b32 vcc_lo, exec_lo, s0
	s_cbranch_vccnz .LBB66_15
; %bb.14:
	v_add_co_u32 v1, vcc_lo, s6, v1
	v_add_co_ci_u32_e64 v2, null, s7, v2, vcc_lo
	global_load_dword v3, v[1:2], off
	s_waitcnt vmcnt(0)
	v_fmac_f32_e32 v0, s8, v3
	global_store_dword v[1:2], v0, off
.LBB66_15:
	s_endpgm
	.section	.rodata,"a",@progbits
	.p2align	6, 0x0
	.amdhsa_kernel _ZN9rocsparseL19gebsrmvn_1xn_kernelILj128ELj15ELj8EfEEvi20rocsparse_direction_NS_24const_host_device_scalarIT2_EEPKiS6_PKS3_S8_S4_PS3_21rocsparse_index_base_b
		.amdhsa_group_segment_fixed_size 0
		.amdhsa_private_segment_fixed_size 0
		.amdhsa_kernarg_size 72
		.amdhsa_user_sgpr_count 6
		.amdhsa_user_sgpr_private_segment_buffer 1
		.amdhsa_user_sgpr_dispatch_ptr 0
		.amdhsa_user_sgpr_queue_ptr 0
		.amdhsa_user_sgpr_kernarg_segment_ptr 1
		.amdhsa_user_sgpr_dispatch_id 0
		.amdhsa_user_sgpr_flat_scratch_init 0
		.amdhsa_user_sgpr_private_segment_size 0
		.amdhsa_wavefront_size32 1
		.amdhsa_uses_dynamic_stack 0
		.amdhsa_system_sgpr_private_segment_wavefront_offset 0
		.amdhsa_system_sgpr_workgroup_id_x 1
		.amdhsa_system_sgpr_workgroup_id_y 0
		.amdhsa_system_sgpr_workgroup_id_z 0
		.amdhsa_system_sgpr_workgroup_info 0
		.amdhsa_system_vgpr_workitem_id 0
		.amdhsa_next_free_vgpr 46
		.amdhsa_next_free_sgpr 14
		.amdhsa_reserve_vcc 1
		.amdhsa_reserve_flat_scratch 0
		.amdhsa_float_round_mode_32 0
		.amdhsa_float_round_mode_16_64 0
		.amdhsa_float_denorm_mode_32 3
		.amdhsa_float_denorm_mode_16_64 3
		.amdhsa_dx10_clamp 1
		.amdhsa_ieee_mode 1
		.amdhsa_fp16_overflow 0
		.amdhsa_workgroup_processor_mode 1
		.amdhsa_memory_ordered 1
		.amdhsa_forward_progress 1
		.amdhsa_shared_vgpr_count 0
		.amdhsa_exception_fp_ieee_invalid_op 0
		.amdhsa_exception_fp_denorm_src 0
		.amdhsa_exception_fp_ieee_div_zero 0
		.amdhsa_exception_fp_ieee_overflow 0
		.amdhsa_exception_fp_ieee_underflow 0
		.amdhsa_exception_fp_ieee_inexact 0
		.amdhsa_exception_int_div_zero 0
	.end_amdhsa_kernel
	.section	.text._ZN9rocsparseL19gebsrmvn_1xn_kernelILj128ELj15ELj8EfEEvi20rocsparse_direction_NS_24const_host_device_scalarIT2_EEPKiS6_PKS3_S8_S4_PS3_21rocsparse_index_base_b,"axG",@progbits,_ZN9rocsparseL19gebsrmvn_1xn_kernelILj128ELj15ELj8EfEEvi20rocsparse_direction_NS_24const_host_device_scalarIT2_EEPKiS6_PKS3_S8_S4_PS3_21rocsparse_index_base_b,comdat
.Lfunc_end66:
	.size	_ZN9rocsparseL19gebsrmvn_1xn_kernelILj128ELj15ELj8EfEEvi20rocsparse_direction_NS_24const_host_device_scalarIT2_EEPKiS6_PKS3_S8_S4_PS3_21rocsparse_index_base_b, .Lfunc_end66-_ZN9rocsparseL19gebsrmvn_1xn_kernelILj128ELj15ELj8EfEEvi20rocsparse_direction_NS_24const_host_device_scalarIT2_EEPKiS6_PKS3_S8_S4_PS3_21rocsparse_index_base_b
                                        ; -- End function
	.set _ZN9rocsparseL19gebsrmvn_1xn_kernelILj128ELj15ELj8EfEEvi20rocsparse_direction_NS_24const_host_device_scalarIT2_EEPKiS6_PKS3_S8_S4_PS3_21rocsparse_index_base_b.num_vgpr, 46
	.set _ZN9rocsparseL19gebsrmvn_1xn_kernelILj128ELj15ELj8EfEEvi20rocsparse_direction_NS_24const_host_device_scalarIT2_EEPKiS6_PKS3_S8_S4_PS3_21rocsparse_index_base_b.num_agpr, 0
	.set _ZN9rocsparseL19gebsrmvn_1xn_kernelILj128ELj15ELj8EfEEvi20rocsparse_direction_NS_24const_host_device_scalarIT2_EEPKiS6_PKS3_S8_S4_PS3_21rocsparse_index_base_b.numbered_sgpr, 14
	.set _ZN9rocsparseL19gebsrmvn_1xn_kernelILj128ELj15ELj8EfEEvi20rocsparse_direction_NS_24const_host_device_scalarIT2_EEPKiS6_PKS3_S8_S4_PS3_21rocsparse_index_base_b.num_named_barrier, 0
	.set _ZN9rocsparseL19gebsrmvn_1xn_kernelILj128ELj15ELj8EfEEvi20rocsparse_direction_NS_24const_host_device_scalarIT2_EEPKiS6_PKS3_S8_S4_PS3_21rocsparse_index_base_b.private_seg_size, 0
	.set _ZN9rocsparseL19gebsrmvn_1xn_kernelILj128ELj15ELj8EfEEvi20rocsparse_direction_NS_24const_host_device_scalarIT2_EEPKiS6_PKS3_S8_S4_PS3_21rocsparse_index_base_b.uses_vcc, 1
	.set _ZN9rocsparseL19gebsrmvn_1xn_kernelILj128ELj15ELj8EfEEvi20rocsparse_direction_NS_24const_host_device_scalarIT2_EEPKiS6_PKS3_S8_S4_PS3_21rocsparse_index_base_b.uses_flat_scratch, 0
	.set _ZN9rocsparseL19gebsrmvn_1xn_kernelILj128ELj15ELj8EfEEvi20rocsparse_direction_NS_24const_host_device_scalarIT2_EEPKiS6_PKS3_S8_S4_PS3_21rocsparse_index_base_b.has_dyn_sized_stack, 0
	.set _ZN9rocsparseL19gebsrmvn_1xn_kernelILj128ELj15ELj8EfEEvi20rocsparse_direction_NS_24const_host_device_scalarIT2_EEPKiS6_PKS3_S8_S4_PS3_21rocsparse_index_base_b.has_recursion, 0
	.set _ZN9rocsparseL19gebsrmvn_1xn_kernelILj128ELj15ELj8EfEEvi20rocsparse_direction_NS_24const_host_device_scalarIT2_EEPKiS6_PKS3_S8_S4_PS3_21rocsparse_index_base_b.has_indirect_call, 0
	.section	.AMDGPU.csdata,"",@progbits
; Kernel info:
; codeLenInByte = 1804
; TotalNumSgprs: 16
; NumVgprs: 46
; ScratchSize: 0
; MemoryBound: 0
; FloatMode: 240
; IeeeMode: 1
; LDSByteSize: 0 bytes/workgroup (compile time only)
; SGPRBlocks: 0
; VGPRBlocks: 5
; NumSGPRsForWavesPerEU: 16
; NumVGPRsForWavesPerEU: 46
; Occupancy: 16
; WaveLimiterHint : 1
; COMPUTE_PGM_RSRC2:SCRATCH_EN: 0
; COMPUTE_PGM_RSRC2:USER_SGPR: 6
; COMPUTE_PGM_RSRC2:TRAP_HANDLER: 0
; COMPUTE_PGM_RSRC2:TGID_X_EN: 1
; COMPUTE_PGM_RSRC2:TGID_Y_EN: 0
; COMPUTE_PGM_RSRC2:TGID_Z_EN: 0
; COMPUTE_PGM_RSRC2:TIDIG_COMP_CNT: 0
	.section	.text._ZN9rocsparseL19gebsrmvn_1xn_kernelILj128ELj15ELj16EfEEvi20rocsparse_direction_NS_24const_host_device_scalarIT2_EEPKiS6_PKS3_S8_S4_PS3_21rocsparse_index_base_b,"axG",@progbits,_ZN9rocsparseL19gebsrmvn_1xn_kernelILj128ELj15ELj16EfEEvi20rocsparse_direction_NS_24const_host_device_scalarIT2_EEPKiS6_PKS3_S8_S4_PS3_21rocsparse_index_base_b,comdat
	.globl	_ZN9rocsparseL19gebsrmvn_1xn_kernelILj128ELj15ELj16EfEEvi20rocsparse_direction_NS_24const_host_device_scalarIT2_EEPKiS6_PKS3_S8_S4_PS3_21rocsparse_index_base_b ; -- Begin function _ZN9rocsparseL19gebsrmvn_1xn_kernelILj128ELj15ELj16EfEEvi20rocsparse_direction_NS_24const_host_device_scalarIT2_EEPKiS6_PKS3_S8_S4_PS3_21rocsparse_index_base_b
	.p2align	8
	.type	_ZN9rocsparseL19gebsrmvn_1xn_kernelILj128ELj15ELj16EfEEvi20rocsparse_direction_NS_24const_host_device_scalarIT2_EEPKiS6_PKS3_S8_S4_PS3_21rocsparse_index_base_b,@function
_ZN9rocsparseL19gebsrmvn_1xn_kernelILj128ELj15ELj16EfEEvi20rocsparse_direction_NS_24const_host_device_scalarIT2_EEPKiS6_PKS3_S8_S4_PS3_21rocsparse_index_base_b: ; @_ZN9rocsparseL19gebsrmvn_1xn_kernelILj128ELj15ELj16EfEEvi20rocsparse_direction_NS_24const_host_device_scalarIT2_EEPKiS6_PKS3_S8_S4_PS3_21rocsparse_index_base_b
; %bb.0:
	s_clause 0x2
	s_load_dwordx2 s[12:13], s[4:5], 0x40
	s_load_dwordx2 s[10:11], s[4:5], 0x8
	;; [unrolled: 1-line block ×3, first 2 shown]
	s_waitcnt lgkmcnt(0)
	s_bitcmp1_b32 s13, 0
	s_cselect_b32 s0, -1, 0
	s_and_b32 vcc_lo, exec_lo, s0
	s_xor_b32 s0, s0, -1
	s_cbranch_vccnz .LBB67_2
; %bb.1:
	s_load_dword s10, s[10:11], 0x0
.LBB67_2:
	s_andn2_b32 vcc_lo, exec_lo, s0
	s_cbranch_vccnz .LBB67_4
; %bb.3:
	s_load_dword s8, s[8:9], 0x0
.LBB67_4:
	s_waitcnt lgkmcnt(0)
	v_cmp_eq_f32_e64 s0, s10, 0
	v_cmp_eq_f32_e64 s1, s8, 1.0
	s_and_b32 s0, s0, s1
	s_and_b32 vcc_lo, exec_lo, s0
	s_cbranch_vccnz .LBB67_15
; %bb.5:
	s_load_dword s0, s[4:5], 0x0
	v_lshrrev_b32_e32 v1, 4, v0
	v_lshl_or_b32 v1, s6, 3, v1
	s_waitcnt lgkmcnt(0)
	v_cmp_gt_i32_e32 vcc_lo, s0, v1
	s_and_saveexec_b32 s0, vcc_lo
	s_cbranch_execz .LBB67_15
; %bb.6:
	s_clause 0x1
	s_load_dwordx2 s[0:1], s[4:5], 0x10
	s_load_dwordx2 s[6:7], s[4:5], 0x38
	v_ashrrev_i32_e32 v2, 31, v1
	v_and_b32_e32 v0, 15, v0
	v_mov_b32_e32 v9, 0
	s_mov_b32 s9, exec_lo
	v_lshlrev_b64 v[1:2], 2, v[1:2]
	v_subrev_nc_u32_e32 v5, s12, v0
	s_waitcnt lgkmcnt(0)
	v_add_co_u32 v3, vcc_lo, s0, v1
	v_add_co_ci_u32_e64 v4, null, s1, v2, vcc_lo
	global_load_dwordx2 v[3:4], v[3:4], off
	s_waitcnt vmcnt(0)
	v_subrev_nc_u32_e32 v10, s12, v4
	v_add_nc_u32_e32 v3, v3, v5
	v_cmpx_lt_i32_e64 v3, v10
	s_cbranch_execz .LBB67_10
; %bb.7:
	s_clause 0x1
	s_load_dwordx4 s[0:3], s[4:5], 0x18
	s_load_dwordx2 s[4:5], s[4:5], 0x28
	v_mad_u64_u32 v[5:6], null, v3, 15, 14
	v_mov_b32_e32 v8, 0
	v_mov_b32_e32 v9, 0
	s_mov_b32 s11, 0
.LBB67_8:                               ; =>This Inner Loop Header: Depth=1
	v_ashrrev_i32_e32 v4, 31, v3
	v_mov_b32_e32 v12, v8
	v_lshlrev_b64 v[6:7], 2, v[3:4]
	v_add_nc_u32_e32 v3, 16, v3
	s_waitcnt lgkmcnt(0)
	v_add_co_u32 v6, vcc_lo, s0, v6
	v_add_co_ci_u32_e64 v7, null, s1, v7, vcc_lo
	global_load_dword v4, v[6:7], off
	v_add_nc_u32_e32 v7, -14, v5
	v_mov_b32_e32 v6, v8
	v_lshlrev_b64 v[13:14], 2, v[7:8]
	v_add_nc_u32_e32 v7, -13, v5
	v_lshlrev_b64 v[15:16], 2, v[5:6]
	v_lshlrev_b64 v[6:7], 2, v[7:8]
	v_add_co_u32 v13, vcc_lo, s2, v13
	v_add_co_ci_u32_e64 v14, null, s3, v14, vcc_lo
	v_add_co_u32 v15, vcc_lo, s2, v15
	v_add_co_ci_u32_e64 v16, null, s3, v16, vcc_lo
	v_add_co_u32 v6, vcc_lo, s2, v6
	v_add_co_ci_u32_e64 v7, null, s3, v7, vcc_lo
	s_clause 0x1
	global_load_dword v21, v[13:14], off
	global_load_dword v22, v[6:7], off
	s_waitcnt vmcnt(2)
	v_subrev_nc_u32_e32 v4, s12, v4
	v_mul_lo_u32 v11, v4, 15
	v_add_nc_u32_e32 v7, 1, v11
	v_lshlrev_b64 v[12:13], 2, v[11:12]
	v_lshlrev_b64 v[17:18], 2, v[7:8]
	v_add_nc_u32_e32 v7, -12, v5
	v_add_co_u32 v12, vcc_lo, s4, v12
	v_add_co_ci_u32_e64 v13, null, s5, v13, vcc_lo
	v_add_co_u32 v17, vcc_lo, s4, v17
	v_lshlrev_b64 v[19:20], 2, v[7:8]
	v_add_nc_u32_e32 v7, 2, v11
	v_add_co_ci_u32_e64 v18, null, s5, v18, vcc_lo
	s_clause 0x1
	global_load_dword v4, v[12:13], off
	global_load_dword v23, v[17:18], off
	v_lshlrev_b64 v[12:13], 2, v[7:8]
	v_add_nc_u32_e32 v7, -11, v5
	v_add_co_u32 v17, vcc_lo, s2, v19
	v_add_co_ci_u32_e64 v18, null, s3, v20, vcc_lo
	v_add_co_u32 v12, vcc_lo, s4, v12
	v_lshlrev_b64 v[19:20], 2, v[7:8]
	v_add_co_ci_u32_e64 v13, null, s5, v13, vcc_lo
	v_add_nc_u32_e32 v7, 3, v11
	global_load_dword v24, v[17:18], off
	global_load_dword v25, v[12:13], off
	v_add_co_u32 v12, vcc_lo, s2, v19
	v_add_co_ci_u32_e64 v13, null, s3, v20, vcc_lo
	global_load_dword v26, v[12:13], off
	v_lshlrev_b64 v[17:18], 2, v[7:8]
	v_add_nc_u32_e32 v7, -10, v5
	v_lshlrev_b64 v[19:20], 2, v[7:8]
	v_add_nc_u32_e32 v7, 4, v11
	v_add_co_u32 v17, vcc_lo, s4, v17
	v_add_co_ci_u32_e64 v18, null, s5, v18, vcc_lo
	v_lshlrev_b64 v[12:13], 2, v[7:8]
	v_add_nc_u32_e32 v7, -9, v5
	global_load_dword v27, v[17:18], off
	v_add_co_u32 v17, vcc_lo, s2, v19
	v_add_co_ci_u32_e64 v18, null, s3, v20, vcc_lo
	v_add_co_u32 v12, vcc_lo, s4, v12
	v_lshlrev_b64 v[19:20], 2, v[7:8]
	v_add_co_ci_u32_e64 v13, null, s5, v13, vcc_lo
	v_add_nc_u32_e32 v7, 5, v11
	global_load_dword v28, v[17:18], off
	global_load_dword v29, v[12:13], off
	v_add_co_u32 v12, vcc_lo, s2, v19
	v_add_co_ci_u32_e64 v13, null, s3, v20, vcc_lo
	global_load_dword v30, v[12:13], off
	v_lshlrev_b64 v[17:18], 2, v[7:8]
	v_add_nc_u32_e32 v7, -8, v5
	v_lshlrev_b64 v[19:20], 2, v[7:8]
	v_add_nc_u32_e32 v7, 6, v11
	v_add_co_u32 v17, vcc_lo, s4, v17
	v_add_co_ci_u32_e64 v18, null, s5, v18, vcc_lo
	v_lshlrev_b64 v[12:13], 2, v[7:8]
	v_add_nc_u32_e32 v7, -7, v5
	global_load_dword v31, v[17:18], off
	;; [unrolled: 20-line block ×4, first 2 shown]
	v_add_co_u32 v17, vcc_lo, s2, v19
	v_add_co_ci_u32_e64 v18, null, s3, v20, vcc_lo
	v_add_co_u32 v12, vcc_lo, s4, v12
	v_lshlrev_b64 v[19:20], 2, v[7:8]
	v_add_co_ci_u32_e64 v13, null, s5, v13, vcc_lo
	v_add_nc_u32_e32 v7, 11, v11
	global_load_dword v40, v[17:18], off
	global_load_dword v41, v[12:13], off
	v_add_co_u32 v12, vcc_lo, s2, v19
	v_add_co_ci_u32_e64 v13, null, s3, v20, vcc_lo
	global_load_dword v42, v[12:13], off
	v_lshlrev_b64 v[17:18], 2, v[7:8]
	v_add_nc_u32_e32 v7, -2, v5
	v_lshlrev_b64 v[19:20], 2, v[7:8]
	v_add_nc_u32_e32 v7, 12, v11
	v_add_co_u32 v17, vcc_lo, s4, v17
	v_add_co_ci_u32_e64 v18, null, s5, v18, vcc_lo
	v_lshlrev_b64 v[12:13], 2, v[7:8]
	v_add_nc_u32_e32 v7, -1, v5
	v_add_nc_u32_e32 v5, 0xf0, v5
	global_load_dword v43, v[17:18], off
	v_add_co_u32 v17, vcc_lo, s2, v19
	v_add_co_ci_u32_e64 v18, null, s3, v20, vcc_lo
	v_lshlrev_b64 v[19:20], 2, v[7:8]
	v_add_nc_u32_e32 v7, 13, v11
	v_add_co_u32 v12, vcc_lo, s4, v12
	global_load_dword v44, v[17:18], off
	v_add_co_ci_u32_e64 v13, null, s5, v13, vcc_lo
	v_lshlrev_b64 v[17:18], 2, v[7:8]
	v_add_nc_u32_e32 v7, 14, v11
	v_add_co_u32 v11, vcc_lo, s2, v19
	global_load_dword v45, v[12:13], off
	v_add_co_ci_u32_e64 v12, null, s3, v20, vcc_lo
	v_lshlrev_b64 v[6:7], 2, v[7:8]
	v_add_co_u32 v13, vcc_lo, s4, v17
	v_add_co_ci_u32_e64 v14, null, s5, v18, vcc_lo
	global_load_dword v11, v[11:12], off
	global_load_dword v12, v[13:14], off
	v_add_co_u32 v6, vcc_lo, s4, v6
	v_add_co_ci_u32_e64 v7, null, s5, v7, vcc_lo
	global_load_dword v13, v[15:16], off
	global_load_dword v6, v[6:7], off
	v_cmp_ge_i32_e32 vcc_lo, v3, v10
	s_or_b32 s11, vcc_lo, s11
	s_waitcnt vmcnt(27)
	v_fmac_f32_e32 v9, v21, v4
	s_waitcnt vmcnt(26)
	v_fmac_f32_e32 v9, v22, v23
	;; [unrolled: 2-line block ×15, first 2 shown]
	s_andn2_b32 exec_lo, exec_lo, s11
	s_cbranch_execnz .LBB67_8
; %bb.9:
	s_or_b32 exec_lo, exec_lo, s11
.LBB67_10:
	s_or_b32 exec_lo, exec_lo, s9
	v_mbcnt_lo_u32_b32 v3, -1, 0
	s_mov_b32 s0, -1
	v_xor_b32_e32 v4, 8, v3
	v_xor_b32_e32 v5, 4, v3
	;; [unrolled: 1-line block ×3, first 2 shown]
	v_cmp_gt_i32_e32 vcc_lo, 32, v4
	v_cndmask_b32_e32 v4, v3, v4, vcc_lo
	v_cmp_gt_i32_e32 vcc_lo, 32, v5
	v_lshlrev_b32_e32 v4, 2, v4
	v_cndmask_b32_e32 v5, v3, v5, vcc_lo
	v_cmp_gt_i32_e32 vcc_lo, 32, v6
	ds_bpermute_b32 v4, v4, v9
	v_lshlrev_b32_e32 v5, 2, v5
	v_cndmask_b32_e32 v6, v3, v6, vcc_lo
	v_lshlrev_b32_e32 v6, 2, v6
	s_waitcnt lgkmcnt(0)
	v_add_f32_e32 v4, v9, v4
	ds_bpermute_b32 v5, v5, v4
	s_waitcnt lgkmcnt(0)
	v_add_f32_e32 v4, v4, v5
	ds_bpermute_b32 v5, v6, v4
	v_xor_b32_e32 v6, 1, v3
	v_cmp_gt_i32_e32 vcc_lo, 32, v6
	v_cndmask_b32_e32 v6, v3, v6, vcc_lo
	v_cmp_eq_u32_e32 vcc_lo, 15, v0
	s_waitcnt lgkmcnt(0)
	v_add_f32_e32 v3, v4, v5
	v_lshlrev_b32_e32 v4, 2, v6
	ds_bpermute_b32 v4, v4, v3
	s_and_b32 exec_lo, exec_lo, vcc_lo
	s_cbranch_execz .LBB67_15
; %bb.11:
	s_waitcnt lgkmcnt(0)
	v_add_f32_e32 v0, v3, v4
	v_cmp_eq_f32_e64 s1, s8, 0
	v_mul_f32_e32 v0, s10, v0
	s_and_b32 vcc_lo, exec_lo, s1
	s_cbranch_vccz .LBB67_13
; %bb.12:
	v_add_co_u32 v3, vcc_lo, s6, v1
	v_add_co_ci_u32_e64 v4, null, s7, v2, vcc_lo
	s_mov_b32 s0, 0
	global_store_dword v[3:4], v0, off
.LBB67_13:
	s_andn2_b32 vcc_lo, exec_lo, s0
	s_cbranch_vccnz .LBB67_15
; %bb.14:
	v_add_co_u32 v1, vcc_lo, s6, v1
	v_add_co_ci_u32_e64 v2, null, s7, v2, vcc_lo
	global_load_dword v3, v[1:2], off
	s_waitcnt vmcnt(0)
	v_fmac_f32_e32 v0, s8, v3
	global_store_dword v[1:2], v0, off
.LBB67_15:
	s_endpgm
	.section	.rodata,"a",@progbits
	.p2align	6, 0x0
	.amdhsa_kernel _ZN9rocsparseL19gebsrmvn_1xn_kernelILj128ELj15ELj16EfEEvi20rocsparse_direction_NS_24const_host_device_scalarIT2_EEPKiS6_PKS3_S8_S4_PS3_21rocsparse_index_base_b
		.amdhsa_group_segment_fixed_size 0
		.amdhsa_private_segment_fixed_size 0
		.amdhsa_kernarg_size 72
		.amdhsa_user_sgpr_count 6
		.amdhsa_user_sgpr_private_segment_buffer 1
		.amdhsa_user_sgpr_dispatch_ptr 0
		.amdhsa_user_sgpr_queue_ptr 0
		.amdhsa_user_sgpr_kernarg_segment_ptr 1
		.amdhsa_user_sgpr_dispatch_id 0
		.amdhsa_user_sgpr_flat_scratch_init 0
		.amdhsa_user_sgpr_private_segment_size 0
		.amdhsa_wavefront_size32 1
		.amdhsa_uses_dynamic_stack 0
		.amdhsa_system_sgpr_private_segment_wavefront_offset 0
		.amdhsa_system_sgpr_workgroup_id_x 1
		.amdhsa_system_sgpr_workgroup_id_y 0
		.amdhsa_system_sgpr_workgroup_id_z 0
		.amdhsa_system_sgpr_workgroup_info 0
		.amdhsa_system_vgpr_workitem_id 0
		.amdhsa_next_free_vgpr 46
		.amdhsa_next_free_sgpr 14
		.amdhsa_reserve_vcc 1
		.amdhsa_reserve_flat_scratch 0
		.amdhsa_float_round_mode_32 0
		.amdhsa_float_round_mode_16_64 0
		.amdhsa_float_denorm_mode_32 3
		.amdhsa_float_denorm_mode_16_64 3
		.amdhsa_dx10_clamp 1
		.amdhsa_ieee_mode 1
		.amdhsa_fp16_overflow 0
		.amdhsa_workgroup_processor_mode 1
		.amdhsa_memory_ordered 1
		.amdhsa_forward_progress 1
		.amdhsa_shared_vgpr_count 0
		.amdhsa_exception_fp_ieee_invalid_op 0
		.amdhsa_exception_fp_denorm_src 0
		.amdhsa_exception_fp_ieee_div_zero 0
		.amdhsa_exception_fp_ieee_overflow 0
		.amdhsa_exception_fp_ieee_underflow 0
		.amdhsa_exception_fp_ieee_inexact 0
		.amdhsa_exception_int_div_zero 0
	.end_amdhsa_kernel
	.section	.text._ZN9rocsparseL19gebsrmvn_1xn_kernelILj128ELj15ELj16EfEEvi20rocsparse_direction_NS_24const_host_device_scalarIT2_EEPKiS6_PKS3_S8_S4_PS3_21rocsparse_index_base_b,"axG",@progbits,_ZN9rocsparseL19gebsrmvn_1xn_kernelILj128ELj15ELj16EfEEvi20rocsparse_direction_NS_24const_host_device_scalarIT2_EEPKiS6_PKS3_S8_S4_PS3_21rocsparse_index_base_b,comdat
.Lfunc_end67:
	.size	_ZN9rocsparseL19gebsrmvn_1xn_kernelILj128ELj15ELj16EfEEvi20rocsparse_direction_NS_24const_host_device_scalarIT2_EEPKiS6_PKS3_S8_S4_PS3_21rocsparse_index_base_b, .Lfunc_end67-_ZN9rocsparseL19gebsrmvn_1xn_kernelILj128ELj15ELj16EfEEvi20rocsparse_direction_NS_24const_host_device_scalarIT2_EEPKiS6_PKS3_S8_S4_PS3_21rocsparse_index_base_b
                                        ; -- End function
	.set _ZN9rocsparseL19gebsrmvn_1xn_kernelILj128ELj15ELj16EfEEvi20rocsparse_direction_NS_24const_host_device_scalarIT2_EEPKiS6_PKS3_S8_S4_PS3_21rocsparse_index_base_b.num_vgpr, 46
	.set _ZN9rocsparseL19gebsrmvn_1xn_kernelILj128ELj15ELj16EfEEvi20rocsparse_direction_NS_24const_host_device_scalarIT2_EEPKiS6_PKS3_S8_S4_PS3_21rocsparse_index_base_b.num_agpr, 0
	.set _ZN9rocsparseL19gebsrmvn_1xn_kernelILj128ELj15ELj16EfEEvi20rocsparse_direction_NS_24const_host_device_scalarIT2_EEPKiS6_PKS3_S8_S4_PS3_21rocsparse_index_base_b.numbered_sgpr, 14
	.set _ZN9rocsparseL19gebsrmvn_1xn_kernelILj128ELj15ELj16EfEEvi20rocsparse_direction_NS_24const_host_device_scalarIT2_EEPKiS6_PKS3_S8_S4_PS3_21rocsparse_index_base_b.num_named_barrier, 0
	.set _ZN9rocsparseL19gebsrmvn_1xn_kernelILj128ELj15ELj16EfEEvi20rocsparse_direction_NS_24const_host_device_scalarIT2_EEPKiS6_PKS3_S8_S4_PS3_21rocsparse_index_base_b.private_seg_size, 0
	.set _ZN9rocsparseL19gebsrmvn_1xn_kernelILj128ELj15ELj16EfEEvi20rocsparse_direction_NS_24const_host_device_scalarIT2_EEPKiS6_PKS3_S8_S4_PS3_21rocsparse_index_base_b.uses_vcc, 1
	.set _ZN9rocsparseL19gebsrmvn_1xn_kernelILj128ELj15ELj16EfEEvi20rocsparse_direction_NS_24const_host_device_scalarIT2_EEPKiS6_PKS3_S8_S4_PS3_21rocsparse_index_base_b.uses_flat_scratch, 0
	.set _ZN9rocsparseL19gebsrmvn_1xn_kernelILj128ELj15ELj16EfEEvi20rocsparse_direction_NS_24const_host_device_scalarIT2_EEPKiS6_PKS3_S8_S4_PS3_21rocsparse_index_base_b.has_dyn_sized_stack, 0
	.set _ZN9rocsparseL19gebsrmvn_1xn_kernelILj128ELj15ELj16EfEEvi20rocsparse_direction_NS_24const_host_device_scalarIT2_EEPKiS6_PKS3_S8_S4_PS3_21rocsparse_index_base_b.has_recursion, 0
	.set _ZN9rocsparseL19gebsrmvn_1xn_kernelILj128ELj15ELj16EfEEvi20rocsparse_direction_NS_24const_host_device_scalarIT2_EEPKiS6_PKS3_S8_S4_PS3_21rocsparse_index_base_b.has_indirect_call, 0
	.section	.AMDGPU.csdata,"",@progbits
; Kernel info:
; codeLenInByte = 1836
; TotalNumSgprs: 16
; NumVgprs: 46
; ScratchSize: 0
; MemoryBound: 0
; FloatMode: 240
; IeeeMode: 1
; LDSByteSize: 0 bytes/workgroup (compile time only)
; SGPRBlocks: 0
; VGPRBlocks: 5
; NumSGPRsForWavesPerEU: 16
; NumVGPRsForWavesPerEU: 46
; Occupancy: 16
; WaveLimiterHint : 1
; COMPUTE_PGM_RSRC2:SCRATCH_EN: 0
; COMPUTE_PGM_RSRC2:USER_SGPR: 6
; COMPUTE_PGM_RSRC2:TRAP_HANDLER: 0
; COMPUTE_PGM_RSRC2:TGID_X_EN: 1
; COMPUTE_PGM_RSRC2:TGID_Y_EN: 0
; COMPUTE_PGM_RSRC2:TGID_Z_EN: 0
; COMPUTE_PGM_RSRC2:TIDIG_COMP_CNT: 0
	.section	.text._ZN9rocsparseL19gebsrmvn_1xn_kernelILj128ELj15ELj32EfEEvi20rocsparse_direction_NS_24const_host_device_scalarIT2_EEPKiS6_PKS3_S8_S4_PS3_21rocsparse_index_base_b,"axG",@progbits,_ZN9rocsparseL19gebsrmvn_1xn_kernelILj128ELj15ELj32EfEEvi20rocsparse_direction_NS_24const_host_device_scalarIT2_EEPKiS6_PKS3_S8_S4_PS3_21rocsparse_index_base_b,comdat
	.globl	_ZN9rocsparseL19gebsrmvn_1xn_kernelILj128ELj15ELj32EfEEvi20rocsparse_direction_NS_24const_host_device_scalarIT2_EEPKiS6_PKS3_S8_S4_PS3_21rocsparse_index_base_b ; -- Begin function _ZN9rocsparseL19gebsrmvn_1xn_kernelILj128ELj15ELj32EfEEvi20rocsparse_direction_NS_24const_host_device_scalarIT2_EEPKiS6_PKS3_S8_S4_PS3_21rocsparse_index_base_b
	.p2align	8
	.type	_ZN9rocsparseL19gebsrmvn_1xn_kernelILj128ELj15ELj32EfEEvi20rocsparse_direction_NS_24const_host_device_scalarIT2_EEPKiS6_PKS3_S8_S4_PS3_21rocsparse_index_base_b,@function
_ZN9rocsparseL19gebsrmvn_1xn_kernelILj128ELj15ELj32EfEEvi20rocsparse_direction_NS_24const_host_device_scalarIT2_EEPKiS6_PKS3_S8_S4_PS3_21rocsparse_index_base_b: ; @_ZN9rocsparseL19gebsrmvn_1xn_kernelILj128ELj15ELj32EfEEvi20rocsparse_direction_NS_24const_host_device_scalarIT2_EEPKiS6_PKS3_S8_S4_PS3_21rocsparse_index_base_b
; %bb.0:
	s_clause 0x2
	s_load_dwordx2 s[12:13], s[4:5], 0x40
	s_load_dwordx2 s[10:11], s[4:5], 0x8
	;; [unrolled: 1-line block ×3, first 2 shown]
	s_waitcnt lgkmcnt(0)
	s_bitcmp1_b32 s13, 0
	s_cselect_b32 s0, -1, 0
	s_and_b32 vcc_lo, exec_lo, s0
	s_xor_b32 s0, s0, -1
	s_cbranch_vccnz .LBB68_2
; %bb.1:
	s_load_dword s10, s[10:11], 0x0
.LBB68_2:
	s_andn2_b32 vcc_lo, exec_lo, s0
	s_cbranch_vccnz .LBB68_4
; %bb.3:
	s_load_dword s8, s[8:9], 0x0
.LBB68_4:
	s_waitcnt lgkmcnt(0)
	v_cmp_eq_f32_e64 s0, s10, 0
	v_cmp_eq_f32_e64 s1, s8, 1.0
	s_and_b32 s0, s0, s1
	s_and_b32 vcc_lo, exec_lo, s0
	s_cbranch_vccnz .LBB68_15
; %bb.5:
	s_load_dword s0, s[4:5], 0x0
	v_lshrrev_b32_e32 v1, 5, v0
	v_lshl_or_b32 v1, s6, 2, v1
	s_waitcnt lgkmcnt(0)
	v_cmp_gt_i32_e32 vcc_lo, s0, v1
	s_and_saveexec_b32 s0, vcc_lo
	s_cbranch_execz .LBB68_15
; %bb.6:
	s_clause 0x1
	s_load_dwordx2 s[0:1], s[4:5], 0x10
	s_load_dwordx2 s[6:7], s[4:5], 0x38
	v_ashrrev_i32_e32 v2, 31, v1
	v_and_b32_e32 v0, 31, v0
	v_mov_b32_e32 v9, 0
	s_mov_b32 s9, exec_lo
	v_lshlrev_b64 v[1:2], 2, v[1:2]
	v_subrev_nc_u32_e32 v5, s12, v0
	s_waitcnt lgkmcnt(0)
	v_add_co_u32 v3, vcc_lo, s0, v1
	v_add_co_ci_u32_e64 v4, null, s1, v2, vcc_lo
	global_load_dwordx2 v[3:4], v[3:4], off
	s_waitcnt vmcnt(0)
	v_subrev_nc_u32_e32 v10, s12, v4
	v_add_nc_u32_e32 v3, v3, v5
	v_cmpx_lt_i32_e64 v3, v10
	s_cbranch_execz .LBB68_10
; %bb.7:
	s_clause 0x1
	s_load_dwordx4 s[0:3], s[4:5], 0x18
	s_load_dwordx2 s[4:5], s[4:5], 0x28
	v_mad_u64_u32 v[5:6], null, v3, 15, 14
	v_mov_b32_e32 v8, 0
	v_mov_b32_e32 v9, 0
	s_mov_b32 s11, 0
.LBB68_8:                               ; =>This Inner Loop Header: Depth=1
	v_ashrrev_i32_e32 v4, 31, v3
	v_mov_b32_e32 v12, v8
	v_lshlrev_b64 v[6:7], 2, v[3:4]
	v_add_nc_u32_e32 v3, 32, v3
	s_waitcnt lgkmcnt(0)
	v_add_co_u32 v6, vcc_lo, s0, v6
	v_add_co_ci_u32_e64 v7, null, s1, v7, vcc_lo
	global_load_dword v4, v[6:7], off
	v_add_nc_u32_e32 v7, -14, v5
	v_mov_b32_e32 v6, v8
	v_lshlrev_b64 v[13:14], 2, v[7:8]
	v_add_nc_u32_e32 v7, -13, v5
	v_lshlrev_b64 v[15:16], 2, v[5:6]
	v_lshlrev_b64 v[6:7], 2, v[7:8]
	v_add_co_u32 v13, vcc_lo, s2, v13
	v_add_co_ci_u32_e64 v14, null, s3, v14, vcc_lo
	v_add_co_u32 v15, vcc_lo, s2, v15
	v_add_co_ci_u32_e64 v16, null, s3, v16, vcc_lo
	;; [unrolled: 2-line block ×3, first 2 shown]
	s_clause 0x1
	global_load_dword v21, v[13:14], off
	global_load_dword v22, v[6:7], off
	s_waitcnt vmcnt(2)
	v_subrev_nc_u32_e32 v4, s12, v4
	v_mul_lo_u32 v11, v4, 15
	v_add_nc_u32_e32 v7, 1, v11
	v_lshlrev_b64 v[12:13], 2, v[11:12]
	v_lshlrev_b64 v[17:18], 2, v[7:8]
	v_add_nc_u32_e32 v7, -12, v5
	v_add_co_u32 v12, vcc_lo, s4, v12
	v_add_co_ci_u32_e64 v13, null, s5, v13, vcc_lo
	v_add_co_u32 v17, vcc_lo, s4, v17
	v_lshlrev_b64 v[19:20], 2, v[7:8]
	v_add_nc_u32_e32 v7, 2, v11
	v_add_co_ci_u32_e64 v18, null, s5, v18, vcc_lo
	s_clause 0x1
	global_load_dword v4, v[12:13], off
	global_load_dword v23, v[17:18], off
	v_lshlrev_b64 v[12:13], 2, v[7:8]
	v_add_nc_u32_e32 v7, -11, v5
	v_add_co_u32 v17, vcc_lo, s2, v19
	v_add_co_ci_u32_e64 v18, null, s3, v20, vcc_lo
	v_add_co_u32 v12, vcc_lo, s4, v12
	v_lshlrev_b64 v[19:20], 2, v[7:8]
	v_add_co_ci_u32_e64 v13, null, s5, v13, vcc_lo
	v_add_nc_u32_e32 v7, 3, v11
	global_load_dword v24, v[17:18], off
	global_load_dword v25, v[12:13], off
	v_add_co_u32 v12, vcc_lo, s2, v19
	v_add_co_ci_u32_e64 v13, null, s3, v20, vcc_lo
	global_load_dword v26, v[12:13], off
	v_lshlrev_b64 v[17:18], 2, v[7:8]
	v_add_nc_u32_e32 v7, -10, v5
	v_lshlrev_b64 v[19:20], 2, v[7:8]
	v_add_nc_u32_e32 v7, 4, v11
	v_add_co_u32 v17, vcc_lo, s4, v17
	v_add_co_ci_u32_e64 v18, null, s5, v18, vcc_lo
	v_lshlrev_b64 v[12:13], 2, v[7:8]
	v_add_nc_u32_e32 v7, -9, v5
	global_load_dword v27, v[17:18], off
	v_add_co_u32 v17, vcc_lo, s2, v19
	v_add_co_ci_u32_e64 v18, null, s3, v20, vcc_lo
	v_add_co_u32 v12, vcc_lo, s4, v12
	v_lshlrev_b64 v[19:20], 2, v[7:8]
	v_add_co_ci_u32_e64 v13, null, s5, v13, vcc_lo
	v_add_nc_u32_e32 v7, 5, v11
	global_load_dword v28, v[17:18], off
	global_load_dword v29, v[12:13], off
	v_add_co_u32 v12, vcc_lo, s2, v19
	v_add_co_ci_u32_e64 v13, null, s3, v20, vcc_lo
	global_load_dword v30, v[12:13], off
	v_lshlrev_b64 v[17:18], 2, v[7:8]
	v_add_nc_u32_e32 v7, -8, v5
	v_lshlrev_b64 v[19:20], 2, v[7:8]
	v_add_nc_u32_e32 v7, 6, v11
	v_add_co_u32 v17, vcc_lo, s4, v17
	v_add_co_ci_u32_e64 v18, null, s5, v18, vcc_lo
	v_lshlrev_b64 v[12:13], 2, v[7:8]
	v_add_nc_u32_e32 v7, -7, v5
	global_load_dword v31, v[17:18], off
	;; [unrolled: 20-line block ×4, first 2 shown]
	v_add_co_u32 v17, vcc_lo, s2, v19
	v_add_co_ci_u32_e64 v18, null, s3, v20, vcc_lo
	v_add_co_u32 v12, vcc_lo, s4, v12
	v_lshlrev_b64 v[19:20], 2, v[7:8]
	v_add_co_ci_u32_e64 v13, null, s5, v13, vcc_lo
	v_add_nc_u32_e32 v7, 11, v11
	global_load_dword v40, v[17:18], off
	global_load_dword v41, v[12:13], off
	v_add_co_u32 v12, vcc_lo, s2, v19
	v_add_co_ci_u32_e64 v13, null, s3, v20, vcc_lo
	global_load_dword v42, v[12:13], off
	v_lshlrev_b64 v[17:18], 2, v[7:8]
	v_add_nc_u32_e32 v7, -2, v5
	v_lshlrev_b64 v[19:20], 2, v[7:8]
	v_add_nc_u32_e32 v7, 12, v11
	v_add_co_u32 v17, vcc_lo, s4, v17
	v_add_co_ci_u32_e64 v18, null, s5, v18, vcc_lo
	v_lshlrev_b64 v[12:13], 2, v[7:8]
	v_add_nc_u32_e32 v7, -1, v5
	v_add_nc_u32_e32 v5, 0x1e0, v5
	global_load_dword v43, v[17:18], off
	v_add_co_u32 v17, vcc_lo, s2, v19
	v_add_co_ci_u32_e64 v18, null, s3, v20, vcc_lo
	v_lshlrev_b64 v[19:20], 2, v[7:8]
	v_add_nc_u32_e32 v7, 13, v11
	v_add_co_u32 v12, vcc_lo, s4, v12
	global_load_dword v44, v[17:18], off
	v_add_co_ci_u32_e64 v13, null, s5, v13, vcc_lo
	v_lshlrev_b64 v[17:18], 2, v[7:8]
	v_add_nc_u32_e32 v7, 14, v11
	v_add_co_u32 v11, vcc_lo, s2, v19
	global_load_dword v45, v[12:13], off
	v_add_co_ci_u32_e64 v12, null, s3, v20, vcc_lo
	v_lshlrev_b64 v[6:7], 2, v[7:8]
	v_add_co_u32 v13, vcc_lo, s4, v17
	v_add_co_ci_u32_e64 v14, null, s5, v18, vcc_lo
	global_load_dword v11, v[11:12], off
	global_load_dword v12, v[13:14], off
	v_add_co_u32 v6, vcc_lo, s4, v6
	v_add_co_ci_u32_e64 v7, null, s5, v7, vcc_lo
	global_load_dword v13, v[15:16], off
	global_load_dword v6, v[6:7], off
	v_cmp_ge_i32_e32 vcc_lo, v3, v10
	s_or_b32 s11, vcc_lo, s11
	s_waitcnt vmcnt(27)
	v_fmac_f32_e32 v9, v21, v4
	s_waitcnt vmcnt(26)
	v_fmac_f32_e32 v9, v22, v23
	;; [unrolled: 2-line block ×15, first 2 shown]
	s_andn2_b32 exec_lo, exec_lo, s11
	s_cbranch_execnz .LBB68_8
; %bb.9:
	s_or_b32 exec_lo, exec_lo, s11
.LBB68_10:
	s_or_b32 exec_lo, exec_lo, s9
	v_mbcnt_lo_u32_b32 v3, -1, 0
	s_mov_b32 s0, -1
	v_xor_b32_e32 v4, 16, v3
	v_xor_b32_e32 v5, 8, v3
	;; [unrolled: 1-line block ×3, first 2 shown]
	v_cmp_gt_i32_e32 vcc_lo, 32, v4
	v_cndmask_b32_e32 v4, v3, v4, vcc_lo
	v_cmp_gt_i32_e32 vcc_lo, 32, v5
	v_lshlrev_b32_e32 v4, 2, v4
	v_cndmask_b32_e32 v5, v3, v5, vcc_lo
	v_cmp_gt_i32_e32 vcc_lo, 32, v6
	ds_bpermute_b32 v4, v4, v9
	v_lshlrev_b32_e32 v5, 2, v5
	v_cndmask_b32_e32 v6, v3, v6, vcc_lo
	v_lshlrev_b32_e32 v6, 2, v6
	s_waitcnt lgkmcnt(0)
	v_add_f32_e32 v4, v9, v4
	ds_bpermute_b32 v5, v5, v4
	s_waitcnt lgkmcnt(0)
	v_add_f32_e32 v4, v4, v5
	ds_bpermute_b32 v5, v6, v4
	v_xor_b32_e32 v6, 2, v3
	v_cmp_gt_i32_e32 vcc_lo, 32, v6
	v_cndmask_b32_e32 v6, v3, v6, vcc_lo
	v_lshlrev_b32_e32 v6, 2, v6
	s_waitcnt lgkmcnt(0)
	v_add_f32_e32 v4, v4, v5
	ds_bpermute_b32 v5, v6, v4
	v_xor_b32_e32 v6, 1, v3
	v_cmp_gt_i32_e32 vcc_lo, 32, v6
	v_cndmask_b32_e32 v6, v3, v6, vcc_lo
	v_cmp_eq_u32_e32 vcc_lo, 31, v0
	s_waitcnt lgkmcnt(0)
	v_add_f32_e32 v3, v4, v5
	v_lshlrev_b32_e32 v4, 2, v6
	ds_bpermute_b32 v4, v4, v3
	s_and_b32 exec_lo, exec_lo, vcc_lo
	s_cbranch_execz .LBB68_15
; %bb.11:
	s_waitcnt lgkmcnt(0)
	v_add_f32_e32 v0, v3, v4
	v_cmp_eq_f32_e64 s1, s8, 0
	v_mul_f32_e32 v0, s10, v0
	s_and_b32 vcc_lo, exec_lo, s1
	s_cbranch_vccz .LBB68_13
; %bb.12:
	v_add_co_u32 v3, vcc_lo, s6, v1
	v_add_co_ci_u32_e64 v4, null, s7, v2, vcc_lo
	s_mov_b32 s0, 0
	global_store_dword v[3:4], v0, off
.LBB68_13:
	s_andn2_b32 vcc_lo, exec_lo, s0
	s_cbranch_vccnz .LBB68_15
; %bb.14:
	v_add_co_u32 v1, vcc_lo, s6, v1
	v_add_co_ci_u32_e64 v2, null, s7, v2, vcc_lo
	global_load_dword v3, v[1:2], off
	s_waitcnt vmcnt(0)
	v_fmac_f32_e32 v0, s8, v3
	global_store_dword v[1:2], v0, off
.LBB68_15:
	s_endpgm
	.section	.rodata,"a",@progbits
	.p2align	6, 0x0
	.amdhsa_kernel _ZN9rocsparseL19gebsrmvn_1xn_kernelILj128ELj15ELj32EfEEvi20rocsparse_direction_NS_24const_host_device_scalarIT2_EEPKiS6_PKS3_S8_S4_PS3_21rocsparse_index_base_b
		.amdhsa_group_segment_fixed_size 0
		.amdhsa_private_segment_fixed_size 0
		.amdhsa_kernarg_size 72
		.amdhsa_user_sgpr_count 6
		.amdhsa_user_sgpr_private_segment_buffer 1
		.amdhsa_user_sgpr_dispatch_ptr 0
		.amdhsa_user_sgpr_queue_ptr 0
		.amdhsa_user_sgpr_kernarg_segment_ptr 1
		.amdhsa_user_sgpr_dispatch_id 0
		.amdhsa_user_sgpr_flat_scratch_init 0
		.amdhsa_user_sgpr_private_segment_size 0
		.amdhsa_wavefront_size32 1
		.amdhsa_uses_dynamic_stack 0
		.amdhsa_system_sgpr_private_segment_wavefront_offset 0
		.amdhsa_system_sgpr_workgroup_id_x 1
		.amdhsa_system_sgpr_workgroup_id_y 0
		.amdhsa_system_sgpr_workgroup_id_z 0
		.amdhsa_system_sgpr_workgroup_info 0
		.amdhsa_system_vgpr_workitem_id 0
		.amdhsa_next_free_vgpr 46
		.amdhsa_next_free_sgpr 14
		.amdhsa_reserve_vcc 1
		.amdhsa_reserve_flat_scratch 0
		.amdhsa_float_round_mode_32 0
		.amdhsa_float_round_mode_16_64 0
		.amdhsa_float_denorm_mode_32 3
		.amdhsa_float_denorm_mode_16_64 3
		.amdhsa_dx10_clamp 1
		.amdhsa_ieee_mode 1
		.amdhsa_fp16_overflow 0
		.amdhsa_workgroup_processor_mode 1
		.amdhsa_memory_ordered 1
		.amdhsa_forward_progress 1
		.amdhsa_shared_vgpr_count 0
		.amdhsa_exception_fp_ieee_invalid_op 0
		.amdhsa_exception_fp_denorm_src 0
		.amdhsa_exception_fp_ieee_div_zero 0
		.amdhsa_exception_fp_ieee_overflow 0
		.amdhsa_exception_fp_ieee_underflow 0
		.amdhsa_exception_fp_ieee_inexact 0
		.amdhsa_exception_int_div_zero 0
	.end_amdhsa_kernel
	.section	.text._ZN9rocsparseL19gebsrmvn_1xn_kernelILj128ELj15ELj32EfEEvi20rocsparse_direction_NS_24const_host_device_scalarIT2_EEPKiS6_PKS3_S8_S4_PS3_21rocsparse_index_base_b,"axG",@progbits,_ZN9rocsparseL19gebsrmvn_1xn_kernelILj128ELj15ELj32EfEEvi20rocsparse_direction_NS_24const_host_device_scalarIT2_EEPKiS6_PKS3_S8_S4_PS3_21rocsparse_index_base_b,comdat
.Lfunc_end68:
	.size	_ZN9rocsparseL19gebsrmvn_1xn_kernelILj128ELj15ELj32EfEEvi20rocsparse_direction_NS_24const_host_device_scalarIT2_EEPKiS6_PKS3_S8_S4_PS3_21rocsparse_index_base_b, .Lfunc_end68-_ZN9rocsparseL19gebsrmvn_1xn_kernelILj128ELj15ELj32EfEEvi20rocsparse_direction_NS_24const_host_device_scalarIT2_EEPKiS6_PKS3_S8_S4_PS3_21rocsparse_index_base_b
                                        ; -- End function
	.set _ZN9rocsparseL19gebsrmvn_1xn_kernelILj128ELj15ELj32EfEEvi20rocsparse_direction_NS_24const_host_device_scalarIT2_EEPKiS6_PKS3_S8_S4_PS3_21rocsparse_index_base_b.num_vgpr, 46
	.set _ZN9rocsparseL19gebsrmvn_1xn_kernelILj128ELj15ELj32EfEEvi20rocsparse_direction_NS_24const_host_device_scalarIT2_EEPKiS6_PKS3_S8_S4_PS3_21rocsparse_index_base_b.num_agpr, 0
	.set _ZN9rocsparseL19gebsrmvn_1xn_kernelILj128ELj15ELj32EfEEvi20rocsparse_direction_NS_24const_host_device_scalarIT2_EEPKiS6_PKS3_S8_S4_PS3_21rocsparse_index_base_b.numbered_sgpr, 14
	.set _ZN9rocsparseL19gebsrmvn_1xn_kernelILj128ELj15ELj32EfEEvi20rocsparse_direction_NS_24const_host_device_scalarIT2_EEPKiS6_PKS3_S8_S4_PS3_21rocsparse_index_base_b.num_named_barrier, 0
	.set _ZN9rocsparseL19gebsrmvn_1xn_kernelILj128ELj15ELj32EfEEvi20rocsparse_direction_NS_24const_host_device_scalarIT2_EEPKiS6_PKS3_S8_S4_PS3_21rocsparse_index_base_b.private_seg_size, 0
	.set _ZN9rocsparseL19gebsrmvn_1xn_kernelILj128ELj15ELj32EfEEvi20rocsparse_direction_NS_24const_host_device_scalarIT2_EEPKiS6_PKS3_S8_S4_PS3_21rocsparse_index_base_b.uses_vcc, 1
	.set _ZN9rocsparseL19gebsrmvn_1xn_kernelILj128ELj15ELj32EfEEvi20rocsparse_direction_NS_24const_host_device_scalarIT2_EEPKiS6_PKS3_S8_S4_PS3_21rocsparse_index_base_b.uses_flat_scratch, 0
	.set _ZN9rocsparseL19gebsrmvn_1xn_kernelILj128ELj15ELj32EfEEvi20rocsparse_direction_NS_24const_host_device_scalarIT2_EEPKiS6_PKS3_S8_S4_PS3_21rocsparse_index_base_b.has_dyn_sized_stack, 0
	.set _ZN9rocsparseL19gebsrmvn_1xn_kernelILj128ELj15ELj32EfEEvi20rocsparse_direction_NS_24const_host_device_scalarIT2_EEPKiS6_PKS3_S8_S4_PS3_21rocsparse_index_base_b.has_recursion, 0
	.set _ZN9rocsparseL19gebsrmvn_1xn_kernelILj128ELj15ELj32EfEEvi20rocsparse_direction_NS_24const_host_device_scalarIT2_EEPKiS6_PKS3_S8_S4_PS3_21rocsparse_index_base_b.has_indirect_call, 0
	.section	.AMDGPU.csdata,"",@progbits
; Kernel info:
; codeLenInByte = 1868
; TotalNumSgprs: 16
; NumVgprs: 46
; ScratchSize: 0
; MemoryBound: 0
; FloatMode: 240
; IeeeMode: 1
; LDSByteSize: 0 bytes/workgroup (compile time only)
; SGPRBlocks: 0
; VGPRBlocks: 5
; NumSGPRsForWavesPerEU: 16
; NumVGPRsForWavesPerEU: 46
; Occupancy: 16
; WaveLimiterHint : 1
; COMPUTE_PGM_RSRC2:SCRATCH_EN: 0
; COMPUTE_PGM_RSRC2:USER_SGPR: 6
; COMPUTE_PGM_RSRC2:TRAP_HANDLER: 0
; COMPUTE_PGM_RSRC2:TGID_X_EN: 1
; COMPUTE_PGM_RSRC2:TGID_Y_EN: 0
; COMPUTE_PGM_RSRC2:TGID_Z_EN: 0
; COMPUTE_PGM_RSRC2:TIDIG_COMP_CNT: 0
	.section	.text._ZN9rocsparseL19gebsrmvn_1xn_kernelILj128ELj15ELj64EfEEvi20rocsparse_direction_NS_24const_host_device_scalarIT2_EEPKiS6_PKS3_S8_S4_PS3_21rocsparse_index_base_b,"axG",@progbits,_ZN9rocsparseL19gebsrmvn_1xn_kernelILj128ELj15ELj64EfEEvi20rocsparse_direction_NS_24const_host_device_scalarIT2_EEPKiS6_PKS3_S8_S4_PS3_21rocsparse_index_base_b,comdat
	.globl	_ZN9rocsparseL19gebsrmvn_1xn_kernelILj128ELj15ELj64EfEEvi20rocsparse_direction_NS_24const_host_device_scalarIT2_EEPKiS6_PKS3_S8_S4_PS3_21rocsparse_index_base_b ; -- Begin function _ZN9rocsparseL19gebsrmvn_1xn_kernelILj128ELj15ELj64EfEEvi20rocsparse_direction_NS_24const_host_device_scalarIT2_EEPKiS6_PKS3_S8_S4_PS3_21rocsparse_index_base_b
	.p2align	8
	.type	_ZN9rocsparseL19gebsrmvn_1xn_kernelILj128ELj15ELj64EfEEvi20rocsparse_direction_NS_24const_host_device_scalarIT2_EEPKiS6_PKS3_S8_S4_PS3_21rocsparse_index_base_b,@function
_ZN9rocsparseL19gebsrmvn_1xn_kernelILj128ELj15ELj64EfEEvi20rocsparse_direction_NS_24const_host_device_scalarIT2_EEPKiS6_PKS3_S8_S4_PS3_21rocsparse_index_base_b: ; @_ZN9rocsparseL19gebsrmvn_1xn_kernelILj128ELj15ELj64EfEEvi20rocsparse_direction_NS_24const_host_device_scalarIT2_EEPKiS6_PKS3_S8_S4_PS3_21rocsparse_index_base_b
; %bb.0:
	s_clause 0x2
	s_load_dwordx2 s[12:13], s[4:5], 0x40
	s_load_dwordx2 s[10:11], s[4:5], 0x8
	s_load_dwordx2 s[8:9], s[4:5], 0x30
	s_waitcnt lgkmcnt(0)
	s_bitcmp1_b32 s13, 0
	s_cselect_b32 s0, -1, 0
	s_and_b32 vcc_lo, exec_lo, s0
	s_xor_b32 s0, s0, -1
	s_cbranch_vccnz .LBB69_2
; %bb.1:
	s_load_dword s10, s[10:11], 0x0
.LBB69_2:
	s_andn2_b32 vcc_lo, exec_lo, s0
	s_cbranch_vccnz .LBB69_4
; %bb.3:
	s_load_dword s8, s[8:9], 0x0
.LBB69_4:
	s_waitcnt lgkmcnt(0)
	v_cmp_eq_f32_e64 s0, s10, 0
	v_cmp_eq_f32_e64 s1, s8, 1.0
	s_and_b32 s0, s0, s1
	s_and_b32 vcc_lo, exec_lo, s0
	s_cbranch_vccnz .LBB69_15
; %bb.5:
	s_load_dword s0, s[4:5], 0x0
	v_lshrrev_b32_e32 v1, 6, v0
	v_lshl_or_b32 v1, s6, 1, v1
	s_waitcnt lgkmcnt(0)
	v_cmp_gt_i32_e32 vcc_lo, s0, v1
	s_and_saveexec_b32 s0, vcc_lo
	s_cbranch_execz .LBB69_15
; %bb.6:
	s_clause 0x1
	s_load_dwordx2 s[0:1], s[4:5], 0x10
	s_load_dwordx2 s[6:7], s[4:5], 0x38
	v_ashrrev_i32_e32 v2, 31, v1
	v_and_b32_e32 v0, 63, v0
	v_mov_b32_e32 v9, 0
	s_mov_b32 s9, exec_lo
	v_lshlrev_b64 v[1:2], 2, v[1:2]
	v_subrev_nc_u32_e32 v5, s12, v0
	s_waitcnt lgkmcnt(0)
	v_add_co_u32 v3, vcc_lo, s0, v1
	v_add_co_ci_u32_e64 v4, null, s1, v2, vcc_lo
	global_load_dwordx2 v[3:4], v[3:4], off
	s_waitcnt vmcnt(0)
	v_subrev_nc_u32_e32 v10, s12, v4
	v_add_nc_u32_e32 v3, v3, v5
	v_cmpx_lt_i32_e64 v3, v10
	s_cbranch_execz .LBB69_10
; %bb.7:
	s_clause 0x1
	s_load_dwordx4 s[0:3], s[4:5], 0x18
	s_load_dwordx2 s[4:5], s[4:5], 0x28
	v_mad_u64_u32 v[5:6], null, v3, 15, 14
	v_mov_b32_e32 v8, 0
	v_mov_b32_e32 v9, 0
	s_mov_b32 s11, 0
.LBB69_8:                               ; =>This Inner Loop Header: Depth=1
	v_ashrrev_i32_e32 v4, 31, v3
	v_mov_b32_e32 v12, v8
	v_lshlrev_b64 v[6:7], 2, v[3:4]
	v_add_nc_u32_e32 v3, 64, v3
	s_waitcnt lgkmcnt(0)
	v_add_co_u32 v6, vcc_lo, s0, v6
	v_add_co_ci_u32_e64 v7, null, s1, v7, vcc_lo
	global_load_dword v4, v[6:7], off
	v_add_nc_u32_e32 v7, -14, v5
	v_mov_b32_e32 v6, v8
	v_lshlrev_b64 v[13:14], 2, v[7:8]
	v_add_nc_u32_e32 v7, -13, v5
	v_lshlrev_b64 v[15:16], 2, v[5:6]
	v_lshlrev_b64 v[6:7], 2, v[7:8]
	v_add_co_u32 v13, vcc_lo, s2, v13
	v_add_co_ci_u32_e64 v14, null, s3, v14, vcc_lo
	v_add_co_u32 v15, vcc_lo, s2, v15
	v_add_co_ci_u32_e64 v16, null, s3, v16, vcc_lo
	;; [unrolled: 2-line block ×3, first 2 shown]
	s_clause 0x1
	global_load_dword v21, v[13:14], off
	global_load_dword v22, v[6:7], off
	s_waitcnt vmcnt(2)
	v_subrev_nc_u32_e32 v4, s12, v4
	v_mul_lo_u32 v11, v4, 15
	v_add_nc_u32_e32 v7, 1, v11
	v_lshlrev_b64 v[12:13], 2, v[11:12]
	v_lshlrev_b64 v[17:18], 2, v[7:8]
	v_add_nc_u32_e32 v7, -12, v5
	v_add_co_u32 v12, vcc_lo, s4, v12
	v_add_co_ci_u32_e64 v13, null, s5, v13, vcc_lo
	v_add_co_u32 v17, vcc_lo, s4, v17
	v_lshlrev_b64 v[19:20], 2, v[7:8]
	v_add_nc_u32_e32 v7, 2, v11
	v_add_co_ci_u32_e64 v18, null, s5, v18, vcc_lo
	s_clause 0x1
	global_load_dword v4, v[12:13], off
	global_load_dword v23, v[17:18], off
	v_lshlrev_b64 v[12:13], 2, v[7:8]
	v_add_nc_u32_e32 v7, -11, v5
	v_add_co_u32 v17, vcc_lo, s2, v19
	v_add_co_ci_u32_e64 v18, null, s3, v20, vcc_lo
	v_add_co_u32 v12, vcc_lo, s4, v12
	v_lshlrev_b64 v[19:20], 2, v[7:8]
	v_add_co_ci_u32_e64 v13, null, s5, v13, vcc_lo
	v_add_nc_u32_e32 v7, 3, v11
	global_load_dword v24, v[17:18], off
	global_load_dword v25, v[12:13], off
	v_add_co_u32 v12, vcc_lo, s2, v19
	v_add_co_ci_u32_e64 v13, null, s3, v20, vcc_lo
	global_load_dword v26, v[12:13], off
	v_lshlrev_b64 v[17:18], 2, v[7:8]
	v_add_nc_u32_e32 v7, -10, v5
	v_lshlrev_b64 v[19:20], 2, v[7:8]
	v_add_nc_u32_e32 v7, 4, v11
	v_add_co_u32 v17, vcc_lo, s4, v17
	v_add_co_ci_u32_e64 v18, null, s5, v18, vcc_lo
	v_lshlrev_b64 v[12:13], 2, v[7:8]
	v_add_nc_u32_e32 v7, -9, v5
	global_load_dword v27, v[17:18], off
	v_add_co_u32 v17, vcc_lo, s2, v19
	v_add_co_ci_u32_e64 v18, null, s3, v20, vcc_lo
	v_add_co_u32 v12, vcc_lo, s4, v12
	v_lshlrev_b64 v[19:20], 2, v[7:8]
	v_add_co_ci_u32_e64 v13, null, s5, v13, vcc_lo
	v_add_nc_u32_e32 v7, 5, v11
	global_load_dword v28, v[17:18], off
	global_load_dword v29, v[12:13], off
	v_add_co_u32 v12, vcc_lo, s2, v19
	v_add_co_ci_u32_e64 v13, null, s3, v20, vcc_lo
	global_load_dword v30, v[12:13], off
	v_lshlrev_b64 v[17:18], 2, v[7:8]
	v_add_nc_u32_e32 v7, -8, v5
	v_lshlrev_b64 v[19:20], 2, v[7:8]
	v_add_nc_u32_e32 v7, 6, v11
	v_add_co_u32 v17, vcc_lo, s4, v17
	v_add_co_ci_u32_e64 v18, null, s5, v18, vcc_lo
	v_lshlrev_b64 v[12:13], 2, v[7:8]
	v_add_nc_u32_e32 v7, -7, v5
	global_load_dword v31, v[17:18], off
	;; [unrolled: 20-line block ×4, first 2 shown]
	v_add_co_u32 v17, vcc_lo, s2, v19
	v_add_co_ci_u32_e64 v18, null, s3, v20, vcc_lo
	v_add_co_u32 v12, vcc_lo, s4, v12
	v_lshlrev_b64 v[19:20], 2, v[7:8]
	v_add_co_ci_u32_e64 v13, null, s5, v13, vcc_lo
	v_add_nc_u32_e32 v7, 11, v11
	global_load_dword v40, v[17:18], off
	global_load_dword v41, v[12:13], off
	v_add_co_u32 v12, vcc_lo, s2, v19
	v_add_co_ci_u32_e64 v13, null, s3, v20, vcc_lo
	global_load_dword v42, v[12:13], off
	v_lshlrev_b64 v[17:18], 2, v[7:8]
	v_add_nc_u32_e32 v7, -2, v5
	v_lshlrev_b64 v[19:20], 2, v[7:8]
	v_add_nc_u32_e32 v7, 12, v11
	v_add_co_u32 v17, vcc_lo, s4, v17
	v_add_co_ci_u32_e64 v18, null, s5, v18, vcc_lo
	v_lshlrev_b64 v[12:13], 2, v[7:8]
	v_add_nc_u32_e32 v7, -1, v5
	v_add_nc_u32_e32 v5, 0x3c0, v5
	global_load_dword v43, v[17:18], off
	v_add_co_u32 v17, vcc_lo, s2, v19
	v_add_co_ci_u32_e64 v18, null, s3, v20, vcc_lo
	v_lshlrev_b64 v[19:20], 2, v[7:8]
	v_add_nc_u32_e32 v7, 13, v11
	v_add_co_u32 v12, vcc_lo, s4, v12
	global_load_dword v44, v[17:18], off
	v_add_co_ci_u32_e64 v13, null, s5, v13, vcc_lo
	v_lshlrev_b64 v[17:18], 2, v[7:8]
	v_add_nc_u32_e32 v7, 14, v11
	v_add_co_u32 v11, vcc_lo, s2, v19
	global_load_dword v45, v[12:13], off
	v_add_co_ci_u32_e64 v12, null, s3, v20, vcc_lo
	v_lshlrev_b64 v[6:7], 2, v[7:8]
	v_add_co_u32 v13, vcc_lo, s4, v17
	v_add_co_ci_u32_e64 v14, null, s5, v18, vcc_lo
	global_load_dword v11, v[11:12], off
	global_load_dword v12, v[13:14], off
	v_add_co_u32 v6, vcc_lo, s4, v6
	v_add_co_ci_u32_e64 v7, null, s5, v7, vcc_lo
	global_load_dword v13, v[15:16], off
	global_load_dword v6, v[6:7], off
	v_cmp_ge_i32_e32 vcc_lo, v3, v10
	s_or_b32 s11, vcc_lo, s11
	s_waitcnt vmcnt(27)
	v_fmac_f32_e32 v9, v21, v4
	s_waitcnt vmcnt(26)
	v_fmac_f32_e32 v9, v22, v23
	;; [unrolled: 2-line block ×15, first 2 shown]
	s_andn2_b32 exec_lo, exec_lo, s11
	s_cbranch_execnz .LBB69_8
; %bb.9:
	s_or_b32 exec_lo, exec_lo, s11
.LBB69_10:
	s_or_b32 exec_lo, exec_lo, s9
	v_mbcnt_lo_u32_b32 v3, -1, 0
	s_mov_b32 s0, -1
	v_or_b32_e32 v4, 32, v3
	v_xor_b32_e32 v5, 16, v3
	v_xor_b32_e32 v6, 8, v3
	v_cmp_gt_i32_e32 vcc_lo, 32, v4
	v_cndmask_b32_e32 v4, v3, v4, vcc_lo
	v_cmp_gt_i32_e32 vcc_lo, 32, v5
	v_lshlrev_b32_e32 v4, 2, v4
	v_cndmask_b32_e32 v5, v3, v5, vcc_lo
	v_cmp_gt_i32_e32 vcc_lo, 32, v6
	ds_bpermute_b32 v4, v4, v9
	v_lshlrev_b32_e32 v5, 2, v5
	v_cndmask_b32_e32 v6, v3, v6, vcc_lo
	v_lshlrev_b32_e32 v6, 2, v6
	s_waitcnt lgkmcnt(0)
	v_add_f32_e32 v4, v9, v4
	ds_bpermute_b32 v5, v5, v4
	s_waitcnt lgkmcnt(0)
	v_add_f32_e32 v4, v4, v5
	ds_bpermute_b32 v5, v6, v4
	v_xor_b32_e32 v6, 4, v3
	v_cmp_gt_i32_e32 vcc_lo, 32, v6
	v_cndmask_b32_e32 v6, v3, v6, vcc_lo
	v_lshlrev_b32_e32 v6, 2, v6
	s_waitcnt lgkmcnt(0)
	v_add_f32_e32 v4, v4, v5
	ds_bpermute_b32 v5, v6, v4
	v_xor_b32_e32 v6, 2, v3
	v_cmp_gt_i32_e32 vcc_lo, 32, v6
	v_cndmask_b32_e32 v6, v3, v6, vcc_lo
	v_lshlrev_b32_e32 v6, 2, v6
	s_waitcnt lgkmcnt(0)
	v_add_f32_e32 v4, v4, v5
	ds_bpermute_b32 v5, v6, v4
	v_xor_b32_e32 v6, 1, v3
	v_cmp_gt_i32_e32 vcc_lo, 32, v6
	v_cndmask_b32_e32 v6, v3, v6, vcc_lo
	v_cmp_eq_u32_e32 vcc_lo, 63, v0
	s_waitcnt lgkmcnt(0)
	v_add_f32_e32 v3, v4, v5
	v_lshlrev_b32_e32 v4, 2, v6
	ds_bpermute_b32 v4, v4, v3
	s_and_b32 exec_lo, exec_lo, vcc_lo
	s_cbranch_execz .LBB69_15
; %bb.11:
	s_waitcnt lgkmcnt(0)
	v_add_f32_e32 v0, v3, v4
	v_cmp_eq_f32_e64 s1, s8, 0
	v_mul_f32_e32 v0, s10, v0
	s_and_b32 vcc_lo, exec_lo, s1
	s_cbranch_vccz .LBB69_13
; %bb.12:
	v_add_co_u32 v3, vcc_lo, s6, v1
	v_add_co_ci_u32_e64 v4, null, s7, v2, vcc_lo
	s_mov_b32 s0, 0
	global_store_dword v[3:4], v0, off
.LBB69_13:
	s_andn2_b32 vcc_lo, exec_lo, s0
	s_cbranch_vccnz .LBB69_15
; %bb.14:
	v_add_co_u32 v1, vcc_lo, s6, v1
	v_add_co_ci_u32_e64 v2, null, s7, v2, vcc_lo
	global_load_dword v3, v[1:2], off
	s_waitcnt vmcnt(0)
	v_fmac_f32_e32 v0, s8, v3
	global_store_dword v[1:2], v0, off
.LBB69_15:
	s_endpgm
	.section	.rodata,"a",@progbits
	.p2align	6, 0x0
	.amdhsa_kernel _ZN9rocsparseL19gebsrmvn_1xn_kernelILj128ELj15ELj64EfEEvi20rocsparse_direction_NS_24const_host_device_scalarIT2_EEPKiS6_PKS3_S8_S4_PS3_21rocsparse_index_base_b
		.amdhsa_group_segment_fixed_size 0
		.amdhsa_private_segment_fixed_size 0
		.amdhsa_kernarg_size 72
		.amdhsa_user_sgpr_count 6
		.amdhsa_user_sgpr_private_segment_buffer 1
		.amdhsa_user_sgpr_dispatch_ptr 0
		.amdhsa_user_sgpr_queue_ptr 0
		.amdhsa_user_sgpr_kernarg_segment_ptr 1
		.amdhsa_user_sgpr_dispatch_id 0
		.amdhsa_user_sgpr_flat_scratch_init 0
		.amdhsa_user_sgpr_private_segment_size 0
		.amdhsa_wavefront_size32 1
		.amdhsa_uses_dynamic_stack 0
		.amdhsa_system_sgpr_private_segment_wavefront_offset 0
		.amdhsa_system_sgpr_workgroup_id_x 1
		.amdhsa_system_sgpr_workgroup_id_y 0
		.amdhsa_system_sgpr_workgroup_id_z 0
		.amdhsa_system_sgpr_workgroup_info 0
		.amdhsa_system_vgpr_workitem_id 0
		.amdhsa_next_free_vgpr 46
		.amdhsa_next_free_sgpr 14
		.amdhsa_reserve_vcc 1
		.amdhsa_reserve_flat_scratch 0
		.amdhsa_float_round_mode_32 0
		.amdhsa_float_round_mode_16_64 0
		.amdhsa_float_denorm_mode_32 3
		.amdhsa_float_denorm_mode_16_64 3
		.amdhsa_dx10_clamp 1
		.amdhsa_ieee_mode 1
		.amdhsa_fp16_overflow 0
		.amdhsa_workgroup_processor_mode 1
		.amdhsa_memory_ordered 1
		.amdhsa_forward_progress 1
		.amdhsa_shared_vgpr_count 0
		.amdhsa_exception_fp_ieee_invalid_op 0
		.amdhsa_exception_fp_denorm_src 0
		.amdhsa_exception_fp_ieee_div_zero 0
		.amdhsa_exception_fp_ieee_overflow 0
		.amdhsa_exception_fp_ieee_underflow 0
		.amdhsa_exception_fp_ieee_inexact 0
		.amdhsa_exception_int_div_zero 0
	.end_amdhsa_kernel
	.section	.text._ZN9rocsparseL19gebsrmvn_1xn_kernelILj128ELj15ELj64EfEEvi20rocsparse_direction_NS_24const_host_device_scalarIT2_EEPKiS6_PKS3_S8_S4_PS3_21rocsparse_index_base_b,"axG",@progbits,_ZN9rocsparseL19gebsrmvn_1xn_kernelILj128ELj15ELj64EfEEvi20rocsparse_direction_NS_24const_host_device_scalarIT2_EEPKiS6_PKS3_S8_S4_PS3_21rocsparse_index_base_b,comdat
.Lfunc_end69:
	.size	_ZN9rocsparseL19gebsrmvn_1xn_kernelILj128ELj15ELj64EfEEvi20rocsparse_direction_NS_24const_host_device_scalarIT2_EEPKiS6_PKS3_S8_S4_PS3_21rocsparse_index_base_b, .Lfunc_end69-_ZN9rocsparseL19gebsrmvn_1xn_kernelILj128ELj15ELj64EfEEvi20rocsparse_direction_NS_24const_host_device_scalarIT2_EEPKiS6_PKS3_S8_S4_PS3_21rocsparse_index_base_b
                                        ; -- End function
	.set _ZN9rocsparseL19gebsrmvn_1xn_kernelILj128ELj15ELj64EfEEvi20rocsparse_direction_NS_24const_host_device_scalarIT2_EEPKiS6_PKS3_S8_S4_PS3_21rocsparse_index_base_b.num_vgpr, 46
	.set _ZN9rocsparseL19gebsrmvn_1xn_kernelILj128ELj15ELj64EfEEvi20rocsparse_direction_NS_24const_host_device_scalarIT2_EEPKiS6_PKS3_S8_S4_PS3_21rocsparse_index_base_b.num_agpr, 0
	.set _ZN9rocsparseL19gebsrmvn_1xn_kernelILj128ELj15ELj64EfEEvi20rocsparse_direction_NS_24const_host_device_scalarIT2_EEPKiS6_PKS3_S8_S4_PS3_21rocsparse_index_base_b.numbered_sgpr, 14
	.set _ZN9rocsparseL19gebsrmvn_1xn_kernelILj128ELj15ELj64EfEEvi20rocsparse_direction_NS_24const_host_device_scalarIT2_EEPKiS6_PKS3_S8_S4_PS3_21rocsparse_index_base_b.num_named_barrier, 0
	.set _ZN9rocsparseL19gebsrmvn_1xn_kernelILj128ELj15ELj64EfEEvi20rocsparse_direction_NS_24const_host_device_scalarIT2_EEPKiS6_PKS3_S8_S4_PS3_21rocsparse_index_base_b.private_seg_size, 0
	.set _ZN9rocsparseL19gebsrmvn_1xn_kernelILj128ELj15ELj64EfEEvi20rocsparse_direction_NS_24const_host_device_scalarIT2_EEPKiS6_PKS3_S8_S4_PS3_21rocsparse_index_base_b.uses_vcc, 1
	.set _ZN9rocsparseL19gebsrmvn_1xn_kernelILj128ELj15ELj64EfEEvi20rocsparse_direction_NS_24const_host_device_scalarIT2_EEPKiS6_PKS3_S8_S4_PS3_21rocsparse_index_base_b.uses_flat_scratch, 0
	.set _ZN9rocsparseL19gebsrmvn_1xn_kernelILj128ELj15ELj64EfEEvi20rocsparse_direction_NS_24const_host_device_scalarIT2_EEPKiS6_PKS3_S8_S4_PS3_21rocsparse_index_base_b.has_dyn_sized_stack, 0
	.set _ZN9rocsparseL19gebsrmvn_1xn_kernelILj128ELj15ELj64EfEEvi20rocsparse_direction_NS_24const_host_device_scalarIT2_EEPKiS6_PKS3_S8_S4_PS3_21rocsparse_index_base_b.has_recursion, 0
	.set _ZN9rocsparseL19gebsrmvn_1xn_kernelILj128ELj15ELj64EfEEvi20rocsparse_direction_NS_24const_host_device_scalarIT2_EEPKiS6_PKS3_S8_S4_PS3_21rocsparse_index_base_b.has_indirect_call, 0
	.section	.AMDGPU.csdata,"",@progbits
; Kernel info:
; codeLenInByte = 1900
; TotalNumSgprs: 16
; NumVgprs: 46
; ScratchSize: 0
; MemoryBound: 0
; FloatMode: 240
; IeeeMode: 1
; LDSByteSize: 0 bytes/workgroup (compile time only)
; SGPRBlocks: 0
; VGPRBlocks: 5
; NumSGPRsForWavesPerEU: 16
; NumVGPRsForWavesPerEU: 46
; Occupancy: 16
; WaveLimiterHint : 1
; COMPUTE_PGM_RSRC2:SCRATCH_EN: 0
; COMPUTE_PGM_RSRC2:USER_SGPR: 6
; COMPUTE_PGM_RSRC2:TRAP_HANDLER: 0
; COMPUTE_PGM_RSRC2:TGID_X_EN: 1
; COMPUTE_PGM_RSRC2:TGID_Y_EN: 0
; COMPUTE_PGM_RSRC2:TGID_Z_EN: 0
; COMPUTE_PGM_RSRC2:TIDIG_COMP_CNT: 0
	.section	.text._ZN9rocsparseL19gebsrmvn_1xn_kernelILj128ELj16ELj4EfEEvi20rocsparse_direction_NS_24const_host_device_scalarIT2_EEPKiS6_PKS3_S8_S4_PS3_21rocsparse_index_base_b,"axG",@progbits,_ZN9rocsparseL19gebsrmvn_1xn_kernelILj128ELj16ELj4EfEEvi20rocsparse_direction_NS_24const_host_device_scalarIT2_EEPKiS6_PKS3_S8_S4_PS3_21rocsparse_index_base_b,comdat
	.globl	_ZN9rocsparseL19gebsrmvn_1xn_kernelILj128ELj16ELj4EfEEvi20rocsparse_direction_NS_24const_host_device_scalarIT2_EEPKiS6_PKS3_S8_S4_PS3_21rocsparse_index_base_b ; -- Begin function _ZN9rocsparseL19gebsrmvn_1xn_kernelILj128ELj16ELj4EfEEvi20rocsparse_direction_NS_24const_host_device_scalarIT2_EEPKiS6_PKS3_S8_S4_PS3_21rocsparse_index_base_b
	.p2align	8
	.type	_ZN9rocsparseL19gebsrmvn_1xn_kernelILj128ELj16ELj4EfEEvi20rocsparse_direction_NS_24const_host_device_scalarIT2_EEPKiS6_PKS3_S8_S4_PS3_21rocsparse_index_base_b,@function
_ZN9rocsparseL19gebsrmvn_1xn_kernelILj128ELj16ELj4EfEEvi20rocsparse_direction_NS_24const_host_device_scalarIT2_EEPKiS6_PKS3_S8_S4_PS3_21rocsparse_index_base_b: ; @_ZN9rocsparseL19gebsrmvn_1xn_kernelILj128ELj16ELj4EfEEvi20rocsparse_direction_NS_24const_host_device_scalarIT2_EEPKiS6_PKS3_S8_S4_PS3_21rocsparse_index_base_b
; %bb.0:
	s_clause 0x2
	s_load_dwordx2 s[12:13], s[4:5], 0x40
	s_load_dwordx2 s[10:11], s[4:5], 0x8
	;; [unrolled: 1-line block ×3, first 2 shown]
	s_waitcnt lgkmcnt(0)
	s_bitcmp1_b32 s13, 0
	s_cselect_b32 s0, -1, 0
	s_and_b32 vcc_lo, exec_lo, s0
	s_xor_b32 s0, s0, -1
	s_cbranch_vccnz .LBB70_2
; %bb.1:
	s_load_dword s10, s[10:11], 0x0
.LBB70_2:
	s_andn2_b32 vcc_lo, exec_lo, s0
	s_cbranch_vccnz .LBB70_4
; %bb.3:
	s_load_dword s8, s[8:9], 0x0
.LBB70_4:
	s_waitcnt lgkmcnt(0)
	v_cmp_eq_f32_e64 s0, s10, 0
	v_cmp_eq_f32_e64 s1, s8, 1.0
	s_and_b32 s0, s0, s1
	s_and_b32 vcc_lo, exec_lo, s0
	s_cbranch_vccnz .LBB70_15
; %bb.5:
	s_load_dword s0, s[4:5], 0x0
	v_lshrrev_b32_e32 v1, 2, v0
	v_lshl_or_b32 v1, s6, 5, v1
	s_waitcnt lgkmcnt(0)
	v_cmp_gt_i32_e32 vcc_lo, s0, v1
	s_and_saveexec_b32 s0, vcc_lo
	s_cbranch_execz .LBB70_15
; %bb.6:
	s_clause 0x1
	s_load_dwordx2 s[0:1], s[4:5], 0x10
	s_load_dwordx2 s[6:7], s[4:5], 0x38
	v_ashrrev_i32_e32 v2, 31, v1
	v_and_b32_e32 v0, 3, v0
	v_mov_b32_e32 v7, 0
	s_mov_b32 s9, exec_lo
	v_lshlrev_b64 v[1:2], 2, v[1:2]
	v_subrev_nc_u32_e32 v5, s12, v0
	s_waitcnt lgkmcnt(0)
	v_add_co_u32 v3, vcc_lo, s0, v1
	v_add_co_ci_u32_e64 v4, null, s1, v2, vcc_lo
	global_load_dwordx2 v[3:4], v[3:4], off
	s_waitcnt vmcnt(0)
	v_subrev_nc_u32_e32 v8, s12, v4
	v_add_nc_u32_e32 v3, v3, v5
	v_cmpx_lt_i32_e64 v3, v8
	s_cbranch_execz .LBB70_10
; %bb.7:
	s_clause 0x1
	s_load_dwordx4 s[0:3], s[4:5], 0x18
	s_load_dwordx2 s[4:5], s[4:5], 0x28
	v_mov_b32_e32 v6, 0
	v_lshlrev_b32_e32 v5, 4, v3
	s_mov_b32 s11, 0
	v_mov_b32_e32 v7, v6
.LBB70_8:                               ; =>This Inner Loop Header: Depth=1
	v_ashrrev_i32_e32 v4, 31, v3
	v_mov_b32_e32 v12, v6
	v_lshlrev_b64 v[9:10], 2, v[3:4]
	v_add_nc_u32_e32 v3, 4, v3
	s_waitcnt lgkmcnt(0)
	v_add_co_u32 v9, vcc_lo, s0, v9
	v_add_co_ci_u32_e64 v10, null, s1, v10, vcc_lo
	global_load_dword v4, v[9:10], off
	v_lshlrev_b64 v[9:10], 2, v[5:6]
	v_add_nc_u32_e32 v5, 64, v5
	v_add_co_u32 v29, vcc_lo, s2, v9
	v_add_co_ci_u32_e64 v30, null, s3, v10, vcc_lo
	s_waitcnt vmcnt(0)
	v_subrev_nc_u32_e32 v4, s12, v4
	v_lshlrev_b32_e32 v11, 4, v4
	v_lshlrev_b64 v[11:12], 2, v[11:12]
	v_add_co_u32 v37, vcc_lo, s4, v11
	v_add_co_ci_u32_e64 v38, null, s5, v12, vcc_lo
	v_cmp_ge_i32_e32 vcc_lo, v3, v8
	s_clause 0x1
	global_load_dwordx4 v[9:12], v[29:30], off offset:16
	global_load_dwordx4 v[13:16], v[29:30], off
	s_clause 0x1
	global_load_dwordx4 v[17:20], v[37:38], off
	global_load_dwordx4 v[21:24], v[37:38], off offset:16
	s_clause 0x1
	global_load_dwordx4 v[25:28], v[29:30], off offset:48
	global_load_dwordx4 v[29:32], v[29:30], off offset:32
	s_clause 0x1
	global_load_dwordx4 v[33:36], v[37:38], off offset:32
	global_load_dwordx4 v[37:40], v[37:38], off offset:48
	s_or_b32 s11, vcc_lo, s11
	s_waitcnt vmcnt(5)
	v_fmac_f32_e32 v7, v13, v17
	v_fmac_f32_e32 v7, v14, v18
	v_fmac_f32_e32 v7, v15, v19
	v_fmac_f32_e32 v7, v16, v20
	s_waitcnt vmcnt(4)
	v_fmac_f32_e32 v7, v9, v21
	v_fmac_f32_e32 v7, v10, v22
	v_fmac_f32_e32 v7, v11, v23
	v_fmac_f32_e32 v7, v12, v24
	;; [unrolled: 5-line block ×4, first 2 shown]
	s_andn2_b32 exec_lo, exec_lo, s11
	s_cbranch_execnz .LBB70_8
; %bb.9:
	s_or_b32 exec_lo, exec_lo, s11
.LBB70_10:
	s_or_b32 exec_lo, exec_lo, s9
	v_mbcnt_lo_u32_b32 v3, -1, 0
	s_mov_b32 s0, -1
	v_xor_b32_e32 v4, 2, v3
	v_xor_b32_e32 v5, 1, v3
	v_cmp_gt_i32_e32 vcc_lo, 32, v4
	v_cndmask_b32_e32 v4, v3, v4, vcc_lo
	v_cmp_gt_i32_e32 vcc_lo, 32, v5
	v_lshlrev_b32_e32 v4, 2, v4
	v_cndmask_b32_e32 v5, v3, v5, vcc_lo
	v_cmp_eq_u32_e32 vcc_lo, 3, v0
	ds_bpermute_b32 v4, v4, v7
	s_waitcnt lgkmcnt(0)
	v_add_f32_e32 v3, v7, v4
	v_lshlrev_b32_e32 v4, 2, v5
	ds_bpermute_b32 v4, v4, v3
	s_and_b32 exec_lo, exec_lo, vcc_lo
	s_cbranch_execz .LBB70_15
; %bb.11:
	s_waitcnt lgkmcnt(0)
	v_add_f32_e32 v0, v3, v4
	v_cmp_eq_f32_e64 s1, s8, 0
	v_mul_f32_e32 v0, s10, v0
	s_and_b32 vcc_lo, exec_lo, s1
	s_cbranch_vccz .LBB70_13
; %bb.12:
	v_add_co_u32 v3, vcc_lo, s6, v1
	v_add_co_ci_u32_e64 v4, null, s7, v2, vcc_lo
	s_mov_b32 s0, 0
	global_store_dword v[3:4], v0, off
.LBB70_13:
	s_andn2_b32 vcc_lo, exec_lo, s0
	s_cbranch_vccnz .LBB70_15
; %bb.14:
	v_add_co_u32 v1, vcc_lo, s6, v1
	v_add_co_ci_u32_e64 v2, null, s7, v2, vcc_lo
	global_load_dword v3, v[1:2], off
	s_waitcnt vmcnt(0)
	v_fmac_f32_e32 v0, s8, v3
	global_store_dword v[1:2], v0, off
.LBB70_15:
	s_endpgm
	.section	.rodata,"a",@progbits
	.p2align	6, 0x0
	.amdhsa_kernel _ZN9rocsparseL19gebsrmvn_1xn_kernelILj128ELj16ELj4EfEEvi20rocsparse_direction_NS_24const_host_device_scalarIT2_EEPKiS6_PKS3_S8_S4_PS3_21rocsparse_index_base_b
		.amdhsa_group_segment_fixed_size 0
		.amdhsa_private_segment_fixed_size 0
		.amdhsa_kernarg_size 72
		.amdhsa_user_sgpr_count 6
		.amdhsa_user_sgpr_private_segment_buffer 1
		.amdhsa_user_sgpr_dispatch_ptr 0
		.amdhsa_user_sgpr_queue_ptr 0
		.amdhsa_user_sgpr_kernarg_segment_ptr 1
		.amdhsa_user_sgpr_dispatch_id 0
		.amdhsa_user_sgpr_flat_scratch_init 0
		.amdhsa_user_sgpr_private_segment_size 0
		.amdhsa_wavefront_size32 1
		.amdhsa_uses_dynamic_stack 0
		.amdhsa_system_sgpr_private_segment_wavefront_offset 0
		.amdhsa_system_sgpr_workgroup_id_x 1
		.amdhsa_system_sgpr_workgroup_id_y 0
		.amdhsa_system_sgpr_workgroup_id_z 0
		.amdhsa_system_sgpr_workgroup_info 0
		.amdhsa_system_vgpr_workitem_id 0
		.amdhsa_next_free_vgpr 41
		.amdhsa_next_free_sgpr 14
		.amdhsa_reserve_vcc 1
		.amdhsa_reserve_flat_scratch 0
		.amdhsa_float_round_mode_32 0
		.amdhsa_float_round_mode_16_64 0
		.amdhsa_float_denorm_mode_32 3
		.amdhsa_float_denorm_mode_16_64 3
		.amdhsa_dx10_clamp 1
		.amdhsa_ieee_mode 1
		.amdhsa_fp16_overflow 0
		.amdhsa_workgroup_processor_mode 1
		.amdhsa_memory_ordered 1
		.amdhsa_forward_progress 1
		.amdhsa_shared_vgpr_count 0
		.amdhsa_exception_fp_ieee_invalid_op 0
		.amdhsa_exception_fp_denorm_src 0
		.amdhsa_exception_fp_ieee_div_zero 0
		.amdhsa_exception_fp_ieee_overflow 0
		.amdhsa_exception_fp_ieee_underflow 0
		.amdhsa_exception_fp_ieee_inexact 0
		.amdhsa_exception_int_div_zero 0
	.end_amdhsa_kernel
	.section	.text._ZN9rocsparseL19gebsrmvn_1xn_kernelILj128ELj16ELj4EfEEvi20rocsparse_direction_NS_24const_host_device_scalarIT2_EEPKiS6_PKS3_S8_S4_PS3_21rocsparse_index_base_b,"axG",@progbits,_ZN9rocsparseL19gebsrmvn_1xn_kernelILj128ELj16ELj4EfEEvi20rocsparse_direction_NS_24const_host_device_scalarIT2_EEPKiS6_PKS3_S8_S4_PS3_21rocsparse_index_base_b,comdat
.Lfunc_end70:
	.size	_ZN9rocsparseL19gebsrmvn_1xn_kernelILj128ELj16ELj4EfEEvi20rocsparse_direction_NS_24const_host_device_scalarIT2_EEPKiS6_PKS3_S8_S4_PS3_21rocsparse_index_base_b, .Lfunc_end70-_ZN9rocsparseL19gebsrmvn_1xn_kernelILj128ELj16ELj4EfEEvi20rocsparse_direction_NS_24const_host_device_scalarIT2_EEPKiS6_PKS3_S8_S4_PS3_21rocsparse_index_base_b
                                        ; -- End function
	.set _ZN9rocsparseL19gebsrmvn_1xn_kernelILj128ELj16ELj4EfEEvi20rocsparse_direction_NS_24const_host_device_scalarIT2_EEPKiS6_PKS3_S8_S4_PS3_21rocsparse_index_base_b.num_vgpr, 41
	.set _ZN9rocsparseL19gebsrmvn_1xn_kernelILj128ELj16ELj4EfEEvi20rocsparse_direction_NS_24const_host_device_scalarIT2_EEPKiS6_PKS3_S8_S4_PS3_21rocsparse_index_base_b.num_agpr, 0
	.set _ZN9rocsparseL19gebsrmvn_1xn_kernelILj128ELj16ELj4EfEEvi20rocsparse_direction_NS_24const_host_device_scalarIT2_EEPKiS6_PKS3_S8_S4_PS3_21rocsparse_index_base_b.numbered_sgpr, 14
	.set _ZN9rocsparseL19gebsrmvn_1xn_kernelILj128ELj16ELj4EfEEvi20rocsparse_direction_NS_24const_host_device_scalarIT2_EEPKiS6_PKS3_S8_S4_PS3_21rocsparse_index_base_b.num_named_barrier, 0
	.set _ZN9rocsparseL19gebsrmvn_1xn_kernelILj128ELj16ELj4EfEEvi20rocsparse_direction_NS_24const_host_device_scalarIT2_EEPKiS6_PKS3_S8_S4_PS3_21rocsparse_index_base_b.private_seg_size, 0
	.set _ZN9rocsparseL19gebsrmvn_1xn_kernelILj128ELj16ELj4EfEEvi20rocsparse_direction_NS_24const_host_device_scalarIT2_EEPKiS6_PKS3_S8_S4_PS3_21rocsparse_index_base_b.uses_vcc, 1
	.set _ZN9rocsparseL19gebsrmvn_1xn_kernelILj128ELj16ELj4EfEEvi20rocsparse_direction_NS_24const_host_device_scalarIT2_EEPKiS6_PKS3_S8_S4_PS3_21rocsparse_index_base_b.uses_flat_scratch, 0
	.set _ZN9rocsparseL19gebsrmvn_1xn_kernelILj128ELj16ELj4EfEEvi20rocsparse_direction_NS_24const_host_device_scalarIT2_EEPKiS6_PKS3_S8_S4_PS3_21rocsparse_index_base_b.has_dyn_sized_stack, 0
	.set _ZN9rocsparseL19gebsrmvn_1xn_kernelILj128ELj16ELj4EfEEvi20rocsparse_direction_NS_24const_host_device_scalarIT2_EEPKiS6_PKS3_S8_S4_PS3_21rocsparse_index_base_b.has_recursion, 0
	.set _ZN9rocsparseL19gebsrmvn_1xn_kernelILj128ELj16ELj4EfEEvi20rocsparse_direction_NS_24const_host_device_scalarIT2_EEPKiS6_PKS3_S8_S4_PS3_21rocsparse_index_base_b.has_indirect_call, 0
	.section	.AMDGPU.csdata,"",@progbits
; Kernel info:
; codeLenInByte = 764
; TotalNumSgprs: 16
; NumVgprs: 41
; ScratchSize: 0
; MemoryBound: 0
; FloatMode: 240
; IeeeMode: 1
; LDSByteSize: 0 bytes/workgroup (compile time only)
; SGPRBlocks: 0
; VGPRBlocks: 5
; NumSGPRsForWavesPerEU: 16
; NumVGPRsForWavesPerEU: 41
; Occupancy: 16
; WaveLimiterHint : 1
; COMPUTE_PGM_RSRC2:SCRATCH_EN: 0
; COMPUTE_PGM_RSRC2:USER_SGPR: 6
; COMPUTE_PGM_RSRC2:TRAP_HANDLER: 0
; COMPUTE_PGM_RSRC2:TGID_X_EN: 1
; COMPUTE_PGM_RSRC2:TGID_Y_EN: 0
; COMPUTE_PGM_RSRC2:TGID_Z_EN: 0
; COMPUTE_PGM_RSRC2:TIDIG_COMP_CNT: 0
	.section	.text._ZN9rocsparseL19gebsrmvn_1xn_kernelILj128ELj16ELj8EfEEvi20rocsparse_direction_NS_24const_host_device_scalarIT2_EEPKiS6_PKS3_S8_S4_PS3_21rocsparse_index_base_b,"axG",@progbits,_ZN9rocsparseL19gebsrmvn_1xn_kernelILj128ELj16ELj8EfEEvi20rocsparse_direction_NS_24const_host_device_scalarIT2_EEPKiS6_PKS3_S8_S4_PS3_21rocsparse_index_base_b,comdat
	.globl	_ZN9rocsparseL19gebsrmvn_1xn_kernelILj128ELj16ELj8EfEEvi20rocsparse_direction_NS_24const_host_device_scalarIT2_EEPKiS6_PKS3_S8_S4_PS3_21rocsparse_index_base_b ; -- Begin function _ZN9rocsparseL19gebsrmvn_1xn_kernelILj128ELj16ELj8EfEEvi20rocsparse_direction_NS_24const_host_device_scalarIT2_EEPKiS6_PKS3_S8_S4_PS3_21rocsparse_index_base_b
	.p2align	8
	.type	_ZN9rocsparseL19gebsrmvn_1xn_kernelILj128ELj16ELj8EfEEvi20rocsparse_direction_NS_24const_host_device_scalarIT2_EEPKiS6_PKS3_S8_S4_PS3_21rocsparse_index_base_b,@function
_ZN9rocsparseL19gebsrmvn_1xn_kernelILj128ELj16ELj8EfEEvi20rocsparse_direction_NS_24const_host_device_scalarIT2_EEPKiS6_PKS3_S8_S4_PS3_21rocsparse_index_base_b: ; @_ZN9rocsparseL19gebsrmvn_1xn_kernelILj128ELj16ELj8EfEEvi20rocsparse_direction_NS_24const_host_device_scalarIT2_EEPKiS6_PKS3_S8_S4_PS3_21rocsparse_index_base_b
; %bb.0:
	s_clause 0x2
	s_load_dwordx2 s[12:13], s[4:5], 0x40
	s_load_dwordx2 s[10:11], s[4:5], 0x8
	;; [unrolled: 1-line block ×3, first 2 shown]
	s_waitcnt lgkmcnt(0)
	s_bitcmp1_b32 s13, 0
	s_cselect_b32 s0, -1, 0
	s_and_b32 vcc_lo, exec_lo, s0
	s_xor_b32 s0, s0, -1
	s_cbranch_vccnz .LBB71_2
; %bb.1:
	s_load_dword s10, s[10:11], 0x0
.LBB71_2:
	s_andn2_b32 vcc_lo, exec_lo, s0
	s_cbranch_vccnz .LBB71_4
; %bb.3:
	s_load_dword s8, s[8:9], 0x0
.LBB71_4:
	s_waitcnt lgkmcnt(0)
	v_cmp_eq_f32_e64 s0, s10, 0
	v_cmp_eq_f32_e64 s1, s8, 1.0
	s_and_b32 s0, s0, s1
	s_and_b32 vcc_lo, exec_lo, s0
	s_cbranch_vccnz .LBB71_15
; %bb.5:
	s_load_dword s0, s[4:5], 0x0
	v_lshrrev_b32_e32 v1, 3, v0
	v_lshl_or_b32 v1, s6, 4, v1
	s_waitcnt lgkmcnt(0)
	v_cmp_gt_i32_e32 vcc_lo, s0, v1
	s_and_saveexec_b32 s0, vcc_lo
	s_cbranch_execz .LBB71_15
; %bb.6:
	s_clause 0x1
	s_load_dwordx2 s[0:1], s[4:5], 0x10
	s_load_dwordx2 s[6:7], s[4:5], 0x38
	v_ashrrev_i32_e32 v2, 31, v1
	v_and_b32_e32 v0, 7, v0
	v_mov_b32_e32 v7, 0
	s_mov_b32 s9, exec_lo
	v_lshlrev_b64 v[1:2], 2, v[1:2]
	v_subrev_nc_u32_e32 v5, s12, v0
	s_waitcnt lgkmcnt(0)
	v_add_co_u32 v3, vcc_lo, s0, v1
	v_add_co_ci_u32_e64 v4, null, s1, v2, vcc_lo
	global_load_dwordx2 v[3:4], v[3:4], off
	s_waitcnt vmcnt(0)
	v_subrev_nc_u32_e32 v8, s12, v4
	v_add_nc_u32_e32 v3, v3, v5
	v_cmpx_lt_i32_e64 v3, v8
	s_cbranch_execz .LBB71_10
; %bb.7:
	s_clause 0x1
	s_load_dwordx4 s[0:3], s[4:5], 0x18
	s_load_dwordx2 s[4:5], s[4:5], 0x28
	v_mov_b32_e32 v6, 0
	v_lshlrev_b32_e32 v5, 4, v3
	s_mov_b32 s11, 0
	v_mov_b32_e32 v7, v6
.LBB71_8:                               ; =>This Inner Loop Header: Depth=1
	v_ashrrev_i32_e32 v4, 31, v3
	v_mov_b32_e32 v12, v6
	v_lshlrev_b64 v[9:10], 2, v[3:4]
	v_add_nc_u32_e32 v3, 8, v3
	s_waitcnt lgkmcnt(0)
	v_add_co_u32 v9, vcc_lo, s0, v9
	v_add_co_ci_u32_e64 v10, null, s1, v10, vcc_lo
	global_load_dword v4, v[9:10], off
	v_lshlrev_b64 v[9:10], 2, v[5:6]
	v_add_nc_u32_e32 v5, 0x80, v5
	v_add_co_u32 v29, vcc_lo, s2, v9
	v_add_co_ci_u32_e64 v30, null, s3, v10, vcc_lo
	s_waitcnt vmcnt(0)
	v_subrev_nc_u32_e32 v4, s12, v4
	v_lshlrev_b32_e32 v11, 4, v4
	v_lshlrev_b64 v[11:12], 2, v[11:12]
	v_add_co_u32 v37, vcc_lo, s4, v11
	v_add_co_ci_u32_e64 v38, null, s5, v12, vcc_lo
	v_cmp_ge_i32_e32 vcc_lo, v3, v8
	s_clause 0x1
	global_load_dwordx4 v[9:12], v[29:30], off offset:16
	global_load_dwordx4 v[13:16], v[29:30], off
	s_clause 0x1
	global_load_dwordx4 v[17:20], v[37:38], off
	global_load_dwordx4 v[21:24], v[37:38], off offset:16
	s_clause 0x1
	global_load_dwordx4 v[25:28], v[29:30], off offset:48
	global_load_dwordx4 v[29:32], v[29:30], off offset:32
	s_clause 0x1
	global_load_dwordx4 v[33:36], v[37:38], off offset:32
	global_load_dwordx4 v[37:40], v[37:38], off offset:48
	s_or_b32 s11, vcc_lo, s11
	s_waitcnt vmcnt(5)
	v_fmac_f32_e32 v7, v13, v17
	v_fmac_f32_e32 v7, v14, v18
	v_fmac_f32_e32 v7, v15, v19
	v_fmac_f32_e32 v7, v16, v20
	s_waitcnt vmcnt(4)
	v_fmac_f32_e32 v7, v9, v21
	v_fmac_f32_e32 v7, v10, v22
	v_fmac_f32_e32 v7, v11, v23
	v_fmac_f32_e32 v7, v12, v24
	;; [unrolled: 5-line block ×4, first 2 shown]
	s_andn2_b32 exec_lo, exec_lo, s11
	s_cbranch_execnz .LBB71_8
; %bb.9:
	s_or_b32 exec_lo, exec_lo, s11
.LBB71_10:
	s_or_b32 exec_lo, exec_lo, s9
	v_mbcnt_lo_u32_b32 v3, -1, 0
	s_mov_b32 s0, -1
	v_xor_b32_e32 v4, 4, v3
	v_xor_b32_e32 v5, 2, v3
	;; [unrolled: 1-line block ×3, first 2 shown]
	v_cmp_gt_i32_e32 vcc_lo, 32, v4
	v_cndmask_b32_e32 v4, v3, v4, vcc_lo
	v_cmp_gt_i32_e32 vcc_lo, 32, v5
	v_lshlrev_b32_e32 v4, 2, v4
	v_cndmask_b32_e32 v5, v3, v5, vcc_lo
	v_cmp_gt_i32_e32 vcc_lo, 32, v6
	ds_bpermute_b32 v4, v4, v7
	v_lshlrev_b32_e32 v5, 2, v5
	v_cndmask_b32_e32 v6, v3, v6, vcc_lo
	v_cmp_eq_u32_e32 vcc_lo, 7, v0
	s_waitcnt lgkmcnt(0)
	v_add_f32_e32 v4, v7, v4
	ds_bpermute_b32 v5, v5, v4
	s_waitcnt lgkmcnt(0)
	v_add_f32_e32 v3, v4, v5
	v_lshlrev_b32_e32 v4, 2, v6
	ds_bpermute_b32 v4, v4, v3
	s_and_b32 exec_lo, exec_lo, vcc_lo
	s_cbranch_execz .LBB71_15
; %bb.11:
	s_waitcnt lgkmcnt(0)
	v_add_f32_e32 v0, v3, v4
	v_cmp_eq_f32_e64 s1, s8, 0
	v_mul_f32_e32 v0, s10, v0
	s_and_b32 vcc_lo, exec_lo, s1
	s_cbranch_vccz .LBB71_13
; %bb.12:
	v_add_co_u32 v3, vcc_lo, s6, v1
	v_add_co_ci_u32_e64 v4, null, s7, v2, vcc_lo
	s_mov_b32 s0, 0
	global_store_dword v[3:4], v0, off
.LBB71_13:
	s_andn2_b32 vcc_lo, exec_lo, s0
	s_cbranch_vccnz .LBB71_15
; %bb.14:
	v_add_co_u32 v1, vcc_lo, s6, v1
	v_add_co_ci_u32_e64 v2, null, s7, v2, vcc_lo
	global_load_dword v3, v[1:2], off
	s_waitcnt vmcnt(0)
	v_fmac_f32_e32 v0, s8, v3
	global_store_dword v[1:2], v0, off
.LBB71_15:
	s_endpgm
	.section	.rodata,"a",@progbits
	.p2align	6, 0x0
	.amdhsa_kernel _ZN9rocsparseL19gebsrmvn_1xn_kernelILj128ELj16ELj8EfEEvi20rocsparse_direction_NS_24const_host_device_scalarIT2_EEPKiS6_PKS3_S8_S4_PS3_21rocsparse_index_base_b
		.amdhsa_group_segment_fixed_size 0
		.amdhsa_private_segment_fixed_size 0
		.amdhsa_kernarg_size 72
		.amdhsa_user_sgpr_count 6
		.amdhsa_user_sgpr_private_segment_buffer 1
		.amdhsa_user_sgpr_dispatch_ptr 0
		.amdhsa_user_sgpr_queue_ptr 0
		.amdhsa_user_sgpr_kernarg_segment_ptr 1
		.amdhsa_user_sgpr_dispatch_id 0
		.amdhsa_user_sgpr_flat_scratch_init 0
		.amdhsa_user_sgpr_private_segment_size 0
		.amdhsa_wavefront_size32 1
		.amdhsa_uses_dynamic_stack 0
		.amdhsa_system_sgpr_private_segment_wavefront_offset 0
		.amdhsa_system_sgpr_workgroup_id_x 1
		.amdhsa_system_sgpr_workgroup_id_y 0
		.amdhsa_system_sgpr_workgroup_id_z 0
		.amdhsa_system_sgpr_workgroup_info 0
		.amdhsa_system_vgpr_workitem_id 0
		.amdhsa_next_free_vgpr 41
		.amdhsa_next_free_sgpr 14
		.amdhsa_reserve_vcc 1
		.amdhsa_reserve_flat_scratch 0
		.amdhsa_float_round_mode_32 0
		.amdhsa_float_round_mode_16_64 0
		.amdhsa_float_denorm_mode_32 3
		.amdhsa_float_denorm_mode_16_64 3
		.amdhsa_dx10_clamp 1
		.amdhsa_ieee_mode 1
		.amdhsa_fp16_overflow 0
		.amdhsa_workgroup_processor_mode 1
		.amdhsa_memory_ordered 1
		.amdhsa_forward_progress 1
		.amdhsa_shared_vgpr_count 0
		.amdhsa_exception_fp_ieee_invalid_op 0
		.amdhsa_exception_fp_denorm_src 0
		.amdhsa_exception_fp_ieee_div_zero 0
		.amdhsa_exception_fp_ieee_overflow 0
		.amdhsa_exception_fp_ieee_underflow 0
		.amdhsa_exception_fp_ieee_inexact 0
		.amdhsa_exception_int_div_zero 0
	.end_amdhsa_kernel
	.section	.text._ZN9rocsparseL19gebsrmvn_1xn_kernelILj128ELj16ELj8EfEEvi20rocsparse_direction_NS_24const_host_device_scalarIT2_EEPKiS6_PKS3_S8_S4_PS3_21rocsparse_index_base_b,"axG",@progbits,_ZN9rocsparseL19gebsrmvn_1xn_kernelILj128ELj16ELj8EfEEvi20rocsparse_direction_NS_24const_host_device_scalarIT2_EEPKiS6_PKS3_S8_S4_PS3_21rocsparse_index_base_b,comdat
.Lfunc_end71:
	.size	_ZN9rocsparseL19gebsrmvn_1xn_kernelILj128ELj16ELj8EfEEvi20rocsparse_direction_NS_24const_host_device_scalarIT2_EEPKiS6_PKS3_S8_S4_PS3_21rocsparse_index_base_b, .Lfunc_end71-_ZN9rocsparseL19gebsrmvn_1xn_kernelILj128ELj16ELj8EfEEvi20rocsparse_direction_NS_24const_host_device_scalarIT2_EEPKiS6_PKS3_S8_S4_PS3_21rocsparse_index_base_b
                                        ; -- End function
	.set _ZN9rocsparseL19gebsrmvn_1xn_kernelILj128ELj16ELj8EfEEvi20rocsparse_direction_NS_24const_host_device_scalarIT2_EEPKiS6_PKS3_S8_S4_PS3_21rocsparse_index_base_b.num_vgpr, 41
	.set _ZN9rocsparseL19gebsrmvn_1xn_kernelILj128ELj16ELj8EfEEvi20rocsparse_direction_NS_24const_host_device_scalarIT2_EEPKiS6_PKS3_S8_S4_PS3_21rocsparse_index_base_b.num_agpr, 0
	.set _ZN9rocsparseL19gebsrmvn_1xn_kernelILj128ELj16ELj8EfEEvi20rocsparse_direction_NS_24const_host_device_scalarIT2_EEPKiS6_PKS3_S8_S4_PS3_21rocsparse_index_base_b.numbered_sgpr, 14
	.set _ZN9rocsparseL19gebsrmvn_1xn_kernelILj128ELj16ELj8EfEEvi20rocsparse_direction_NS_24const_host_device_scalarIT2_EEPKiS6_PKS3_S8_S4_PS3_21rocsparse_index_base_b.num_named_barrier, 0
	.set _ZN9rocsparseL19gebsrmvn_1xn_kernelILj128ELj16ELj8EfEEvi20rocsparse_direction_NS_24const_host_device_scalarIT2_EEPKiS6_PKS3_S8_S4_PS3_21rocsparse_index_base_b.private_seg_size, 0
	.set _ZN9rocsparseL19gebsrmvn_1xn_kernelILj128ELj16ELj8EfEEvi20rocsparse_direction_NS_24const_host_device_scalarIT2_EEPKiS6_PKS3_S8_S4_PS3_21rocsparse_index_base_b.uses_vcc, 1
	.set _ZN9rocsparseL19gebsrmvn_1xn_kernelILj128ELj16ELj8EfEEvi20rocsparse_direction_NS_24const_host_device_scalarIT2_EEPKiS6_PKS3_S8_S4_PS3_21rocsparse_index_base_b.uses_flat_scratch, 0
	.set _ZN9rocsparseL19gebsrmvn_1xn_kernelILj128ELj16ELj8EfEEvi20rocsparse_direction_NS_24const_host_device_scalarIT2_EEPKiS6_PKS3_S8_S4_PS3_21rocsparse_index_base_b.has_dyn_sized_stack, 0
	.set _ZN9rocsparseL19gebsrmvn_1xn_kernelILj128ELj16ELj8EfEEvi20rocsparse_direction_NS_24const_host_device_scalarIT2_EEPKiS6_PKS3_S8_S4_PS3_21rocsparse_index_base_b.has_recursion, 0
	.set _ZN9rocsparseL19gebsrmvn_1xn_kernelILj128ELj16ELj8EfEEvi20rocsparse_direction_NS_24const_host_device_scalarIT2_EEPKiS6_PKS3_S8_S4_PS3_21rocsparse_index_base_b.has_indirect_call, 0
	.section	.AMDGPU.csdata,"",@progbits
; Kernel info:
; codeLenInByte = 800
; TotalNumSgprs: 16
; NumVgprs: 41
; ScratchSize: 0
; MemoryBound: 0
; FloatMode: 240
; IeeeMode: 1
; LDSByteSize: 0 bytes/workgroup (compile time only)
; SGPRBlocks: 0
; VGPRBlocks: 5
; NumSGPRsForWavesPerEU: 16
; NumVGPRsForWavesPerEU: 41
; Occupancy: 16
; WaveLimiterHint : 1
; COMPUTE_PGM_RSRC2:SCRATCH_EN: 0
; COMPUTE_PGM_RSRC2:USER_SGPR: 6
; COMPUTE_PGM_RSRC2:TRAP_HANDLER: 0
; COMPUTE_PGM_RSRC2:TGID_X_EN: 1
; COMPUTE_PGM_RSRC2:TGID_Y_EN: 0
; COMPUTE_PGM_RSRC2:TGID_Z_EN: 0
; COMPUTE_PGM_RSRC2:TIDIG_COMP_CNT: 0
	.section	.text._ZN9rocsparseL19gebsrmvn_1xn_kernelILj128ELj16ELj16EfEEvi20rocsparse_direction_NS_24const_host_device_scalarIT2_EEPKiS6_PKS3_S8_S4_PS3_21rocsparse_index_base_b,"axG",@progbits,_ZN9rocsparseL19gebsrmvn_1xn_kernelILj128ELj16ELj16EfEEvi20rocsparse_direction_NS_24const_host_device_scalarIT2_EEPKiS6_PKS3_S8_S4_PS3_21rocsparse_index_base_b,comdat
	.globl	_ZN9rocsparseL19gebsrmvn_1xn_kernelILj128ELj16ELj16EfEEvi20rocsparse_direction_NS_24const_host_device_scalarIT2_EEPKiS6_PKS3_S8_S4_PS3_21rocsparse_index_base_b ; -- Begin function _ZN9rocsparseL19gebsrmvn_1xn_kernelILj128ELj16ELj16EfEEvi20rocsparse_direction_NS_24const_host_device_scalarIT2_EEPKiS6_PKS3_S8_S4_PS3_21rocsparse_index_base_b
	.p2align	8
	.type	_ZN9rocsparseL19gebsrmvn_1xn_kernelILj128ELj16ELj16EfEEvi20rocsparse_direction_NS_24const_host_device_scalarIT2_EEPKiS6_PKS3_S8_S4_PS3_21rocsparse_index_base_b,@function
_ZN9rocsparseL19gebsrmvn_1xn_kernelILj128ELj16ELj16EfEEvi20rocsparse_direction_NS_24const_host_device_scalarIT2_EEPKiS6_PKS3_S8_S4_PS3_21rocsparse_index_base_b: ; @_ZN9rocsparseL19gebsrmvn_1xn_kernelILj128ELj16ELj16EfEEvi20rocsparse_direction_NS_24const_host_device_scalarIT2_EEPKiS6_PKS3_S8_S4_PS3_21rocsparse_index_base_b
; %bb.0:
	s_clause 0x2
	s_load_dwordx2 s[12:13], s[4:5], 0x40
	s_load_dwordx2 s[10:11], s[4:5], 0x8
	;; [unrolled: 1-line block ×3, first 2 shown]
	s_waitcnt lgkmcnt(0)
	s_bitcmp1_b32 s13, 0
	s_cselect_b32 s0, -1, 0
	s_and_b32 vcc_lo, exec_lo, s0
	s_xor_b32 s0, s0, -1
	s_cbranch_vccnz .LBB72_2
; %bb.1:
	s_load_dword s10, s[10:11], 0x0
.LBB72_2:
	s_andn2_b32 vcc_lo, exec_lo, s0
	s_cbranch_vccnz .LBB72_4
; %bb.3:
	s_load_dword s8, s[8:9], 0x0
.LBB72_4:
	s_waitcnt lgkmcnt(0)
	v_cmp_eq_f32_e64 s0, s10, 0
	v_cmp_eq_f32_e64 s1, s8, 1.0
	s_and_b32 s0, s0, s1
	s_and_b32 vcc_lo, exec_lo, s0
	s_cbranch_vccnz .LBB72_15
; %bb.5:
	s_load_dword s0, s[4:5], 0x0
	v_lshrrev_b32_e32 v1, 4, v0
	v_lshl_or_b32 v1, s6, 3, v1
	s_waitcnt lgkmcnt(0)
	v_cmp_gt_i32_e32 vcc_lo, s0, v1
	s_and_saveexec_b32 s0, vcc_lo
	s_cbranch_execz .LBB72_15
; %bb.6:
	s_clause 0x1
	s_load_dwordx2 s[0:1], s[4:5], 0x10
	s_load_dwordx2 s[6:7], s[4:5], 0x38
	v_ashrrev_i32_e32 v2, 31, v1
	v_and_b32_e32 v0, 15, v0
	v_mov_b32_e32 v7, 0
	s_mov_b32 s9, exec_lo
	v_lshlrev_b64 v[1:2], 2, v[1:2]
	v_subrev_nc_u32_e32 v5, s12, v0
	s_waitcnt lgkmcnt(0)
	v_add_co_u32 v3, vcc_lo, s0, v1
	v_add_co_ci_u32_e64 v4, null, s1, v2, vcc_lo
	global_load_dwordx2 v[3:4], v[3:4], off
	s_waitcnt vmcnt(0)
	v_subrev_nc_u32_e32 v8, s12, v4
	v_add_nc_u32_e32 v3, v3, v5
	v_cmpx_lt_i32_e64 v3, v8
	s_cbranch_execz .LBB72_10
; %bb.7:
	s_clause 0x1
	s_load_dwordx4 s[0:3], s[4:5], 0x18
	s_load_dwordx2 s[4:5], s[4:5], 0x28
	v_mov_b32_e32 v6, 0
	v_lshlrev_b32_e32 v5, 4, v3
	s_mov_b32 s11, 0
	v_mov_b32_e32 v7, v6
.LBB72_8:                               ; =>This Inner Loop Header: Depth=1
	v_ashrrev_i32_e32 v4, 31, v3
	v_mov_b32_e32 v12, v6
	v_lshlrev_b64 v[9:10], 2, v[3:4]
	v_add_nc_u32_e32 v3, 16, v3
	s_waitcnt lgkmcnt(0)
	v_add_co_u32 v9, vcc_lo, s0, v9
	v_add_co_ci_u32_e64 v10, null, s1, v10, vcc_lo
	global_load_dword v4, v[9:10], off
	v_lshlrev_b64 v[9:10], 2, v[5:6]
	v_add_nc_u32_e32 v5, 0x100, v5
	v_add_co_u32 v29, vcc_lo, s2, v9
	v_add_co_ci_u32_e64 v30, null, s3, v10, vcc_lo
	s_waitcnt vmcnt(0)
	v_subrev_nc_u32_e32 v4, s12, v4
	v_lshlrev_b32_e32 v11, 4, v4
	v_lshlrev_b64 v[11:12], 2, v[11:12]
	v_add_co_u32 v37, vcc_lo, s4, v11
	v_add_co_ci_u32_e64 v38, null, s5, v12, vcc_lo
	v_cmp_ge_i32_e32 vcc_lo, v3, v8
	s_clause 0x1
	global_load_dwordx4 v[9:12], v[29:30], off offset:16
	global_load_dwordx4 v[13:16], v[29:30], off
	s_clause 0x1
	global_load_dwordx4 v[17:20], v[37:38], off
	global_load_dwordx4 v[21:24], v[37:38], off offset:16
	s_clause 0x1
	global_load_dwordx4 v[25:28], v[29:30], off offset:48
	global_load_dwordx4 v[29:32], v[29:30], off offset:32
	s_clause 0x1
	global_load_dwordx4 v[33:36], v[37:38], off offset:32
	global_load_dwordx4 v[37:40], v[37:38], off offset:48
	s_or_b32 s11, vcc_lo, s11
	s_waitcnt vmcnt(5)
	v_fmac_f32_e32 v7, v13, v17
	v_fmac_f32_e32 v7, v14, v18
	v_fmac_f32_e32 v7, v15, v19
	v_fmac_f32_e32 v7, v16, v20
	s_waitcnt vmcnt(4)
	v_fmac_f32_e32 v7, v9, v21
	v_fmac_f32_e32 v7, v10, v22
	v_fmac_f32_e32 v7, v11, v23
	v_fmac_f32_e32 v7, v12, v24
	;; [unrolled: 5-line block ×4, first 2 shown]
	s_andn2_b32 exec_lo, exec_lo, s11
	s_cbranch_execnz .LBB72_8
; %bb.9:
	s_or_b32 exec_lo, exec_lo, s11
.LBB72_10:
	s_or_b32 exec_lo, exec_lo, s9
	v_mbcnt_lo_u32_b32 v3, -1, 0
	s_mov_b32 s0, -1
	v_xor_b32_e32 v4, 8, v3
	v_xor_b32_e32 v5, 4, v3
	;; [unrolled: 1-line block ×3, first 2 shown]
	v_cmp_gt_i32_e32 vcc_lo, 32, v4
	v_cndmask_b32_e32 v4, v3, v4, vcc_lo
	v_cmp_gt_i32_e32 vcc_lo, 32, v5
	v_lshlrev_b32_e32 v4, 2, v4
	v_cndmask_b32_e32 v5, v3, v5, vcc_lo
	v_cmp_gt_i32_e32 vcc_lo, 32, v6
	ds_bpermute_b32 v4, v4, v7
	v_lshlrev_b32_e32 v5, 2, v5
	v_cndmask_b32_e32 v6, v3, v6, vcc_lo
	v_lshlrev_b32_e32 v6, 2, v6
	s_waitcnt lgkmcnt(0)
	v_add_f32_e32 v4, v7, v4
	ds_bpermute_b32 v5, v5, v4
	s_waitcnt lgkmcnt(0)
	v_add_f32_e32 v4, v4, v5
	ds_bpermute_b32 v5, v6, v4
	v_xor_b32_e32 v6, 1, v3
	v_cmp_gt_i32_e32 vcc_lo, 32, v6
	v_cndmask_b32_e32 v6, v3, v6, vcc_lo
	v_cmp_eq_u32_e32 vcc_lo, 15, v0
	s_waitcnt lgkmcnt(0)
	v_add_f32_e32 v3, v4, v5
	v_lshlrev_b32_e32 v4, 2, v6
	ds_bpermute_b32 v4, v4, v3
	s_and_b32 exec_lo, exec_lo, vcc_lo
	s_cbranch_execz .LBB72_15
; %bb.11:
	s_waitcnt lgkmcnt(0)
	v_add_f32_e32 v0, v3, v4
	v_cmp_eq_f32_e64 s1, s8, 0
	v_mul_f32_e32 v0, s10, v0
	s_and_b32 vcc_lo, exec_lo, s1
	s_cbranch_vccz .LBB72_13
; %bb.12:
	v_add_co_u32 v3, vcc_lo, s6, v1
	v_add_co_ci_u32_e64 v4, null, s7, v2, vcc_lo
	s_mov_b32 s0, 0
	global_store_dword v[3:4], v0, off
.LBB72_13:
	s_andn2_b32 vcc_lo, exec_lo, s0
	s_cbranch_vccnz .LBB72_15
; %bb.14:
	v_add_co_u32 v1, vcc_lo, s6, v1
	v_add_co_ci_u32_e64 v2, null, s7, v2, vcc_lo
	global_load_dword v3, v[1:2], off
	s_waitcnt vmcnt(0)
	v_fmac_f32_e32 v0, s8, v3
	global_store_dword v[1:2], v0, off
.LBB72_15:
	s_endpgm
	.section	.rodata,"a",@progbits
	.p2align	6, 0x0
	.amdhsa_kernel _ZN9rocsparseL19gebsrmvn_1xn_kernelILj128ELj16ELj16EfEEvi20rocsparse_direction_NS_24const_host_device_scalarIT2_EEPKiS6_PKS3_S8_S4_PS3_21rocsparse_index_base_b
		.amdhsa_group_segment_fixed_size 0
		.amdhsa_private_segment_fixed_size 0
		.amdhsa_kernarg_size 72
		.amdhsa_user_sgpr_count 6
		.amdhsa_user_sgpr_private_segment_buffer 1
		.amdhsa_user_sgpr_dispatch_ptr 0
		.amdhsa_user_sgpr_queue_ptr 0
		.amdhsa_user_sgpr_kernarg_segment_ptr 1
		.amdhsa_user_sgpr_dispatch_id 0
		.amdhsa_user_sgpr_flat_scratch_init 0
		.amdhsa_user_sgpr_private_segment_size 0
		.amdhsa_wavefront_size32 1
		.amdhsa_uses_dynamic_stack 0
		.amdhsa_system_sgpr_private_segment_wavefront_offset 0
		.amdhsa_system_sgpr_workgroup_id_x 1
		.amdhsa_system_sgpr_workgroup_id_y 0
		.amdhsa_system_sgpr_workgroup_id_z 0
		.amdhsa_system_sgpr_workgroup_info 0
		.amdhsa_system_vgpr_workitem_id 0
		.amdhsa_next_free_vgpr 41
		.amdhsa_next_free_sgpr 14
		.amdhsa_reserve_vcc 1
		.amdhsa_reserve_flat_scratch 0
		.amdhsa_float_round_mode_32 0
		.amdhsa_float_round_mode_16_64 0
		.amdhsa_float_denorm_mode_32 3
		.amdhsa_float_denorm_mode_16_64 3
		.amdhsa_dx10_clamp 1
		.amdhsa_ieee_mode 1
		.amdhsa_fp16_overflow 0
		.amdhsa_workgroup_processor_mode 1
		.amdhsa_memory_ordered 1
		.amdhsa_forward_progress 1
		.amdhsa_shared_vgpr_count 0
		.amdhsa_exception_fp_ieee_invalid_op 0
		.amdhsa_exception_fp_denorm_src 0
		.amdhsa_exception_fp_ieee_div_zero 0
		.amdhsa_exception_fp_ieee_overflow 0
		.amdhsa_exception_fp_ieee_underflow 0
		.amdhsa_exception_fp_ieee_inexact 0
		.amdhsa_exception_int_div_zero 0
	.end_amdhsa_kernel
	.section	.text._ZN9rocsparseL19gebsrmvn_1xn_kernelILj128ELj16ELj16EfEEvi20rocsparse_direction_NS_24const_host_device_scalarIT2_EEPKiS6_PKS3_S8_S4_PS3_21rocsparse_index_base_b,"axG",@progbits,_ZN9rocsparseL19gebsrmvn_1xn_kernelILj128ELj16ELj16EfEEvi20rocsparse_direction_NS_24const_host_device_scalarIT2_EEPKiS6_PKS3_S8_S4_PS3_21rocsparse_index_base_b,comdat
.Lfunc_end72:
	.size	_ZN9rocsparseL19gebsrmvn_1xn_kernelILj128ELj16ELj16EfEEvi20rocsparse_direction_NS_24const_host_device_scalarIT2_EEPKiS6_PKS3_S8_S4_PS3_21rocsparse_index_base_b, .Lfunc_end72-_ZN9rocsparseL19gebsrmvn_1xn_kernelILj128ELj16ELj16EfEEvi20rocsparse_direction_NS_24const_host_device_scalarIT2_EEPKiS6_PKS3_S8_S4_PS3_21rocsparse_index_base_b
                                        ; -- End function
	.set _ZN9rocsparseL19gebsrmvn_1xn_kernelILj128ELj16ELj16EfEEvi20rocsparse_direction_NS_24const_host_device_scalarIT2_EEPKiS6_PKS3_S8_S4_PS3_21rocsparse_index_base_b.num_vgpr, 41
	.set _ZN9rocsparseL19gebsrmvn_1xn_kernelILj128ELj16ELj16EfEEvi20rocsparse_direction_NS_24const_host_device_scalarIT2_EEPKiS6_PKS3_S8_S4_PS3_21rocsparse_index_base_b.num_agpr, 0
	.set _ZN9rocsparseL19gebsrmvn_1xn_kernelILj128ELj16ELj16EfEEvi20rocsparse_direction_NS_24const_host_device_scalarIT2_EEPKiS6_PKS3_S8_S4_PS3_21rocsparse_index_base_b.numbered_sgpr, 14
	.set _ZN9rocsparseL19gebsrmvn_1xn_kernelILj128ELj16ELj16EfEEvi20rocsparse_direction_NS_24const_host_device_scalarIT2_EEPKiS6_PKS3_S8_S4_PS3_21rocsparse_index_base_b.num_named_barrier, 0
	.set _ZN9rocsparseL19gebsrmvn_1xn_kernelILj128ELj16ELj16EfEEvi20rocsparse_direction_NS_24const_host_device_scalarIT2_EEPKiS6_PKS3_S8_S4_PS3_21rocsparse_index_base_b.private_seg_size, 0
	.set _ZN9rocsparseL19gebsrmvn_1xn_kernelILj128ELj16ELj16EfEEvi20rocsparse_direction_NS_24const_host_device_scalarIT2_EEPKiS6_PKS3_S8_S4_PS3_21rocsparse_index_base_b.uses_vcc, 1
	.set _ZN9rocsparseL19gebsrmvn_1xn_kernelILj128ELj16ELj16EfEEvi20rocsparse_direction_NS_24const_host_device_scalarIT2_EEPKiS6_PKS3_S8_S4_PS3_21rocsparse_index_base_b.uses_flat_scratch, 0
	.set _ZN9rocsparseL19gebsrmvn_1xn_kernelILj128ELj16ELj16EfEEvi20rocsparse_direction_NS_24const_host_device_scalarIT2_EEPKiS6_PKS3_S8_S4_PS3_21rocsparse_index_base_b.has_dyn_sized_stack, 0
	.set _ZN9rocsparseL19gebsrmvn_1xn_kernelILj128ELj16ELj16EfEEvi20rocsparse_direction_NS_24const_host_device_scalarIT2_EEPKiS6_PKS3_S8_S4_PS3_21rocsparse_index_base_b.has_recursion, 0
	.set _ZN9rocsparseL19gebsrmvn_1xn_kernelILj128ELj16ELj16EfEEvi20rocsparse_direction_NS_24const_host_device_scalarIT2_EEPKiS6_PKS3_S8_S4_PS3_21rocsparse_index_base_b.has_indirect_call, 0
	.section	.AMDGPU.csdata,"",@progbits
; Kernel info:
; codeLenInByte = 832
; TotalNumSgprs: 16
; NumVgprs: 41
; ScratchSize: 0
; MemoryBound: 0
; FloatMode: 240
; IeeeMode: 1
; LDSByteSize: 0 bytes/workgroup (compile time only)
; SGPRBlocks: 0
; VGPRBlocks: 5
; NumSGPRsForWavesPerEU: 16
; NumVGPRsForWavesPerEU: 41
; Occupancy: 16
; WaveLimiterHint : 1
; COMPUTE_PGM_RSRC2:SCRATCH_EN: 0
; COMPUTE_PGM_RSRC2:USER_SGPR: 6
; COMPUTE_PGM_RSRC2:TRAP_HANDLER: 0
; COMPUTE_PGM_RSRC2:TGID_X_EN: 1
; COMPUTE_PGM_RSRC2:TGID_Y_EN: 0
; COMPUTE_PGM_RSRC2:TGID_Z_EN: 0
; COMPUTE_PGM_RSRC2:TIDIG_COMP_CNT: 0
	.section	.text._ZN9rocsparseL19gebsrmvn_1xn_kernelILj128ELj16ELj32EfEEvi20rocsparse_direction_NS_24const_host_device_scalarIT2_EEPKiS6_PKS3_S8_S4_PS3_21rocsparse_index_base_b,"axG",@progbits,_ZN9rocsparseL19gebsrmvn_1xn_kernelILj128ELj16ELj32EfEEvi20rocsparse_direction_NS_24const_host_device_scalarIT2_EEPKiS6_PKS3_S8_S4_PS3_21rocsparse_index_base_b,comdat
	.globl	_ZN9rocsparseL19gebsrmvn_1xn_kernelILj128ELj16ELj32EfEEvi20rocsparse_direction_NS_24const_host_device_scalarIT2_EEPKiS6_PKS3_S8_S4_PS3_21rocsparse_index_base_b ; -- Begin function _ZN9rocsparseL19gebsrmvn_1xn_kernelILj128ELj16ELj32EfEEvi20rocsparse_direction_NS_24const_host_device_scalarIT2_EEPKiS6_PKS3_S8_S4_PS3_21rocsparse_index_base_b
	.p2align	8
	.type	_ZN9rocsparseL19gebsrmvn_1xn_kernelILj128ELj16ELj32EfEEvi20rocsparse_direction_NS_24const_host_device_scalarIT2_EEPKiS6_PKS3_S8_S4_PS3_21rocsparse_index_base_b,@function
_ZN9rocsparseL19gebsrmvn_1xn_kernelILj128ELj16ELj32EfEEvi20rocsparse_direction_NS_24const_host_device_scalarIT2_EEPKiS6_PKS3_S8_S4_PS3_21rocsparse_index_base_b: ; @_ZN9rocsparseL19gebsrmvn_1xn_kernelILj128ELj16ELj32EfEEvi20rocsparse_direction_NS_24const_host_device_scalarIT2_EEPKiS6_PKS3_S8_S4_PS3_21rocsparse_index_base_b
; %bb.0:
	s_clause 0x2
	s_load_dwordx2 s[12:13], s[4:5], 0x40
	s_load_dwordx2 s[10:11], s[4:5], 0x8
	;; [unrolled: 1-line block ×3, first 2 shown]
	s_waitcnt lgkmcnt(0)
	s_bitcmp1_b32 s13, 0
	s_cselect_b32 s0, -1, 0
	s_and_b32 vcc_lo, exec_lo, s0
	s_xor_b32 s0, s0, -1
	s_cbranch_vccnz .LBB73_2
; %bb.1:
	s_load_dword s10, s[10:11], 0x0
.LBB73_2:
	s_andn2_b32 vcc_lo, exec_lo, s0
	s_cbranch_vccnz .LBB73_4
; %bb.3:
	s_load_dword s8, s[8:9], 0x0
.LBB73_4:
	s_waitcnt lgkmcnt(0)
	v_cmp_eq_f32_e64 s0, s10, 0
	v_cmp_eq_f32_e64 s1, s8, 1.0
	s_and_b32 s0, s0, s1
	s_and_b32 vcc_lo, exec_lo, s0
	s_cbranch_vccnz .LBB73_15
; %bb.5:
	s_load_dword s0, s[4:5], 0x0
	v_lshrrev_b32_e32 v1, 5, v0
	v_lshl_or_b32 v1, s6, 2, v1
	s_waitcnt lgkmcnt(0)
	v_cmp_gt_i32_e32 vcc_lo, s0, v1
	s_and_saveexec_b32 s0, vcc_lo
	s_cbranch_execz .LBB73_15
; %bb.6:
	s_clause 0x1
	s_load_dwordx2 s[0:1], s[4:5], 0x10
	s_load_dwordx2 s[6:7], s[4:5], 0x38
	v_ashrrev_i32_e32 v2, 31, v1
	v_and_b32_e32 v0, 31, v0
	v_mov_b32_e32 v7, 0
	s_mov_b32 s9, exec_lo
	v_lshlrev_b64 v[1:2], 2, v[1:2]
	v_subrev_nc_u32_e32 v5, s12, v0
	s_waitcnt lgkmcnt(0)
	v_add_co_u32 v3, vcc_lo, s0, v1
	v_add_co_ci_u32_e64 v4, null, s1, v2, vcc_lo
	global_load_dwordx2 v[3:4], v[3:4], off
	s_waitcnt vmcnt(0)
	v_subrev_nc_u32_e32 v8, s12, v4
	v_add_nc_u32_e32 v3, v3, v5
	v_cmpx_lt_i32_e64 v3, v8
	s_cbranch_execz .LBB73_10
; %bb.7:
	s_clause 0x1
	s_load_dwordx4 s[0:3], s[4:5], 0x18
	s_load_dwordx2 s[4:5], s[4:5], 0x28
	v_mov_b32_e32 v6, 0
	v_lshlrev_b32_e32 v5, 4, v3
	s_mov_b32 s11, 0
	v_mov_b32_e32 v7, v6
.LBB73_8:                               ; =>This Inner Loop Header: Depth=1
	v_ashrrev_i32_e32 v4, 31, v3
	v_mov_b32_e32 v12, v6
	v_lshlrev_b64 v[9:10], 2, v[3:4]
	v_add_nc_u32_e32 v3, 32, v3
	s_waitcnt lgkmcnt(0)
	v_add_co_u32 v9, vcc_lo, s0, v9
	v_add_co_ci_u32_e64 v10, null, s1, v10, vcc_lo
	global_load_dword v4, v[9:10], off
	v_lshlrev_b64 v[9:10], 2, v[5:6]
	v_add_nc_u32_e32 v5, 0x200, v5
	v_add_co_u32 v29, vcc_lo, s2, v9
	v_add_co_ci_u32_e64 v30, null, s3, v10, vcc_lo
	s_waitcnt vmcnt(0)
	v_subrev_nc_u32_e32 v4, s12, v4
	v_lshlrev_b32_e32 v11, 4, v4
	v_lshlrev_b64 v[11:12], 2, v[11:12]
	v_add_co_u32 v37, vcc_lo, s4, v11
	v_add_co_ci_u32_e64 v38, null, s5, v12, vcc_lo
	v_cmp_ge_i32_e32 vcc_lo, v3, v8
	s_clause 0x1
	global_load_dwordx4 v[9:12], v[29:30], off offset:16
	global_load_dwordx4 v[13:16], v[29:30], off
	s_clause 0x1
	global_load_dwordx4 v[17:20], v[37:38], off
	global_load_dwordx4 v[21:24], v[37:38], off offset:16
	s_clause 0x1
	global_load_dwordx4 v[25:28], v[29:30], off offset:48
	global_load_dwordx4 v[29:32], v[29:30], off offset:32
	s_clause 0x1
	global_load_dwordx4 v[33:36], v[37:38], off offset:32
	global_load_dwordx4 v[37:40], v[37:38], off offset:48
	s_or_b32 s11, vcc_lo, s11
	s_waitcnt vmcnt(5)
	v_fmac_f32_e32 v7, v13, v17
	v_fmac_f32_e32 v7, v14, v18
	v_fmac_f32_e32 v7, v15, v19
	v_fmac_f32_e32 v7, v16, v20
	s_waitcnt vmcnt(4)
	v_fmac_f32_e32 v7, v9, v21
	v_fmac_f32_e32 v7, v10, v22
	v_fmac_f32_e32 v7, v11, v23
	v_fmac_f32_e32 v7, v12, v24
	;; [unrolled: 5-line block ×4, first 2 shown]
	s_andn2_b32 exec_lo, exec_lo, s11
	s_cbranch_execnz .LBB73_8
; %bb.9:
	s_or_b32 exec_lo, exec_lo, s11
.LBB73_10:
	s_or_b32 exec_lo, exec_lo, s9
	v_mbcnt_lo_u32_b32 v3, -1, 0
	s_mov_b32 s0, -1
	v_xor_b32_e32 v4, 16, v3
	v_xor_b32_e32 v5, 8, v3
	;; [unrolled: 1-line block ×3, first 2 shown]
	v_cmp_gt_i32_e32 vcc_lo, 32, v4
	v_cndmask_b32_e32 v4, v3, v4, vcc_lo
	v_cmp_gt_i32_e32 vcc_lo, 32, v5
	v_lshlrev_b32_e32 v4, 2, v4
	v_cndmask_b32_e32 v5, v3, v5, vcc_lo
	v_cmp_gt_i32_e32 vcc_lo, 32, v6
	ds_bpermute_b32 v4, v4, v7
	v_lshlrev_b32_e32 v5, 2, v5
	v_cndmask_b32_e32 v6, v3, v6, vcc_lo
	v_lshlrev_b32_e32 v6, 2, v6
	s_waitcnt lgkmcnt(0)
	v_add_f32_e32 v4, v7, v4
	ds_bpermute_b32 v5, v5, v4
	s_waitcnt lgkmcnt(0)
	v_add_f32_e32 v4, v4, v5
	ds_bpermute_b32 v5, v6, v4
	v_xor_b32_e32 v6, 2, v3
	v_cmp_gt_i32_e32 vcc_lo, 32, v6
	v_cndmask_b32_e32 v6, v3, v6, vcc_lo
	v_lshlrev_b32_e32 v6, 2, v6
	s_waitcnt lgkmcnt(0)
	v_add_f32_e32 v4, v4, v5
	ds_bpermute_b32 v5, v6, v4
	v_xor_b32_e32 v6, 1, v3
	v_cmp_gt_i32_e32 vcc_lo, 32, v6
	v_cndmask_b32_e32 v6, v3, v6, vcc_lo
	v_cmp_eq_u32_e32 vcc_lo, 31, v0
	s_waitcnt lgkmcnt(0)
	v_add_f32_e32 v3, v4, v5
	v_lshlrev_b32_e32 v4, 2, v6
	ds_bpermute_b32 v4, v4, v3
	s_and_b32 exec_lo, exec_lo, vcc_lo
	s_cbranch_execz .LBB73_15
; %bb.11:
	s_waitcnt lgkmcnt(0)
	v_add_f32_e32 v0, v3, v4
	v_cmp_eq_f32_e64 s1, s8, 0
	v_mul_f32_e32 v0, s10, v0
	s_and_b32 vcc_lo, exec_lo, s1
	s_cbranch_vccz .LBB73_13
; %bb.12:
	v_add_co_u32 v3, vcc_lo, s6, v1
	v_add_co_ci_u32_e64 v4, null, s7, v2, vcc_lo
	s_mov_b32 s0, 0
	global_store_dword v[3:4], v0, off
.LBB73_13:
	s_andn2_b32 vcc_lo, exec_lo, s0
	s_cbranch_vccnz .LBB73_15
; %bb.14:
	v_add_co_u32 v1, vcc_lo, s6, v1
	v_add_co_ci_u32_e64 v2, null, s7, v2, vcc_lo
	global_load_dword v3, v[1:2], off
	s_waitcnt vmcnt(0)
	v_fmac_f32_e32 v0, s8, v3
	global_store_dword v[1:2], v0, off
.LBB73_15:
	s_endpgm
	.section	.rodata,"a",@progbits
	.p2align	6, 0x0
	.amdhsa_kernel _ZN9rocsparseL19gebsrmvn_1xn_kernelILj128ELj16ELj32EfEEvi20rocsparse_direction_NS_24const_host_device_scalarIT2_EEPKiS6_PKS3_S8_S4_PS3_21rocsparse_index_base_b
		.amdhsa_group_segment_fixed_size 0
		.amdhsa_private_segment_fixed_size 0
		.amdhsa_kernarg_size 72
		.amdhsa_user_sgpr_count 6
		.amdhsa_user_sgpr_private_segment_buffer 1
		.amdhsa_user_sgpr_dispatch_ptr 0
		.amdhsa_user_sgpr_queue_ptr 0
		.amdhsa_user_sgpr_kernarg_segment_ptr 1
		.amdhsa_user_sgpr_dispatch_id 0
		.amdhsa_user_sgpr_flat_scratch_init 0
		.amdhsa_user_sgpr_private_segment_size 0
		.amdhsa_wavefront_size32 1
		.amdhsa_uses_dynamic_stack 0
		.amdhsa_system_sgpr_private_segment_wavefront_offset 0
		.amdhsa_system_sgpr_workgroup_id_x 1
		.amdhsa_system_sgpr_workgroup_id_y 0
		.amdhsa_system_sgpr_workgroup_id_z 0
		.amdhsa_system_sgpr_workgroup_info 0
		.amdhsa_system_vgpr_workitem_id 0
		.amdhsa_next_free_vgpr 41
		.amdhsa_next_free_sgpr 14
		.amdhsa_reserve_vcc 1
		.amdhsa_reserve_flat_scratch 0
		.amdhsa_float_round_mode_32 0
		.amdhsa_float_round_mode_16_64 0
		.amdhsa_float_denorm_mode_32 3
		.amdhsa_float_denorm_mode_16_64 3
		.amdhsa_dx10_clamp 1
		.amdhsa_ieee_mode 1
		.amdhsa_fp16_overflow 0
		.amdhsa_workgroup_processor_mode 1
		.amdhsa_memory_ordered 1
		.amdhsa_forward_progress 1
		.amdhsa_shared_vgpr_count 0
		.amdhsa_exception_fp_ieee_invalid_op 0
		.amdhsa_exception_fp_denorm_src 0
		.amdhsa_exception_fp_ieee_div_zero 0
		.amdhsa_exception_fp_ieee_overflow 0
		.amdhsa_exception_fp_ieee_underflow 0
		.amdhsa_exception_fp_ieee_inexact 0
		.amdhsa_exception_int_div_zero 0
	.end_amdhsa_kernel
	.section	.text._ZN9rocsparseL19gebsrmvn_1xn_kernelILj128ELj16ELj32EfEEvi20rocsparse_direction_NS_24const_host_device_scalarIT2_EEPKiS6_PKS3_S8_S4_PS3_21rocsparse_index_base_b,"axG",@progbits,_ZN9rocsparseL19gebsrmvn_1xn_kernelILj128ELj16ELj32EfEEvi20rocsparse_direction_NS_24const_host_device_scalarIT2_EEPKiS6_PKS3_S8_S4_PS3_21rocsparse_index_base_b,comdat
.Lfunc_end73:
	.size	_ZN9rocsparseL19gebsrmvn_1xn_kernelILj128ELj16ELj32EfEEvi20rocsparse_direction_NS_24const_host_device_scalarIT2_EEPKiS6_PKS3_S8_S4_PS3_21rocsparse_index_base_b, .Lfunc_end73-_ZN9rocsparseL19gebsrmvn_1xn_kernelILj128ELj16ELj32EfEEvi20rocsparse_direction_NS_24const_host_device_scalarIT2_EEPKiS6_PKS3_S8_S4_PS3_21rocsparse_index_base_b
                                        ; -- End function
	.set _ZN9rocsparseL19gebsrmvn_1xn_kernelILj128ELj16ELj32EfEEvi20rocsparse_direction_NS_24const_host_device_scalarIT2_EEPKiS6_PKS3_S8_S4_PS3_21rocsparse_index_base_b.num_vgpr, 41
	.set _ZN9rocsparseL19gebsrmvn_1xn_kernelILj128ELj16ELj32EfEEvi20rocsparse_direction_NS_24const_host_device_scalarIT2_EEPKiS6_PKS3_S8_S4_PS3_21rocsparse_index_base_b.num_agpr, 0
	.set _ZN9rocsparseL19gebsrmvn_1xn_kernelILj128ELj16ELj32EfEEvi20rocsparse_direction_NS_24const_host_device_scalarIT2_EEPKiS6_PKS3_S8_S4_PS3_21rocsparse_index_base_b.numbered_sgpr, 14
	.set _ZN9rocsparseL19gebsrmvn_1xn_kernelILj128ELj16ELj32EfEEvi20rocsparse_direction_NS_24const_host_device_scalarIT2_EEPKiS6_PKS3_S8_S4_PS3_21rocsparse_index_base_b.num_named_barrier, 0
	.set _ZN9rocsparseL19gebsrmvn_1xn_kernelILj128ELj16ELj32EfEEvi20rocsparse_direction_NS_24const_host_device_scalarIT2_EEPKiS6_PKS3_S8_S4_PS3_21rocsparse_index_base_b.private_seg_size, 0
	.set _ZN9rocsparseL19gebsrmvn_1xn_kernelILj128ELj16ELj32EfEEvi20rocsparse_direction_NS_24const_host_device_scalarIT2_EEPKiS6_PKS3_S8_S4_PS3_21rocsparse_index_base_b.uses_vcc, 1
	.set _ZN9rocsparseL19gebsrmvn_1xn_kernelILj128ELj16ELj32EfEEvi20rocsparse_direction_NS_24const_host_device_scalarIT2_EEPKiS6_PKS3_S8_S4_PS3_21rocsparse_index_base_b.uses_flat_scratch, 0
	.set _ZN9rocsparseL19gebsrmvn_1xn_kernelILj128ELj16ELj32EfEEvi20rocsparse_direction_NS_24const_host_device_scalarIT2_EEPKiS6_PKS3_S8_S4_PS3_21rocsparse_index_base_b.has_dyn_sized_stack, 0
	.set _ZN9rocsparseL19gebsrmvn_1xn_kernelILj128ELj16ELj32EfEEvi20rocsparse_direction_NS_24const_host_device_scalarIT2_EEPKiS6_PKS3_S8_S4_PS3_21rocsparse_index_base_b.has_recursion, 0
	.set _ZN9rocsparseL19gebsrmvn_1xn_kernelILj128ELj16ELj32EfEEvi20rocsparse_direction_NS_24const_host_device_scalarIT2_EEPKiS6_PKS3_S8_S4_PS3_21rocsparse_index_base_b.has_indirect_call, 0
	.section	.AMDGPU.csdata,"",@progbits
; Kernel info:
; codeLenInByte = 864
; TotalNumSgprs: 16
; NumVgprs: 41
; ScratchSize: 0
; MemoryBound: 0
; FloatMode: 240
; IeeeMode: 1
; LDSByteSize: 0 bytes/workgroup (compile time only)
; SGPRBlocks: 0
; VGPRBlocks: 5
; NumSGPRsForWavesPerEU: 16
; NumVGPRsForWavesPerEU: 41
; Occupancy: 16
; WaveLimiterHint : 1
; COMPUTE_PGM_RSRC2:SCRATCH_EN: 0
; COMPUTE_PGM_RSRC2:USER_SGPR: 6
; COMPUTE_PGM_RSRC2:TRAP_HANDLER: 0
; COMPUTE_PGM_RSRC2:TGID_X_EN: 1
; COMPUTE_PGM_RSRC2:TGID_Y_EN: 0
; COMPUTE_PGM_RSRC2:TGID_Z_EN: 0
; COMPUTE_PGM_RSRC2:TIDIG_COMP_CNT: 0
	.section	.text._ZN9rocsparseL19gebsrmvn_1xn_kernelILj128ELj16ELj64EfEEvi20rocsparse_direction_NS_24const_host_device_scalarIT2_EEPKiS6_PKS3_S8_S4_PS3_21rocsparse_index_base_b,"axG",@progbits,_ZN9rocsparseL19gebsrmvn_1xn_kernelILj128ELj16ELj64EfEEvi20rocsparse_direction_NS_24const_host_device_scalarIT2_EEPKiS6_PKS3_S8_S4_PS3_21rocsparse_index_base_b,comdat
	.globl	_ZN9rocsparseL19gebsrmvn_1xn_kernelILj128ELj16ELj64EfEEvi20rocsparse_direction_NS_24const_host_device_scalarIT2_EEPKiS6_PKS3_S8_S4_PS3_21rocsparse_index_base_b ; -- Begin function _ZN9rocsparseL19gebsrmvn_1xn_kernelILj128ELj16ELj64EfEEvi20rocsparse_direction_NS_24const_host_device_scalarIT2_EEPKiS6_PKS3_S8_S4_PS3_21rocsparse_index_base_b
	.p2align	8
	.type	_ZN9rocsparseL19gebsrmvn_1xn_kernelILj128ELj16ELj64EfEEvi20rocsparse_direction_NS_24const_host_device_scalarIT2_EEPKiS6_PKS3_S8_S4_PS3_21rocsparse_index_base_b,@function
_ZN9rocsparseL19gebsrmvn_1xn_kernelILj128ELj16ELj64EfEEvi20rocsparse_direction_NS_24const_host_device_scalarIT2_EEPKiS6_PKS3_S8_S4_PS3_21rocsparse_index_base_b: ; @_ZN9rocsparseL19gebsrmvn_1xn_kernelILj128ELj16ELj64EfEEvi20rocsparse_direction_NS_24const_host_device_scalarIT2_EEPKiS6_PKS3_S8_S4_PS3_21rocsparse_index_base_b
; %bb.0:
	s_clause 0x2
	s_load_dwordx2 s[12:13], s[4:5], 0x40
	s_load_dwordx2 s[10:11], s[4:5], 0x8
	s_load_dwordx2 s[8:9], s[4:5], 0x30
	s_waitcnt lgkmcnt(0)
	s_bitcmp1_b32 s13, 0
	s_cselect_b32 s0, -1, 0
	s_and_b32 vcc_lo, exec_lo, s0
	s_xor_b32 s0, s0, -1
	s_cbranch_vccnz .LBB74_2
; %bb.1:
	s_load_dword s10, s[10:11], 0x0
.LBB74_2:
	s_andn2_b32 vcc_lo, exec_lo, s0
	s_cbranch_vccnz .LBB74_4
; %bb.3:
	s_load_dword s8, s[8:9], 0x0
.LBB74_4:
	s_waitcnt lgkmcnt(0)
	v_cmp_eq_f32_e64 s0, s10, 0
	v_cmp_eq_f32_e64 s1, s8, 1.0
	s_and_b32 s0, s0, s1
	s_and_b32 vcc_lo, exec_lo, s0
	s_cbranch_vccnz .LBB74_15
; %bb.5:
	s_load_dword s0, s[4:5], 0x0
	v_lshrrev_b32_e32 v1, 6, v0
	v_lshl_or_b32 v1, s6, 1, v1
	s_waitcnt lgkmcnt(0)
	v_cmp_gt_i32_e32 vcc_lo, s0, v1
	s_and_saveexec_b32 s0, vcc_lo
	s_cbranch_execz .LBB74_15
; %bb.6:
	s_clause 0x1
	s_load_dwordx2 s[0:1], s[4:5], 0x10
	s_load_dwordx2 s[6:7], s[4:5], 0x38
	v_ashrrev_i32_e32 v2, 31, v1
	v_and_b32_e32 v0, 63, v0
	v_mov_b32_e32 v7, 0
	s_mov_b32 s9, exec_lo
	v_lshlrev_b64 v[1:2], 2, v[1:2]
	v_subrev_nc_u32_e32 v5, s12, v0
	s_waitcnt lgkmcnt(0)
	v_add_co_u32 v3, vcc_lo, s0, v1
	v_add_co_ci_u32_e64 v4, null, s1, v2, vcc_lo
	global_load_dwordx2 v[3:4], v[3:4], off
	s_waitcnt vmcnt(0)
	v_subrev_nc_u32_e32 v8, s12, v4
	v_add_nc_u32_e32 v3, v3, v5
	v_cmpx_lt_i32_e64 v3, v8
	s_cbranch_execz .LBB74_10
; %bb.7:
	s_clause 0x1
	s_load_dwordx4 s[0:3], s[4:5], 0x18
	s_load_dwordx2 s[4:5], s[4:5], 0x28
	v_mov_b32_e32 v6, 0
	v_lshlrev_b32_e32 v5, 4, v3
	s_mov_b32 s11, 0
	v_mov_b32_e32 v7, v6
.LBB74_8:                               ; =>This Inner Loop Header: Depth=1
	v_ashrrev_i32_e32 v4, 31, v3
	v_mov_b32_e32 v12, v6
	v_lshlrev_b64 v[9:10], 2, v[3:4]
	v_add_nc_u32_e32 v3, 64, v3
	s_waitcnt lgkmcnt(0)
	v_add_co_u32 v9, vcc_lo, s0, v9
	v_add_co_ci_u32_e64 v10, null, s1, v10, vcc_lo
	global_load_dword v4, v[9:10], off
	v_lshlrev_b64 v[9:10], 2, v[5:6]
	v_add_nc_u32_e32 v5, 0x400, v5
	v_add_co_u32 v29, vcc_lo, s2, v9
	v_add_co_ci_u32_e64 v30, null, s3, v10, vcc_lo
	s_waitcnt vmcnt(0)
	v_subrev_nc_u32_e32 v4, s12, v4
	v_lshlrev_b32_e32 v11, 4, v4
	v_lshlrev_b64 v[11:12], 2, v[11:12]
	v_add_co_u32 v37, vcc_lo, s4, v11
	v_add_co_ci_u32_e64 v38, null, s5, v12, vcc_lo
	v_cmp_ge_i32_e32 vcc_lo, v3, v8
	s_clause 0x1
	global_load_dwordx4 v[9:12], v[29:30], off offset:16
	global_load_dwordx4 v[13:16], v[29:30], off
	s_clause 0x1
	global_load_dwordx4 v[17:20], v[37:38], off
	global_load_dwordx4 v[21:24], v[37:38], off offset:16
	s_clause 0x1
	global_load_dwordx4 v[25:28], v[29:30], off offset:48
	global_load_dwordx4 v[29:32], v[29:30], off offset:32
	s_clause 0x1
	global_load_dwordx4 v[33:36], v[37:38], off offset:32
	global_load_dwordx4 v[37:40], v[37:38], off offset:48
	s_or_b32 s11, vcc_lo, s11
	s_waitcnt vmcnt(5)
	v_fmac_f32_e32 v7, v13, v17
	v_fmac_f32_e32 v7, v14, v18
	v_fmac_f32_e32 v7, v15, v19
	v_fmac_f32_e32 v7, v16, v20
	s_waitcnt vmcnt(4)
	v_fmac_f32_e32 v7, v9, v21
	v_fmac_f32_e32 v7, v10, v22
	v_fmac_f32_e32 v7, v11, v23
	v_fmac_f32_e32 v7, v12, v24
	;; [unrolled: 5-line block ×4, first 2 shown]
	s_andn2_b32 exec_lo, exec_lo, s11
	s_cbranch_execnz .LBB74_8
; %bb.9:
	s_or_b32 exec_lo, exec_lo, s11
.LBB74_10:
	s_or_b32 exec_lo, exec_lo, s9
	v_mbcnt_lo_u32_b32 v3, -1, 0
	s_mov_b32 s0, -1
	v_or_b32_e32 v4, 32, v3
	v_xor_b32_e32 v5, 16, v3
	v_xor_b32_e32 v6, 8, v3
	v_cmp_gt_i32_e32 vcc_lo, 32, v4
	v_cndmask_b32_e32 v4, v3, v4, vcc_lo
	v_cmp_gt_i32_e32 vcc_lo, 32, v5
	v_lshlrev_b32_e32 v4, 2, v4
	v_cndmask_b32_e32 v5, v3, v5, vcc_lo
	v_cmp_gt_i32_e32 vcc_lo, 32, v6
	ds_bpermute_b32 v4, v4, v7
	v_lshlrev_b32_e32 v5, 2, v5
	v_cndmask_b32_e32 v6, v3, v6, vcc_lo
	v_lshlrev_b32_e32 v6, 2, v6
	s_waitcnt lgkmcnt(0)
	v_add_f32_e32 v4, v7, v4
	ds_bpermute_b32 v5, v5, v4
	s_waitcnt lgkmcnt(0)
	v_add_f32_e32 v4, v4, v5
	ds_bpermute_b32 v5, v6, v4
	v_xor_b32_e32 v6, 4, v3
	v_cmp_gt_i32_e32 vcc_lo, 32, v6
	v_cndmask_b32_e32 v6, v3, v6, vcc_lo
	v_lshlrev_b32_e32 v6, 2, v6
	s_waitcnt lgkmcnt(0)
	v_add_f32_e32 v4, v4, v5
	ds_bpermute_b32 v5, v6, v4
	v_xor_b32_e32 v6, 2, v3
	v_cmp_gt_i32_e32 vcc_lo, 32, v6
	v_cndmask_b32_e32 v6, v3, v6, vcc_lo
	v_lshlrev_b32_e32 v6, 2, v6
	s_waitcnt lgkmcnt(0)
	v_add_f32_e32 v4, v4, v5
	ds_bpermute_b32 v5, v6, v4
	v_xor_b32_e32 v6, 1, v3
	v_cmp_gt_i32_e32 vcc_lo, 32, v6
	v_cndmask_b32_e32 v6, v3, v6, vcc_lo
	v_cmp_eq_u32_e32 vcc_lo, 63, v0
	s_waitcnt lgkmcnt(0)
	v_add_f32_e32 v3, v4, v5
	v_lshlrev_b32_e32 v4, 2, v6
	ds_bpermute_b32 v4, v4, v3
	s_and_b32 exec_lo, exec_lo, vcc_lo
	s_cbranch_execz .LBB74_15
; %bb.11:
	s_waitcnt lgkmcnt(0)
	v_add_f32_e32 v0, v3, v4
	v_cmp_eq_f32_e64 s1, s8, 0
	v_mul_f32_e32 v0, s10, v0
	s_and_b32 vcc_lo, exec_lo, s1
	s_cbranch_vccz .LBB74_13
; %bb.12:
	v_add_co_u32 v3, vcc_lo, s6, v1
	v_add_co_ci_u32_e64 v4, null, s7, v2, vcc_lo
	s_mov_b32 s0, 0
	global_store_dword v[3:4], v0, off
.LBB74_13:
	s_andn2_b32 vcc_lo, exec_lo, s0
	s_cbranch_vccnz .LBB74_15
; %bb.14:
	v_add_co_u32 v1, vcc_lo, s6, v1
	v_add_co_ci_u32_e64 v2, null, s7, v2, vcc_lo
	global_load_dword v3, v[1:2], off
	s_waitcnt vmcnt(0)
	v_fmac_f32_e32 v0, s8, v3
	global_store_dword v[1:2], v0, off
.LBB74_15:
	s_endpgm
	.section	.rodata,"a",@progbits
	.p2align	6, 0x0
	.amdhsa_kernel _ZN9rocsparseL19gebsrmvn_1xn_kernelILj128ELj16ELj64EfEEvi20rocsparse_direction_NS_24const_host_device_scalarIT2_EEPKiS6_PKS3_S8_S4_PS3_21rocsparse_index_base_b
		.amdhsa_group_segment_fixed_size 0
		.amdhsa_private_segment_fixed_size 0
		.amdhsa_kernarg_size 72
		.amdhsa_user_sgpr_count 6
		.amdhsa_user_sgpr_private_segment_buffer 1
		.amdhsa_user_sgpr_dispatch_ptr 0
		.amdhsa_user_sgpr_queue_ptr 0
		.amdhsa_user_sgpr_kernarg_segment_ptr 1
		.amdhsa_user_sgpr_dispatch_id 0
		.amdhsa_user_sgpr_flat_scratch_init 0
		.amdhsa_user_sgpr_private_segment_size 0
		.amdhsa_wavefront_size32 1
		.amdhsa_uses_dynamic_stack 0
		.amdhsa_system_sgpr_private_segment_wavefront_offset 0
		.amdhsa_system_sgpr_workgroup_id_x 1
		.amdhsa_system_sgpr_workgroup_id_y 0
		.amdhsa_system_sgpr_workgroup_id_z 0
		.amdhsa_system_sgpr_workgroup_info 0
		.amdhsa_system_vgpr_workitem_id 0
		.amdhsa_next_free_vgpr 41
		.amdhsa_next_free_sgpr 14
		.amdhsa_reserve_vcc 1
		.amdhsa_reserve_flat_scratch 0
		.amdhsa_float_round_mode_32 0
		.amdhsa_float_round_mode_16_64 0
		.amdhsa_float_denorm_mode_32 3
		.amdhsa_float_denorm_mode_16_64 3
		.amdhsa_dx10_clamp 1
		.amdhsa_ieee_mode 1
		.amdhsa_fp16_overflow 0
		.amdhsa_workgroup_processor_mode 1
		.amdhsa_memory_ordered 1
		.amdhsa_forward_progress 1
		.amdhsa_shared_vgpr_count 0
		.amdhsa_exception_fp_ieee_invalid_op 0
		.amdhsa_exception_fp_denorm_src 0
		.amdhsa_exception_fp_ieee_div_zero 0
		.amdhsa_exception_fp_ieee_overflow 0
		.amdhsa_exception_fp_ieee_underflow 0
		.amdhsa_exception_fp_ieee_inexact 0
		.amdhsa_exception_int_div_zero 0
	.end_amdhsa_kernel
	.section	.text._ZN9rocsparseL19gebsrmvn_1xn_kernelILj128ELj16ELj64EfEEvi20rocsparse_direction_NS_24const_host_device_scalarIT2_EEPKiS6_PKS3_S8_S4_PS3_21rocsparse_index_base_b,"axG",@progbits,_ZN9rocsparseL19gebsrmvn_1xn_kernelILj128ELj16ELj64EfEEvi20rocsparse_direction_NS_24const_host_device_scalarIT2_EEPKiS6_PKS3_S8_S4_PS3_21rocsparse_index_base_b,comdat
.Lfunc_end74:
	.size	_ZN9rocsparseL19gebsrmvn_1xn_kernelILj128ELj16ELj64EfEEvi20rocsparse_direction_NS_24const_host_device_scalarIT2_EEPKiS6_PKS3_S8_S4_PS3_21rocsparse_index_base_b, .Lfunc_end74-_ZN9rocsparseL19gebsrmvn_1xn_kernelILj128ELj16ELj64EfEEvi20rocsparse_direction_NS_24const_host_device_scalarIT2_EEPKiS6_PKS3_S8_S4_PS3_21rocsparse_index_base_b
                                        ; -- End function
	.set _ZN9rocsparseL19gebsrmvn_1xn_kernelILj128ELj16ELj64EfEEvi20rocsparse_direction_NS_24const_host_device_scalarIT2_EEPKiS6_PKS3_S8_S4_PS3_21rocsparse_index_base_b.num_vgpr, 41
	.set _ZN9rocsparseL19gebsrmvn_1xn_kernelILj128ELj16ELj64EfEEvi20rocsparse_direction_NS_24const_host_device_scalarIT2_EEPKiS6_PKS3_S8_S4_PS3_21rocsparse_index_base_b.num_agpr, 0
	.set _ZN9rocsparseL19gebsrmvn_1xn_kernelILj128ELj16ELj64EfEEvi20rocsparse_direction_NS_24const_host_device_scalarIT2_EEPKiS6_PKS3_S8_S4_PS3_21rocsparse_index_base_b.numbered_sgpr, 14
	.set _ZN9rocsparseL19gebsrmvn_1xn_kernelILj128ELj16ELj64EfEEvi20rocsparse_direction_NS_24const_host_device_scalarIT2_EEPKiS6_PKS3_S8_S4_PS3_21rocsparse_index_base_b.num_named_barrier, 0
	.set _ZN9rocsparseL19gebsrmvn_1xn_kernelILj128ELj16ELj64EfEEvi20rocsparse_direction_NS_24const_host_device_scalarIT2_EEPKiS6_PKS3_S8_S4_PS3_21rocsparse_index_base_b.private_seg_size, 0
	.set _ZN9rocsparseL19gebsrmvn_1xn_kernelILj128ELj16ELj64EfEEvi20rocsparse_direction_NS_24const_host_device_scalarIT2_EEPKiS6_PKS3_S8_S4_PS3_21rocsparse_index_base_b.uses_vcc, 1
	.set _ZN9rocsparseL19gebsrmvn_1xn_kernelILj128ELj16ELj64EfEEvi20rocsparse_direction_NS_24const_host_device_scalarIT2_EEPKiS6_PKS3_S8_S4_PS3_21rocsparse_index_base_b.uses_flat_scratch, 0
	.set _ZN9rocsparseL19gebsrmvn_1xn_kernelILj128ELj16ELj64EfEEvi20rocsparse_direction_NS_24const_host_device_scalarIT2_EEPKiS6_PKS3_S8_S4_PS3_21rocsparse_index_base_b.has_dyn_sized_stack, 0
	.set _ZN9rocsparseL19gebsrmvn_1xn_kernelILj128ELj16ELj64EfEEvi20rocsparse_direction_NS_24const_host_device_scalarIT2_EEPKiS6_PKS3_S8_S4_PS3_21rocsparse_index_base_b.has_recursion, 0
	.set _ZN9rocsparseL19gebsrmvn_1xn_kernelILj128ELj16ELj64EfEEvi20rocsparse_direction_NS_24const_host_device_scalarIT2_EEPKiS6_PKS3_S8_S4_PS3_21rocsparse_index_base_b.has_indirect_call, 0
	.section	.AMDGPU.csdata,"",@progbits
; Kernel info:
; codeLenInByte = 896
; TotalNumSgprs: 16
; NumVgprs: 41
; ScratchSize: 0
; MemoryBound: 0
; FloatMode: 240
; IeeeMode: 1
; LDSByteSize: 0 bytes/workgroup (compile time only)
; SGPRBlocks: 0
; VGPRBlocks: 5
; NumSGPRsForWavesPerEU: 16
; NumVGPRsForWavesPerEU: 41
; Occupancy: 16
; WaveLimiterHint : 1
; COMPUTE_PGM_RSRC2:SCRATCH_EN: 0
; COMPUTE_PGM_RSRC2:USER_SGPR: 6
; COMPUTE_PGM_RSRC2:TRAP_HANDLER: 0
; COMPUTE_PGM_RSRC2:TGID_X_EN: 1
; COMPUTE_PGM_RSRC2:TGID_Y_EN: 0
; COMPUTE_PGM_RSRC2:TGID_Z_EN: 0
; COMPUTE_PGM_RSRC2:TIDIG_COMP_CNT: 0
	.section	.text._ZN9rocsparseL23gebsrmvn_general_kernelILj32ELj32EfEEvi20rocsparse_direction_NS_24const_host_device_scalarIT1_EEPKiS6_PKS3_iiS8_S4_PS3_21rocsparse_index_base_b,"axG",@progbits,_ZN9rocsparseL23gebsrmvn_general_kernelILj32ELj32EfEEvi20rocsparse_direction_NS_24const_host_device_scalarIT1_EEPKiS6_PKS3_iiS8_S4_PS3_21rocsparse_index_base_b,comdat
	.globl	_ZN9rocsparseL23gebsrmvn_general_kernelILj32ELj32EfEEvi20rocsparse_direction_NS_24const_host_device_scalarIT1_EEPKiS6_PKS3_iiS8_S4_PS3_21rocsparse_index_base_b ; -- Begin function _ZN9rocsparseL23gebsrmvn_general_kernelILj32ELj32EfEEvi20rocsparse_direction_NS_24const_host_device_scalarIT1_EEPKiS6_PKS3_iiS8_S4_PS3_21rocsparse_index_base_b
	.p2align	8
	.type	_ZN9rocsparseL23gebsrmvn_general_kernelILj32ELj32EfEEvi20rocsparse_direction_NS_24const_host_device_scalarIT1_EEPKiS6_PKS3_iiS8_S4_PS3_21rocsparse_index_base_b,@function
_ZN9rocsparseL23gebsrmvn_general_kernelILj32ELj32EfEEvi20rocsparse_direction_NS_24const_host_device_scalarIT1_EEPKiS6_PKS3_iiS8_S4_PS3_21rocsparse_index_base_b: ; @_ZN9rocsparseL23gebsrmvn_general_kernelILj32ELj32EfEEvi20rocsparse_direction_NS_24const_host_device_scalarIT1_EEPKiS6_PKS3_iiS8_S4_PS3_21rocsparse_index_base_b
; %bb.0:
	s_clause 0x2
	s_load_dwordx2 s[2:3], s[4:5], 0x48
	s_load_dwordx2 s[12:13], s[4:5], 0x8
	;; [unrolled: 1-line block ×3, first 2 shown]
	s_waitcnt lgkmcnt(0)
	s_bitcmp1_b32 s3, 0
	s_cselect_b32 s0, -1, 0
	s_and_b32 vcc_lo, exec_lo, s0
	s_xor_b32 s0, s0, -1
	s_cbranch_vccnz .LBB75_2
; %bb.1:
	s_load_dword s12, s[12:13], 0x0
.LBB75_2:
	s_andn2_b32 vcc_lo, exec_lo, s0
	s_cbranch_vccnz .LBB75_4
; %bb.3:
	s_load_dword s14, s[14:15], 0x0
.LBB75_4:
	s_waitcnt lgkmcnt(0)
	v_cmp_eq_f32_e64 s0, s12, 0
	v_cmp_eq_f32_e64 s1, s14, 1.0
	s_and_b32 s0, s0, s1
	s_and_b32 vcc_lo, exec_lo, s0
	s_cbranch_vccnz .LBB75_24
; %bb.5:
	s_load_dwordx2 s[16:17], s[4:5], 0x28
	s_waitcnt lgkmcnt(0)
	s_cmp_gt_i32 s16, 0
	s_cselect_b32 s0, -1, 0
	s_and_saveexec_b32 s1, s0
	s_cbranch_execz .LBB75_24
; %bb.6:
	s_clause 0x3
	s_load_dwordx4 s[8:11], s[4:5], 0x10
	s_load_dwordx2 s[18:19], s[4:5], 0x20
	s_load_dwordx2 s[20:21], s[4:5], 0x30
	;; [unrolled: 1-line block ×3, first 2 shown]
	v_mbcnt_lo_u32_b32 v2, -1, 0
	s_ashr_i32 s7, s6, 31
	s_load_dword s15, s[4:5], 0x4
	s_lshl_b64 s[4:5], s[6:7], 2
	v_mov_b32_e32 v1, 0
	v_xor_b32_e32 v3, 16, v2
	v_xor_b32_e32 v4, 8, v2
	;; [unrolled: 1-line block ×5, first 2 shown]
	v_cmp_gt_i32_e32 vcc_lo, 32, v3
	v_cmp_gt_i32_e64 s0, s17, v0
	v_cmp_eq_u32_e64 s1, 31, v0
	v_cmp_eq_f32_e64 s7, s14, 0
	s_mov_b32 s3, 0
	v_cndmask_b32_e32 v3, v2, v3, vcc_lo
	s_waitcnt lgkmcnt(0)
	s_add_u32 s4, s8, s4
	s_addc_u32 s5, s9, s5
	v_cmp_gt_i32_e32 vcc_lo, 32, v4
	s_load_dwordx2 s[4:5], s[4:5], 0x0
	s_mul_i32 s6, s16, s6
	s_mul_i32 s24, s17, s16
	v_cndmask_b32_e32 v8, v2, v4, vcc_lo
	v_cmp_gt_i32_e32 vcc_lo, 32, v5
	v_lshlrev_b32_e32 v4, 2, v3
	v_cndmask_b32_e32 v9, v2, v5, vcc_lo
	v_cmp_gt_i32_e32 vcc_lo, 32, v6
	v_lshlrev_b32_e32 v5, 2, v8
	;; [unrolled: 3-line block ×3, first 2 shown]
	s_waitcnt lgkmcnt(0)
	s_sub_i32 s8, s4, s2
	s_sub_i32 s9, s5, s2
	v_cndmask_b32_e32 v2, v2, v7, vcc_lo
	s_cmp_lt_i32 s4, s5
	s_mul_i32 s4, s16, s8
	v_lshlrev_b32_e32 v7, 2, v10
	s_mul_i32 s4, s17, s4
	v_lshlrev_b32_e32 v8, 2, v2
	v_mov_b32_e32 v9, s4
	s_cselect_b32 s13, -1, 0
	s_cmp_lg_u32 s15, 0
	s_cselect_b32 s15, -1, 0
	s_branch .LBB75_8
.LBB75_7:                               ;   in Loop: Header=BB75_8 Depth=1
	s_or_b32 exec_lo, exec_lo, s4
	v_add_nc_u32_e32 v1, 1, v1
	v_add_nc_u32_e32 v9, s17, v9
	v_cmp_le_i32_e32 vcc_lo, s16, v1
	s_or_b32 s3, vcc_lo, s3
	s_andn2_b32 exec_lo, exec_lo, s3
	s_cbranch_execz .LBB75_24
.LBB75_8:                               ; =>This Loop Header: Depth=1
                                        ;     Child Loop BB75_12 Depth 2
                                        ;       Child Loop BB75_15 Depth 3
	v_mov_b32_e32 v10, 0
	s_andn2_b32 vcc_lo, exec_lo, s13
	s_cbranch_vccnz .LBB75_19
; %bb.9:                                ;   in Loop: Header=BB75_8 Depth=1
	v_mov_b32_e32 v10, 0
	v_mov_b32_e32 v11, v9
	s_mov_b32 s4, s8
	s_branch .LBB75_12
.LBB75_10:                              ;   in Loop: Header=BB75_12 Depth=2
	s_inst_prefetch 0x2
	s_or_b32 exec_lo, exec_lo, s26
.LBB75_11:                              ;   in Loop: Header=BB75_12 Depth=2
	s_or_b32 exec_lo, exec_lo, s25
	v_add_nc_u32_e32 v11, s24, v11
	s_add_i32 s4, s4, 1
	s_cmp_ge_i32 s4, s9
	s_cbranch_scc1 .LBB75_19
.LBB75_12:                              ;   Parent Loop BB75_8 Depth=1
                                        ; =>  This Loop Header: Depth=2
                                        ;       Child Loop BB75_15 Depth 3
	s_and_saveexec_b32 s25, s0
	s_cbranch_execz .LBB75_11
; %bb.13:                               ;   in Loop: Header=BB75_12 Depth=2
	s_ashr_i32 s5, s4, 31
	v_mov_b32_e32 v12, v0
	s_lshl_b64 s[26:27], s[4:5], 2
	s_add_u32 s26, s10, s26
	s_addc_u32 s27, s11, s27
	s_load_dword s5, s[26:27], 0x0
	s_mov_b32 s26, 0
	s_waitcnt lgkmcnt(0)
	s_sub_i32 s27, s5, s2
	s_mul_i32 s5, s4, s17
	s_mul_i32 s27, s27, s17
	s_inst_prefetch 0x1
	s_branch .LBB75_15
	.p2align	6
.LBB75_14:                              ;   in Loop: Header=BB75_15 Depth=3
	v_add_nc_u32_e32 v13, s27, v12
	v_ashrrev_i32_e32 v3, 31, v2
	v_add_nc_u32_e32 v12, 32, v12
	v_ashrrev_i32_e32 v14, 31, v13
	v_lshlrev_b64 v[2:3], 2, v[2:3]
	v_lshlrev_b64 v[13:14], 2, v[13:14]
	v_add_co_u32 v2, vcc_lo, s18, v2
	v_add_co_ci_u32_e64 v3, null, s19, v3, vcc_lo
	v_add_co_u32 v13, vcc_lo, s20, v13
	v_add_co_ci_u32_e64 v14, null, s21, v14, vcc_lo
	v_cmp_le_i32_e32 vcc_lo, s17, v12
	global_load_dword v2, v[2:3], off
	global_load_dword v3, v[13:14], off
	s_or_b32 s26, vcc_lo, s26
	s_waitcnt vmcnt(0)
	v_fmac_f32_e32 v10, v2, v3
	s_andn2_b32 exec_lo, exec_lo, s26
	s_cbranch_execz .LBB75_10
.LBB75_15:                              ;   Parent Loop BB75_8 Depth=1
                                        ;     Parent Loop BB75_12 Depth=2
                                        ; =>    This Inner Loop Header: Depth=3
	s_and_b32 vcc_lo, exec_lo, s15
	s_cbranch_vccz .LBB75_17
; %bb.16:                               ;   in Loop: Header=BB75_15 Depth=3
	v_add_nc_u32_e32 v2, s5, v12
	v_mad_u64_u32 v[2:3], null, v2, s16, v[1:2]
	s_cbranch_execnz .LBB75_14
	s_branch .LBB75_18
	.p2align	6
.LBB75_17:                              ;   in Loop: Header=BB75_15 Depth=3
                                        ; implicit-def: $vgpr2
.LBB75_18:                              ;   in Loop: Header=BB75_15 Depth=3
	v_add_nc_u32_e32 v2, v11, v12
	s_branch .LBB75_14
.LBB75_19:                              ;   in Loop: Header=BB75_8 Depth=1
	ds_bpermute_b32 v2, v4, v10
	s_waitcnt lgkmcnt(0)
	v_add_f32_e32 v2, v10, v2
	ds_bpermute_b32 v3, v5, v2
	s_waitcnt lgkmcnt(0)
	v_add_f32_e32 v2, v2, v3
	;; [unrolled: 3-line block ×4, first 2 shown]
	ds_bpermute_b32 v3, v8, v2
	s_and_saveexec_b32 s4, s1
	s_cbranch_execz .LBB75_7
; %bb.20:                               ;   in Loop: Header=BB75_8 Depth=1
	s_waitcnt lgkmcnt(0)
	v_add_f32_e32 v3, v2, v3
	v_add_nc_u32_e32 v2, s6, v1
	s_and_b32 vcc_lo, exec_lo, s7
	v_mul_f32_e32 v10, s12, v3
	v_ashrrev_i32_e32 v3, 31, v2
	s_cbranch_vccz .LBB75_22
; %bb.21:                               ;   in Loop: Header=BB75_8 Depth=1
	v_lshlrev_b64 v[11:12], 2, v[2:3]
	v_add_co_u32 v11, vcc_lo, s22, v11
	v_add_co_ci_u32_e64 v12, null, s23, v12, vcc_lo
	global_store_dword v[11:12], v10, off
	s_cbranch_execnz .LBB75_7
	s_branch .LBB75_23
.LBB75_22:                              ;   in Loop: Header=BB75_8 Depth=1
.LBB75_23:                              ;   in Loop: Header=BB75_8 Depth=1
	v_lshlrev_b64 v[2:3], 2, v[2:3]
	v_add_co_u32 v2, vcc_lo, s22, v2
	v_add_co_ci_u32_e64 v3, null, s23, v3, vcc_lo
	global_load_dword v11, v[2:3], off
	s_waitcnt vmcnt(0)
	v_fmac_f32_e32 v10, s14, v11
	global_store_dword v[2:3], v10, off
	s_branch .LBB75_7
.LBB75_24:
	s_endpgm
	.section	.rodata,"a",@progbits
	.p2align	6, 0x0
	.amdhsa_kernel _ZN9rocsparseL23gebsrmvn_general_kernelILj32ELj32EfEEvi20rocsparse_direction_NS_24const_host_device_scalarIT1_EEPKiS6_PKS3_iiS8_S4_PS3_21rocsparse_index_base_b
		.amdhsa_group_segment_fixed_size 0
		.amdhsa_private_segment_fixed_size 0
		.amdhsa_kernarg_size 80
		.amdhsa_user_sgpr_count 6
		.amdhsa_user_sgpr_private_segment_buffer 1
		.amdhsa_user_sgpr_dispatch_ptr 0
		.amdhsa_user_sgpr_queue_ptr 0
		.amdhsa_user_sgpr_kernarg_segment_ptr 1
		.amdhsa_user_sgpr_dispatch_id 0
		.amdhsa_user_sgpr_flat_scratch_init 0
		.amdhsa_user_sgpr_private_segment_size 0
		.amdhsa_wavefront_size32 1
		.amdhsa_uses_dynamic_stack 0
		.amdhsa_system_sgpr_private_segment_wavefront_offset 0
		.amdhsa_system_sgpr_workgroup_id_x 1
		.amdhsa_system_sgpr_workgroup_id_y 0
		.amdhsa_system_sgpr_workgroup_id_z 0
		.amdhsa_system_sgpr_workgroup_info 0
		.amdhsa_system_vgpr_workitem_id 0
		.amdhsa_next_free_vgpr 15
		.amdhsa_next_free_sgpr 28
		.amdhsa_reserve_vcc 1
		.amdhsa_reserve_flat_scratch 0
		.amdhsa_float_round_mode_32 0
		.amdhsa_float_round_mode_16_64 0
		.amdhsa_float_denorm_mode_32 3
		.amdhsa_float_denorm_mode_16_64 3
		.amdhsa_dx10_clamp 1
		.amdhsa_ieee_mode 1
		.amdhsa_fp16_overflow 0
		.amdhsa_workgroup_processor_mode 1
		.amdhsa_memory_ordered 1
		.amdhsa_forward_progress 1
		.amdhsa_shared_vgpr_count 0
		.amdhsa_exception_fp_ieee_invalid_op 0
		.amdhsa_exception_fp_denorm_src 0
		.amdhsa_exception_fp_ieee_div_zero 0
		.amdhsa_exception_fp_ieee_overflow 0
		.amdhsa_exception_fp_ieee_underflow 0
		.amdhsa_exception_fp_ieee_inexact 0
		.amdhsa_exception_int_div_zero 0
	.end_amdhsa_kernel
	.section	.text._ZN9rocsparseL23gebsrmvn_general_kernelILj32ELj32EfEEvi20rocsparse_direction_NS_24const_host_device_scalarIT1_EEPKiS6_PKS3_iiS8_S4_PS3_21rocsparse_index_base_b,"axG",@progbits,_ZN9rocsparseL23gebsrmvn_general_kernelILj32ELj32EfEEvi20rocsparse_direction_NS_24const_host_device_scalarIT1_EEPKiS6_PKS3_iiS8_S4_PS3_21rocsparse_index_base_b,comdat
.Lfunc_end75:
	.size	_ZN9rocsparseL23gebsrmvn_general_kernelILj32ELj32EfEEvi20rocsparse_direction_NS_24const_host_device_scalarIT1_EEPKiS6_PKS3_iiS8_S4_PS3_21rocsparse_index_base_b, .Lfunc_end75-_ZN9rocsparseL23gebsrmvn_general_kernelILj32ELj32EfEEvi20rocsparse_direction_NS_24const_host_device_scalarIT1_EEPKiS6_PKS3_iiS8_S4_PS3_21rocsparse_index_base_b
                                        ; -- End function
	.set _ZN9rocsparseL23gebsrmvn_general_kernelILj32ELj32EfEEvi20rocsparse_direction_NS_24const_host_device_scalarIT1_EEPKiS6_PKS3_iiS8_S4_PS3_21rocsparse_index_base_b.num_vgpr, 15
	.set _ZN9rocsparseL23gebsrmvn_general_kernelILj32ELj32EfEEvi20rocsparse_direction_NS_24const_host_device_scalarIT1_EEPKiS6_PKS3_iiS8_S4_PS3_21rocsparse_index_base_b.num_agpr, 0
	.set _ZN9rocsparseL23gebsrmvn_general_kernelILj32ELj32EfEEvi20rocsparse_direction_NS_24const_host_device_scalarIT1_EEPKiS6_PKS3_iiS8_S4_PS3_21rocsparse_index_base_b.numbered_sgpr, 28
	.set _ZN9rocsparseL23gebsrmvn_general_kernelILj32ELj32EfEEvi20rocsparse_direction_NS_24const_host_device_scalarIT1_EEPKiS6_PKS3_iiS8_S4_PS3_21rocsparse_index_base_b.num_named_barrier, 0
	.set _ZN9rocsparseL23gebsrmvn_general_kernelILj32ELj32EfEEvi20rocsparse_direction_NS_24const_host_device_scalarIT1_EEPKiS6_PKS3_iiS8_S4_PS3_21rocsparse_index_base_b.private_seg_size, 0
	.set _ZN9rocsparseL23gebsrmvn_general_kernelILj32ELj32EfEEvi20rocsparse_direction_NS_24const_host_device_scalarIT1_EEPKiS6_PKS3_iiS8_S4_PS3_21rocsparse_index_base_b.uses_vcc, 1
	.set _ZN9rocsparseL23gebsrmvn_general_kernelILj32ELj32EfEEvi20rocsparse_direction_NS_24const_host_device_scalarIT1_EEPKiS6_PKS3_iiS8_S4_PS3_21rocsparse_index_base_b.uses_flat_scratch, 0
	.set _ZN9rocsparseL23gebsrmvn_general_kernelILj32ELj32EfEEvi20rocsparse_direction_NS_24const_host_device_scalarIT1_EEPKiS6_PKS3_iiS8_S4_PS3_21rocsparse_index_base_b.has_dyn_sized_stack, 0
	.set _ZN9rocsparseL23gebsrmvn_general_kernelILj32ELj32EfEEvi20rocsparse_direction_NS_24const_host_device_scalarIT1_EEPKiS6_PKS3_iiS8_S4_PS3_21rocsparse_index_base_b.has_recursion, 0
	.set _ZN9rocsparseL23gebsrmvn_general_kernelILj32ELj32EfEEvi20rocsparse_direction_NS_24const_host_device_scalarIT1_EEPKiS6_PKS3_iiS8_S4_PS3_21rocsparse_index_base_b.has_indirect_call, 0
	.section	.AMDGPU.csdata,"",@progbits
; Kernel info:
; codeLenInByte = 980
; TotalNumSgprs: 30
; NumVgprs: 15
; ScratchSize: 0
; MemoryBound: 0
; FloatMode: 240
; IeeeMode: 1
; LDSByteSize: 0 bytes/workgroup (compile time only)
; SGPRBlocks: 0
; VGPRBlocks: 1
; NumSGPRsForWavesPerEU: 30
; NumVGPRsForWavesPerEU: 15
; Occupancy: 16
; WaveLimiterHint : 1
; COMPUTE_PGM_RSRC2:SCRATCH_EN: 0
; COMPUTE_PGM_RSRC2:USER_SGPR: 6
; COMPUTE_PGM_RSRC2:TRAP_HANDLER: 0
; COMPUTE_PGM_RSRC2:TGID_X_EN: 1
; COMPUTE_PGM_RSRC2:TGID_Y_EN: 0
; COMPUTE_PGM_RSRC2:TGID_Z_EN: 0
; COMPUTE_PGM_RSRC2:TIDIG_COMP_CNT: 0
	.section	.text._ZN9rocsparseL19gebsrmvn_1xn_kernelILj128ELj2ELj4EdEEvi20rocsparse_direction_NS_24const_host_device_scalarIT2_EEPKiS6_PKS3_S8_S4_PS3_21rocsparse_index_base_b,"axG",@progbits,_ZN9rocsparseL19gebsrmvn_1xn_kernelILj128ELj2ELj4EdEEvi20rocsparse_direction_NS_24const_host_device_scalarIT2_EEPKiS6_PKS3_S8_S4_PS3_21rocsparse_index_base_b,comdat
	.globl	_ZN9rocsparseL19gebsrmvn_1xn_kernelILj128ELj2ELj4EdEEvi20rocsparse_direction_NS_24const_host_device_scalarIT2_EEPKiS6_PKS3_S8_S4_PS3_21rocsparse_index_base_b ; -- Begin function _ZN9rocsparseL19gebsrmvn_1xn_kernelILj128ELj2ELj4EdEEvi20rocsparse_direction_NS_24const_host_device_scalarIT2_EEPKiS6_PKS3_S8_S4_PS3_21rocsparse_index_base_b
	.p2align	8
	.type	_ZN9rocsparseL19gebsrmvn_1xn_kernelILj128ELj2ELj4EdEEvi20rocsparse_direction_NS_24const_host_device_scalarIT2_EEPKiS6_PKS3_S8_S4_PS3_21rocsparse_index_base_b,@function
_ZN9rocsparseL19gebsrmvn_1xn_kernelILj128ELj2ELj4EdEEvi20rocsparse_direction_NS_24const_host_device_scalarIT2_EEPKiS6_PKS3_S8_S4_PS3_21rocsparse_index_base_b: ; @_ZN9rocsparseL19gebsrmvn_1xn_kernelILj128ELj2ELj4EdEEvi20rocsparse_direction_NS_24const_host_device_scalarIT2_EEPKiS6_PKS3_S8_S4_PS3_21rocsparse_index_base_b
; %bb.0:
	s_clause 0x2
	s_load_dwordx2 s[8:9], s[4:5], 0x40
	s_load_dwordx2 s[2:3], s[4:5], 0x8
	;; [unrolled: 1-line block ×3, first 2 shown]
	s_waitcnt lgkmcnt(0)
	s_bitcmp1_b32 s9, 0
	v_mov_b32_e32 v4, s3
	v_mov_b32_e32 v3, s2
	s_cselect_b32 s7, -1, 0
	s_and_b32 vcc_lo, exec_lo, s7
	s_xor_b32 s7, s7, -1
	s_cbranch_vccnz .LBB76_2
; %bb.1:
	v_mov_b32_e32 v1, s2
	v_mov_b32_e32 v2, s3
	flat_load_dwordx2 v[3:4], v[1:2]
.LBB76_2:
	v_mov_b32_e32 v2, s1
	v_mov_b32_e32 v1, s0
	s_andn2_b32 vcc_lo, exec_lo, s7
	s_cbranch_vccnz .LBB76_4
; %bb.3:
	v_mov_b32_e32 v2, s1
	v_mov_b32_e32 v1, s0
	flat_load_dwordx2 v[1:2], v[1:2]
.LBB76_4:
	s_waitcnt vmcnt(0) lgkmcnt(0)
	v_cmp_neq_f64_e32 vcc_lo, 0, v[3:4]
	v_cmp_neq_f64_e64 s0, 1.0, v[1:2]
	s_or_b32 s0, vcc_lo, s0
	s_and_saveexec_b32 s1, s0
	s_cbranch_execz .LBB76_15
; %bb.5:
	s_load_dword s0, s[4:5], 0x0
	v_lshrrev_b32_e32 v5, 2, v0
	v_lshl_or_b32 v5, s6, 5, v5
	s_waitcnt lgkmcnt(0)
	v_cmp_gt_i32_e32 vcc_lo, s0, v5
	s_and_b32 exec_lo, exec_lo, vcc_lo
	s_cbranch_execz .LBB76_15
; %bb.6:
	s_clause 0x1
	s_load_dwordx2 s[0:1], s[4:5], 0x10
	s_load_dwordx2 s[6:7], s[4:5], 0x38
	v_ashrrev_i32_e32 v6, 31, v5
	v_and_b32_e32 v0, 3, v0
	s_mov_b32 s9, exec_lo
	v_lshlrev_b64 v[7:8], 2, v[5:6]
	v_subrev_nc_u32_e32 v9, s8, v0
	s_waitcnt lgkmcnt(0)
	v_add_co_u32 v7, vcc_lo, s0, v7
	v_add_co_ci_u32_e64 v8, null, s1, v8, vcc_lo
	global_load_dwordx2 v[7:8], v[7:8], off
	s_waitcnt vmcnt(0)
	v_subrev_nc_u32_e32 v13, s8, v8
	v_add_nc_u32_e32 v9, v7, v9
	v_mov_b32_e32 v7, 0
	v_mov_b32_e32 v8, 0
	v_cmpx_lt_i32_e64 v9, v13
	s_cbranch_execz .LBB76_10
; %bb.7:
	s_clause 0x1
	s_load_dwordx4 s[0:3], s[4:5], 0x18
	s_load_dwordx2 s[4:5], s[4:5], 0x28
	v_mov_b32_e32 v7, 0
	v_lshlrev_b32_e32 v11, 1, v9
	v_mov_b32_e32 v8, 0
	v_mov_b32_e32 v12, 0
	s_mov_b32 s10, 0
	s_inst_prefetch 0x1
	.p2align	6
.LBB76_8:                               ; =>This Inner Loop Header: Depth=1
	v_ashrrev_i32_e32 v10, 31, v9
	v_mov_b32_e32 v17, v12
	v_lshlrev_b64 v[14:15], 2, v[9:10]
	v_add_nc_u32_e32 v9, 4, v9
	s_waitcnt lgkmcnt(0)
	v_add_co_u32 v14, vcc_lo, s0, v14
	v_add_co_ci_u32_e64 v15, null, s1, v15, vcc_lo
	global_load_dword v10, v[14:15], off
	v_lshlrev_b64 v[14:15], 3, v[11:12]
	v_add_nc_u32_e32 v11, 8, v11
	v_add_co_u32 v14, vcc_lo, s2, v14
	v_add_co_ci_u32_e64 v15, null, s3, v15, vcc_lo
	s_waitcnt vmcnt(0)
	v_subrev_nc_u32_e32 v10, s8, v10
	v_lshlrev_b32_e32 v16, 1, v10
	v_lshlrev_b64 v[16:17], 3, v[16:17]
	v_add_co_u32 v18, vcc_lo, s4, v16
	v_add_co_ci_u32_e64 v19, null, s5, v17, vcc_lo
	v_cmp_ge_i32_e32 vcc_lo, v9, v13
	global_load_dwordx4 v[14:17], v[14:15], off
	global_load_dwordx4 v[18:21], v[18:19], off
	s_or_b32 s10, vcc_lo, s10
	s_waitcnt vmcnt(0)
	v_fma_f64 v[7:8], v[14:15], v[18:19], v[7:8]
	v_fma_f64 v[7:8], v[16:17], v[20:21], v[7:8]
	s_andn2_b32 exec_lo, exec_lo, s10
	s_cbranch_execnz .LBB76_8
; %bb.9:
	s_inst_prefetch 0x2
	s_or_b32 exec_lo, exec_lo, s10
.LBB76_10:
	s_or_b32 exec_lo, exec_lo, s9
	v_mbcnt_lo_u32_b32 v11, -1, 0
	v_xor_b32_e32 v9, 2, v11
	v_cmp_gt_i32_e32 vcc_lo, 32, v9
	v_cndmask_b32_e32 v9, v11, v9, vcc_lo
	v_lshlrev_b32_e32 v10, 2, v9
	ds_bpermute_b32 v9, v10, v7
	ds_bpermute_b32 v10, v10, v8
	s_waitcnt lgkmcnt(0)
	v_add_f64 v[7:8], v[7:8], v[9:10]
	v_xor_b32_e32 v9, 1, v11
	v_cmp_gt_i32_e32 vcc_lo, 32, v9
	v_cndmask_b32_e32 v9, v11, v9, vcc_lo
	v_cmp_eq_u32_e32 vcc_lo, 3, v0
	v_lshlrev_b32_e32 v10, 2, v9
	ds_bpermute_b32 v9, v10, v7
	ds_bpermute_b32 v10, v10, v8
	s_and_b32 exec_lo, exec_lo, vcc_lo
	s_cbranch_execz .LBB76_15
; %bb.11:
	s_waitcnt lgkmcnt(0)
	v_add_f64 v[7:8], v[7:8], v[9:10]
	v_lshlrev_b64 v[5:6], 3, v[5:6]
	s_mov_b32 s0, exec_lo
	v_mul_f64 v[3:4], v[3:4], v[7:8]
	v_cmpx_eq_f64_e32 0, v[1:2]
	s_xor_b32 s0, exec_lo, s0
	s_cbranch_execz .LBB76_13
; %bb.12:
	v_add_co_u32 v0, vcc_lo, s6, v5
	v_add_co_ci_u32_e64 v1, null, s7, v6, vcc_lo
                                        ; implicit-def: $vgpr5_vgpr6
	global_store_dwordx2 v[0:1], v[3:4], off
                                        ; implicit-def: $vgpr1_vgpr2
                                        ; implicit-def: $vgpr3_vgpr4
.LBB76_13:
	s_andn2_saveexec_b32 s0, s0
	s_cbranch_execz .LBB76_15
; %bb.14:
	v_add_co_u32 v5, vcc_lo, s6, v5
	v_add_co_ci_u32_e64 v6, null, s7, v6, vcc_lo
	global_load_dwordx2 v[7:8], v[5:6], off
	s_waitcnt vmcnt(0)
	v_fma_f64 v[0:1], v[1:2], v[7:8], v[3:4]
	global_store_dwordx2 v[5:6], v[0:1], off
.LBB76_15:
	s_endpgm
	.section	.rodata,"a",@progbits
	.p2align	6, 0x0
	.amdhsa_kernel _ZN9rocsparseL19gebsrmvn_1xn_kernelILj128ELj2ELj4EdEEvi20rocsparse_direction_NS_24const_host_device_scalarIT2_EEPKiS6_PKS3_S8_S4_PS3_21rocsparse_index_base_b
		.amdhsa_group_segment_fixed_size 0
		.amdhsa_private_segment_fixed_size 0
		.amdhsa_kernarg_size 72
		.amdhsa_user_sgpr_count 6
		.amdhsa_user_sgpr_private_segment_buffer 1
		.amdhsa_user_sgpr_dispatch_ptr 0
		.amdhsa_user_sgpr_queue_ptr 0
		.amdhsa_user_sgpr_kernarg_segment_ptr 1
		.amdhsa_user_sgpr_dispatch_id 0
		.amdhsa_user_sgpr_flat_scratch_init 0
		.amdhsa_user_sgpr_private_segment_size 0
		.amdhsa_wavefront_size32 1
		.amdhsa_uses_dynamic_stack 0
		.amdhsa_system_sgpr_private_segment_wavefront_offset 0
		.amdhsa_system_sgpr_workgroup_id_x 1
		.amdhsa_system_sgpr_workgroup_id_y 0
		.amdhsa_system_sgpr_workgroup_id_z 0
		.amdhsa_system_sgpr_workgroup_info 0
		.amdhsa_system_vgpr_workitem_id 0
		.amdhsa_next_free_vgpr 22
		.amdhsa_next_free_sgpr 11
		.amdhsa_reserve_vcc 1
		.amdhsa_reserve_flat_scratch 0
		.amdhsa_float_round_mode_32 0
		.amdhsa_float_round_mode_16_64 0
		.amdhsa_float_denorm_mode_32 3
		.amdhsa_float_denorm_mode_16_64 3
		.amdhsa_dx10_clamp 1
		.amdhsa_ieee_mode 1
		.amdhsa_fp16_overflow 0
		.amdhsa_workgroup_processor_mode 1
		.amdhsa_memory_ordered 1
		.amdhsa_forward_progress 1
		.amdhsa_shared_vgpr_count 0
		.amdhsa_exception_fp_ieee_invalid_op 0
		.amdhsa_exception_fp_denorm_src 0
		.amdhsa_exception_fp_ieee_div_zero 0
		.amdhsa_exception_fp_ieee_overflow 0
		.amdhsa_exception_fp_ieee_underflow 0
		.amdhsa_exception_fp_ieee_inexact 0
		.amdhsa_exception_int_div_zero 0
	.end_amdhsa_kernel
	.section	.text._ZN9rocsparseL19gebsrmvn_1xn_kernelILj128ELj2ELj4EdEEvi20rocsparse_direction_NS_24const_host_device_scalarIT2_EEPKiS6_PKS3_S8_S4_PS3_21rocsparse_index_base_b,"axG",@progbits,_ZN9rocsparseL19gebsrmvn_1xn_kernelILj128ELj2ELj4EdEEvi20rocsparse_direction_NS_24const_host_device_scalarIT2_EEPKiS6_PKS3_S8_S4_PS3_21rocsparse_index_base_b,comdat
.Lfunc_end76:
	.size	_ZN9rocsparseL19gebsrmvn_1xn_kernelILj128ELj2ELj4EdEEvi20rocsparse_direction_NS_24const_host_device_scalarIT2_EEPKiS6_PKS3_S8_S4_PS3_21rocsparse_index_base_b, .Lfunc_end76-_ZN9rocsparseL19gebsrmvn_1xn_kernelILj128ELj2ELj4EdEEvi20rocsparse_direction_NS_24const_host_device_scalarIT2_EEPKiS6_PKS3_S8_S4_PS3_21rocsparse_index_base_b
                                        ; -- End function
	.set _ZN9rocsparseL19gebsrmvn_1xn_kernelILj128ELj2ELj4EdEEvi20rocsparse_direction_NS_24const_host_device_scalarIT2_EEPKiS6_PKS3_S8_S4_PS3_21rocsparse_index_base_b.num_vgpr, 22
	.set _ZN9rocsparseL19gebsrmvn_1xn_kernelILj128ELj2ELj4EdEEvi20rocsparse_direction_NS_24const_host_device_scalarIT2_EEPKiS6_PKS3_S8_S4_PS3_21rocsparse_index_base_b.num_agpr, 0
	.set _ZN9rocsparseL19gebsrmvn_1xn_kernelILj128ELj2ELj4EdEEvi20rocsparse_direction_NS_24const_host_device_scalarIT2_EEPKiS6_PKS3_S8_S4_PS3_21rocsparse_index_base_b.numbered_sgpr, 11
	.set _ZN9rocsparseL19gebsrmvn_1xn_kernelILj128ELj2ELj4EdEEvi20rocsparse_direction_NS_24const_host_device_scalarIT2_EEPKiS6_PKS3_S8_S4_PS3_21rocsparse_index_base_b.num_named_barrier, 0
	.set _ZN9rocsparseL19gebsrmvn_1xn_kernelILj128ELj2ELj4EdEEvi20rocsparse_direction_NS_24const_host_device_scalarIT2_EEPKiS6_PKS3_S8_S4_PS3_21rocsparse_index_base_b.private_seg_size, 0
	.set _ZN9rocsparseL19gebsrmvn_1xn_kernelILj128ELj2ELj4EdEEvi20rocsparse_direction_NS_24const_host_device_scalarIT2_EEPKiS6_PKS3_S8_S4_PS3_21rocsparse_index_base_b.uses_vcc, 1
	.set _ZN9rocsparseL19gebsrmvn_1xn_kernelILj128ELj2ELj4EdEEvi20rocsparse_direction_NS_24const_host_device_scalarIT2_EEPKiS6_PKS3_S8_S4_PS3_21rocsparse_index_base_b.uses_flat_scratch, 0
	.set _ZN9rocsparseL19gebsrmvn_1xn_kernelILj128ELj2ELj4EdEEvi20rocsparse_direction_NS_24const_host_device_scalarIT2_EEPKiS6_PKS3_S8_S4_PS3_21rocsparse_index_base_b.has_dyn_sized_stack, 0
	.set _ZN9rocsparseL19gebsrmvn_1xn_kernelILj128ELj2ELj4EdEEvi20rocsparse_direction_NS_24const_host_device_scalarIT2_EEPKiS6_PKS3_S8_S4_PS3_21rocsparse_index_base_b.has_recursion, 0
	.set _ZN9rocsparseL19gebsrmvn_1xn_kernelILj128ELj2ELj4EdEEvi20rocsparse_direction_NS_24const_host_device_scalarIT2_EEPKiS6_PKS3_S8_S4_PS3_21rocsparse_index_base_b.has_indirect_call, 0
	.section	.AMDGPU.csdata,"",@progbits
; Kernel info:
; codeLenInByte = 716
; TotalNumSgprs: 13
; NumVgprs: 22
; ScratchSize: 0
; MemoryBound: 0
; FloatMode: 240
; IeeeMode: 1
; LDSByteSize: 0 bytes/workgroup (compile time only)
; SGPRBlocks: 0
; VGPRBlocks: 2
; NumSGPRsForWavesPerEU: 13
; NumVGPRsForWavesPerEU: 22
; Occupancy: 16
; WaveLimiterHint : 1
; COMPUTE_PGM_RSRC2:SCRATCH_EN: 0
; COMPUTE_PGM_RSRC2:USER_SGPR: 6
; COMPUTE_PGM_RSRC2:TRAP_HANDLER: 0
; COMPUTE_PGM_RSRC2:TGID_X_EN: 1
; COMPUTE_PGM_RSRC2:TGID_Y_EN: 0
; COMPUTE_PGM_RSRC2:TGID_Z_EN: 0
; COMPUTE_PGM_RSRC2:TIDIG_COMP_CNT: 0
	.section	.text._ZN9rocsparseL19gebsrmvn_1xn_kernelILj128ELj2ELj8EdEEvi20rocsparse_direction_NS_24const_host_device_scalarIT2_EEPKiS6_PKS3_S8_S4_PS3_21rocsparse_index_base_b,"axG",@progbits,_ZN9rocsparseL19gebsrmvn_1xn_kernelILj128ELj2ELj8EdEEvi20rocsparse_direction_NS_24const_host_device_scalarIT2_EEPKiS6_PKS3_S8_S4_PS3_21rocsparse_index_base_b,comdat
	.globl	_ZN9rocsparseL19gebsrmvn_1xn_kernelILj128ELj2ELj8EdEEvi20rocsparse_direction_NS_24const_host_device_scalarIT2_EEPKiS6_PKS3_S8_S4_PS3_21rocsparse_index_base_b ; -- Begin function _ZN9rocsparseL19gebsrmvn_1xn_kernelILj128ELj2ELj8EdEEvi20rocsparse_direction_NS_24const_host_device_scalarIT2_EEPKiS6_PKS3_S8_S4_PS3_21rocsparse_index_base_b
	.p2align	8
	.type	_ZN9rocsparseL19gebsrmvn_1xn_kernelILj128ELj2ELj8EdEEvi20rocsparse_direction_NS_24const_host_device_scalarIT2_EEPKiS6_PKS3_S8_S4_PS3_21rocsparse_index_base_b,@function
_ZN9rocsparseL19gebsrmvn_1xn_kernelILj128ELj2ELj8EdEEvi20rocsparse_direction_NS_24const_host_device_scalarIT2_EEPKiS6_PKS3_S8_S4_PS3_21rocsparse_index_base_b: ; @_ZN9rocsparseL19gebsrmvn_1xn_kernelILj128ELj2ELj8EdEEvi20rocsparse_direction_NS_24const_host_device_scalarIT2_EEPKiS6_PKS3_S8_S4_PS3_21rocsparse_index_base_b
; %bb.0:
	s_clause 0x2
	s_load_dwordx2 s[8:9], s[4:5], 0x40
	s_load_dwordx2 s[2:3], s[4:5], 0x8
	;; [unrolled: 1-line block ×3, first 2 shown]
	s_waitcnt lgkmcnt(0)
	s_bitcmp1_b32 s9, 0
	v_mov_b32_e32 v4, s3
	v_mov_b32_e32 v3, s2
	s_cselect_b32 s7, -1, 0
	s_and_b32 vcc_lo, exec_lo, s7
	s_xor_b32 s7, s7, -1
	s_cbranch_vccnz .LBB77_2
; %bb.1:
	v_mov_b32_e32 v1, s2
	v_mov_b32_e32 v2, s3
	flat_load_dwordx2 v[3:4], v[1:2]
.LBB77_2:
	v_mov_b32_e32 v2, s1
	v_mov_b32_e32 v1, s0
	s_andn2_b32 vcc_lo, exec_lo, s7
	s_cbranch_vccnz .LBB77_4
; %bb.3:
	v_mov_b32_e32 v2, s1
	v_mov_b32_e32 v1, s0
	flat_load_dwordx2 v[1:2], v[1:2]
.LBB77_4:
	s_waitcnt vmcnt(0) lgkmcnt(0)
	v_cmp_neq_f64_e32 vcc_lo, 0, v[3:4]
	v_cmp_neq_f64_e64 s0, 1.0, v[1:2]
	s_or_b32 s0, vcc_lo, s0
	s_and_saveexec_b32 s1, s0
	s_cbranch_execz .LBB77_15
; %bb.5:
	s_load_dword s0, s[4:5], 0x0
	v_lshrrev_b32_e32 v5, 3, v0
	v_lshl_or_b32 v5, s6, 4, v5
	s_waitcnt lgkmcnt(0)
	v_cmp_gt_i32_e32 vcc_lo, s0, v5
	s_and_b32 exec_lo, exec_lo, vcc_lo
	s_cbranch_execz .LBB77_15
; %bb.6:
	s_clause 0x1
	s_load_dwordx2 s[0:1], s[4:5], 0x10
	s_load_dwordx2 s[6:7], s[4:5], 0x38
	v_ashrrev_i32_e32 v6, 31, v5
	v_and_b32_e32 v0, 7, v0
	s_mov_b32 s9, exec_lo
	v_lshlrev_b64 v[7:8], 2, v[5:6]
	v_subrev_nc_u32_e32 v9, s8, v0
	s_waitcnt lgkmcnt(0)
	v_add_co_u32 v7, vcc_lo, s0, v7
	v_add_co_ci_u32_e64 v8, null, s1, v8, vcc_lo
	global_load_dwordx2 v[7:8], v[7:8], off
	s_waitcnt vmcnt(0)
	v_subrev_nc_u32_e32 v13, s8, v8
	v_add_nc_u32_e32 v9, v7, v9
	v_mov_b32_e32 v7, 0
	v_mov_b32_e32 v8, 0
	v_cmpx_lt_i32_e64 v9, v13
	s_cbranch_execz .LBB77_10
; %bb.7:
	s_clause 0x1
	s_load_dwordx4 s[0:3], s[4:5], 0x18
	s_load_dwordx2 s[4:5], s[4:5], 0x28
	v_mov_b32_e32 v7, 0
	v_lshlrev_b32_e32 v11, 1, v9
	v_mov_b32_e32 v8, 0
	v_mov_b32_e32 v12, 0
	s_mov_b32 s10, 0
	s_inst_prefetch 0x1
	.p2align	6
.LBB77_8:                               ; =>This Inner Loop Header: Depth=1
	v_ashrrev_i32_e32 v10, 31, v9
	v_mov_b32_e32 v17, v12
	v_lshlrev_b64 v[14:15], 2, v[9:10]
	v_add_nc_u32_e32 v9, 8, v9
	s_waitcnt lgkmcnt(0)
	v_add_co_u32 v14, vcc_lo, s0, v14
	v_add_co_ci_u32_e64 v15, null, s1, v15, vcc_lo
	global_load_dword v10, v[14:15], off
	v_lshlrev_b64 v[14:15], 3, v[11:12]
	v_add_nc_u32_e32 v11, 16, v11
	v_add_co_u32 v14, vcc_lo, s2, v14
	v_add_co_ci_u32_e64 v15, null, s3, v15, vcc_lo
	s_waitcnt vmcnt(0)
	v_subrev_nc_u32_e32 v10, s8, v10
	v_lshlrev_b32_e32 v16, 1, v10
	v_lshlrev_b64 v[16:17], 3, v[16:17]
	v_add_co_u32 v18, vcc_lo, s4, v16
	v_add_co_ci_u32_e64 v19, null, s5, v17, vcc_lo
	v_cmp_ge_i32_e32 vcc_lo, v9, v13
	global_load_dwordx4 v[14:17], v[14:15], off
	global_load_dwordx4 v[18:21], v[18:19], off
	s_or_b32 s10, vcc_lo, s10
	s_waitcnt vmcnt(0)
	v_fma_f64 v[7:8], v[14:15], v[18:19], v[7:8]
	v_fma_f64 v[7:8], v[16:17], v[20:21], v[7:8]
	s_andn2_b32 exec_lo, exec_lo, s10
	s_cbranch_execnz .LBB77_8
; %bb.9:
	s_inst_prefetch 0x2
	s_or_b32 exec_lo, exec_lo, s10
.LBB77_10:
	s_or_b32 exec_lo, exec_lo, s9
	v_mbcnt_lo_u32_b32 v11, -1, 0
	v_xor_b32_e32 v9, 4, v11
	v_cmp_gt_i32_e32 vcc_lo, 32, v9
	v_cndmask_b32_e32 v9, v11, v9, vcc_lo
	v_lshlrev_b32_e32 v10, 2, v9
	ds_bpermute_b32 v9, v10, v7
	ds_bpermute_b32 v10, v10, v8
	s_waitcnt lgkmcnt(0)
	v_add_f64 v[7:8], v[7:8], v[9:10]
	v_xor_b32_e32 v9, 2, v11
	v_cmp_gt_i32_e32 vcc_lo, 32, v9
	v_cndmask_b32_e32 v9, v11, v9, vcc_lo
	v_lshlrev_b32_e32 v10, 2, v9
	ds_bpermute_b32 v9, v10, v7
	ds_bpermute_b32 v10, v10, v8
	s_waitcnt lgkmcnt(0)
	v_add_f64 v[7:8], v[7:8], v[9:10]
	v_xor_b32_e32 v9, 1, v11
	v_cmp_gt_i32_e32 vcc_lo, 32, v9
	v_cndmask_b32_e32 v9, v11, v9, vcc_lo
	v_cmp_eq_u32_e32 vcc_lo, 7, v0
	v_lshlrev_b32_e32 v10, 2, v9
	ds_bpermute_b32 v9, v10, v7
	ds_bpermute_b32 v10, v10, v8
	s_and_b32 exec_lo, exec_lo, vcc_lo
	s_cbranch_execz .LBB77_15
; %bb.11:
	s_waitcnt lgkmcnt(0)
	v_add_f64 v[7:8], v[7:8], v[9:10]
	v_lshlrev_b64 v[5:6], 3, v[5:6]
	s_mov_b32 s0, exec_lo
	v_mul_f64 v[3:4], v[3:4], v[7:8]
	v_cmpx_eq_f64_e32 0, v[1:2]
	s_xor_b32 s0, exec_lo, s0
	s_cbranch_execz .LBB77_13
; %bb.12:
	v_add_co_u32 v0, vcc_lo, s6, v5
	v_add_co_ci_u32_e64 v1, null, s7, v6, vcc_lo
                                        ; implicit-def: $vgpr5_vgpr6
	global_store_dwordx2 v[0:1], v[3:4], off
                                        ; implicit-def: $vgpr1_vgpr2
                                        ; implicit-def: $vgpr3_vgpr4
.LBB77_13:
	s_andn2_saveexec_b32 s0, s0
	s_cbranch_execz .LBB77_15
; %bb.14:
	v_add_co_u32 v5, vcc_lo, s6, v5
	v_add_co_ci_u32_e64 v6, null, s7, v6, vcc_lo
	global_load_dwordx2 v[7:8], v[5:6], off
	s_waitcnt vmcnt(0)
	v_fma_f64 v[0:1], v[1:2], v[7:8], v[3:4]
	global_store_dwordx2 v[5:6], v[0:1], off
.LBB77_15:
	s_endpgm
	.section	.rodata,"a",@progbits
	.p2align	6, 0x0
	.amdhsa_kernel _ZN9rocsparseL19gebsrmvn_1xn_kernelILj128ELj2ELj8EdEEvi20rocsparse_direction_NS_24const_host_device_scalarIT2_EEPKiS6_PKS3_S8_S4_PS3_21rocsparse_index_base_b
		.amdhsa_group_segment_fixed_size 0
		.amdhsa_private_segment_fixed_size 0
		.amdhsa_kernarg_size 72
		.amdhsa_user_sgpr_count 6
		.amdhsa_user_sgpr_private_segment_buffer 1
		.amdhsa_user_sgpr_dispatch_ptr 0
		.amdhsa_user_sgpr_queue_ptr 0
		.amdhsa_user_sgpr_kernarg_segment_ptr 1
		.amdhsa_user_sgpr_dispatch_id 0
		.amdhsa_user_sgpr_flat_scratch_init 0
		.amdhsa_user_sgpr_private_segment_size 0
		.amdhsa_wavefront_size32 1
		.amdhsa_uses_dynamic_stack 0
		.amdhsa_system_sgpr_private_segment_wavefront_offset 0
		.amdhsa_system_sgpr_workgroup_id_x 1
		.amdhsa_system_sgpr_workgroup_id_y 0
		.amdhsa_system_sgpr_workgroup_id_z 0
		.amdhsa_system_sgpr_workgroup_info 0
		.amdhsa_system_vgpr_workitem_id 0
		.amdhsa_next_free_vgpr 22
		.amdhsa_next_free_sgpr 11
		.amdhsa_reserve_vcc 1
		.amdhsa_reserve_flat_scratch 0
		.amdhsa_float_round_mode_32 0
		.amdhsa_float_round_mode_16_64 0
		.amdhsa_float_denorm_mode_32 3
		.amdhsa_float_denorm_mode_16_64 3
		.amdhsa_dx10_clamp 1
		.amdhsa_ieee_mode 1
		.amdhsa_fp16_overflow 0
		.amdhsa_workgroup_processor_mode 1
		.amdhsa_memory_ordered 1
		.amdhsa_forward_progress 1
		.amdhsa_shared_vgpr_count 0
		.amdhsa_exception_fp_ieee_invalid_op 0
		.amdhsa_exception_fp_denorm_src 0
		.amdhsa_exception_fp_ieee_div_zero 0
		.amdhsa_exception_fp_ieee_overflow 0
		.amdhsa_exception_fp_ieee_underflow 0
		.amdhsa_exception_fp_ieee_inexact 0
		.amdhsa_exception_int_div_zero 0
	.end_amdhsa_kernel
	.section	.text._ZN9rocsparseL19gebsrmvn_1xn_kernelILj128ELj2ELj8EdEEvi20rocsparse_direction_NS_24const_host_device_scalarIT2_EEPKiS6_PKS3_S8_S4_PS3_21rocsparse_index_base_b,"axG",@progbits,_ZN9rocsparseL19gebsrmvn_1xn_kernelILj128ELj2ELj8EdEEvi20rocsparse_direction_NS_24const_host_device_scalarIT2_EEPKiS6_PKS3_S8_S4_PS3_21rocsparse_index_base_b,comdat
.Lfunc_end77:
	.size	_ZN9rocsparseL19gebsrmvn_1xn_kernelILj128ELj2ELj8EdEEvi20rocsparse_direction_NS_24const_host_device_scalarIT2_EEPKiS6_PKS3_S8_S4_PS3_21rocsparse_index_base_b, .Lfunc_end77-_ZN9rocsparseL19gebsrmvn_1xn_kernelILj128ELj2ELj8EdEEvi20rocsparse_direction_NS_24const_host_device_scalarIT2_EEPKiS6_PKS3_S8_S4_PS3_21rocsparse_index_base_b
                                        ; -- End function
	.set _ZN9rocsparseL19gebsrmvn_1xn_kernelILj128ELj2ELj8EdEEvi20rocsparse_direction_NS_24const_host_device_scalarIT2_EEPKiS6_PKS3_S8_S4_PS3_21rocsparse_index_base_b.num_vgpr, 22
	.set _ZN9rocsparseL19gebsrmvn_1xn_kernelILj128ELj2ELj8EdEEvi20rocsparse_direction_NS_24const_host_device_scalarIT2_EEPKiS6_PKS3_S8_S4_PS3_21rocsparse_index_base_b.num_agpr, 0
	.set _ZN9rocsparseL19gebsrmvn_1xn_kernelILj128ELj2ELj8EdEEvi20rocsparse_direction_NS_24const_host_device_scalarIT2_EEPKiS6_PKS3_S8_S4_PS3_21rocsparse_index_base_b.numbered_sgpr, 11
	.set _ZN9rocsparseL19gebsrmvn_1xn_kernelILj128ELj2ELj8EdEEvi20rocsparse_direction_NS_24const_host_device_scalarIT2_EEPKiS6_PKS3_S8_S4_PS3_21rocsparse_index_base_b.num_named_barrier, 0
	.set _ZN9rocsparseL19gebsrmvn_1xn_kernelILj128ELj2ELj8EdEEvi20rocsparse_direction_NS_24const_host_device_scalarIT2_EEPKiS6_PKS3_S8_S4_PS3_21rocsparse_index_base_b.private_seg_size, 0
	.set _ZN9rocsparseL19gebsrmvn_1xn_kernelILj128ELj2ELj8EdEEvi20rocsparse_direction_NS_24const_host_device_scalarIT2_EEPKiS6_PKS3_S8_S4_PS3_21rocsparse_index_base_b.uses_vcc, 1
	.set _ZN9rocsparseL19gebsrmvn_1xn_kernelILj128ELj2ELj8EdEEvi20rocsparse_direction_NS_24const_host_device_scalarIT2_EEPKiS6_PKS3_S8_S4_PS3_21rocsparse_index_base_b.uses_flat_scratch, 0
	.set _ZN9rocsparseL19gebsrmvn_1xn_kernelILj128ELj2ELj8EdEEvi20rocsparse_direction_NS_24const_host_device_scalarIT2_EEPKiS6_PKS3_S8_S4_PS3_21rocsparse_index_base_b.has_dyn_sized_stack, 0
	.set _ZN9rocsparseL19gebsrmvn_1xn_kernelILj128ELj2ELj8EdEEvi20rocsparse_direction_NS_24const_host_device_scalarIT2_EEPKiS6_PKS3_S8_S4_PS3_21rocsparse_index_base_b.has_recursion, 0
	.set _ZN9rocsparseL19gebsrmvn_1xn_kernelILj128ELj2ELj8EdEEvi20rocsparse_direction_NS_24const_host_device_scalarIT2_EEPKiS6_PKS3_S8_S4_PS3_21rocsparse_index_base_b.has_indirect_call, 0
	.section	.AMDGPU.csdata,"",@progbits
; Kernel info:
; codeLenInByte = 760
; TotalNumSgprs: 13
; NumVgprs: 22
; ScratchSize: 0
; MemoryBound: 0
; FloatMode: 240
; IeeeMode: 1
; LDSByteSize: 0 bytes/workgroup (compile time only)
; SGPRBlocks: 0
; VGPRBlocks: 2
; NumSGPRsForWavesPerEU: 13
; NumVGPRsForWavesPerEU: 22
; Occupancy: 16
; WaveLimiterHint : 1
; COMPUTE_PGM_RSRC2:SCRATCH_EN: 0
; COMPUTE_PGM_RSRC2:USER_SGPR: 6
; COMPUTE_PGM_RSRC2:TRAP_HANDLER: 0
; COMPUTE_PGM_RSRC2:TGID_X_EN: 1
; COMPUTE_PGM_RSRC2:TGID_Y_EN: 0
; COMPUTE_PGM_RSRC2:TGID_Z_EN: 0
; COMPUTE_PGM_RSRC2:TIDIG_COMP_CNT: 0
	.section	.text._ZN9rocsparseL19gebsrmvn_1xn_kernelILj128ELj2ELj16EdEEvi20rocsparse_direction_NS_24const_host_device_scalarIT2_EEPKiS6_PKS3_S8_S4_PS3_21rocsparse_index_base_b,"axG",@progbits,_ZN9rocsparseL19gebsrmvn_1xn_kernelILj128ELj2ELj16EdEEvi20rocsparse_direction_NS_24const_host_device_scalarIT2_EEPKiS6_PKS3_S8_S4_PS3_21rocsparse_index_base_b,comdat
	.globl	_ZN9rocsparseL19gebsrmvn_1xn_kernelILj128ELj2ELj16EdEEvi20rocsparse_direction_NS_24const_host_device_scalarIT2_EEPKiS6_PKS3_S8_S4_PS3_21rocsparse_index_base_b ; -- Begin function _ZN9rocsparseL19gebsrmvn_1xn_kernelILj128ELj2ELj16EdEEvi20rocsparse_direction_NS_24const_host_device_scalarIT2_EEPKiS6_PKS3_S8_S4_PS3_21rocsparse_index_base_b
	.p2align	8
	.type	_ZN9rocsparseL19gebsrmvn_1xn_kernelILj128ELj2ELj16EdEEvi20rocsparse_direction_NS_24const_host_device_scalarIT2_EEPKiS6_PKS3_S8_S4_PS3_21rocsparse_index_base_b,@function
_ZN9rocsparseL19gebsrmvn_1xn_kernelILj128ELj2ELj16EdEEvi20rocsparse_direction_NS_24const_host_device_scalarIT2_EEPKiS6_PKS3_S8_S4_PS3_21rocsparse_index_base_b: ; @_ZN9rocsparseL19gebsrmvn_1xn_kernelILj128ELj2ELj16EdEEvi20rocsparse_direction_NS_24const_host_device_scalarIT2_EEPKiS6_PKS3_S8_S4_PS3_21rocsparse_index_base_b
; %bb.0:
	s_clause 0x2
	s_load_dwordx2 s[8:9], s[4:5], 0x40
	s_load_dwordx2 s[2:3], s[4:5], 0x8
	;; [unrolled: 1-line block ×3, first 2 shown]
	s_waitcnt lgkmcnt(0)
	s_bitcmp1_b32 s9, 0
	v_mov_b32_e32 v4, s3
	v_mov_b32_e32 v3, s2
	s_cselect_b32 s7, -1, 0
	s_and_b32 vcc_lo, exec_lo, s7
	s_xor_b32 s7, s7, -1
	s_cbranch_vccnz .LBB78_2
; %bb.1:
	v_mov_b32_e32 v1, s2
	v_mov_b32_e32 v2, s3
	flat_load_dwordx2 v[3:4], v[1:2]
.LBB78_2:
	v_mov_b32_e32 v2, s1
	v_mov_b32_e32 v1, s0
	s_andn2_b32 vcc_lo, exec_lo, s7
	s_cbranch_vccnz .LBB78_4
; %bb.3:
	v_mov_b32_e32 v2, s1
	v_mov_b32_e32 v1, s0
	flat_load_dwordx2 v[1:2], v[1:2]
.LBB78_4:
	s_waitcnt vmcnt(0) lgkmcnt(0)
	v_cmp_neq_f64_e32 vcc_lo, 0, v[3:4]
	v_cmp_neq_f64_e64 s0, 1.0, v[1:2]
	s_or_b32 s0, vcc_lo, s0
	s_and_saveexec_b32 s1, s0
	s_cbranch_execz .LBB78_15
; %bb.5:
	s_load_dword s0, s[4:5], 0x0
	v_lshrrev_b32_e32 v5, 4, v0
	v_lshl_or_b32 v5, s6, 3, v5
	s_waitcnt lgkmcnt(0)
	v_cmp_gt_i32_e32 vcc_lo, s0, v5
	s_and_b32 exec_lo, exec_lo, vcc_lo
	s_cbranch_execz .LBB78_15
; %bb.6:
	s_clause 0x1
	s_load_dwordx2 s[0:1], s[4:5], 0x10
	s_load_dwordx2 s[6:7], s[4:5], 0x38
	v_ashrrev_i32_e32 v6, 31, v5
	v_and_b32_e32 v0, 15, v0
	s_mov_b32 s9, exec_lo
	v_lshlrev_b64 v[7:8], 2, v[5:6]
	v_subrev_nc_u32_e32 v9, s8, v0
	s_waitcnt lgkmcnt(0)
	v_add_co_u32 v7, vcc_lo, s0, v7
	v_add_co_ci_u32_e64 v8, null, s1, v8, vcc_lo
	global_load_dwordx2 v[7:8], v[7:8], off
	s_waitcnt vmcnt(0)
	v_subrev_nc_u32_e32 v13, s8, v8
	v_add_nc_u32_e32 v9, v7, v9
	v_mov_b32_e32 v7, 0
	v_mov_b32_e32 v8, 0
	v_cmpx_lt_i32_e64 v9, v13
	s_cbranch_execz .LBB78_10
; %bb.7:
	s_clause 0x1
	s_load_dwordx4 s[0:3], s[4:5], 0x18
	s_load_dwordx2 s[4:5], s[4:5], 0x28
	v_mov_b32_e32 v7, 0
	v_lshlrev_b32_e32 v11, 1, v9
	v_mov_b32_e32 v8, 0
	v_mov_b32_e32 v12, 0
	s_mov_b32 s10, 0
	s_inst_prefetch 0x1
	.p2align	6
.LBB78_8:                               ; =>This Inner Loop Header: Depth=1
	v_ashrrev_i32_e32 v10, 31, v9
	v_mov_b32_e32 v17, v12
	v_lshlrev_b64 v[14:15], 2, v[9:10]
	v_add_nc_u32_e32 v9, 16, v9
	s_waitcnt lgkmcnt(0)
	v_add_co_u32 v14, vcc_lo, s0, v14
	v_add_co_ci_u32_e64 v15, null, s1, v15, vcc_lo
	global_load_dword v10, v[14:15], off
	v_lshlrev_b64 v[14:15], 3, v[11:12]
	v_add_nc_u32_e32 v11, 32, v11
	v_add_co_u32 v14, vcc_lo, s2, v14
	v_add_co_ci_u32_e64 v15, null, s3, v15, vcc_lo
	s_waitcnt vmcnt(0)
	v_subrev_nc_u32_e32 v10, s8, v10
	v_lshlrev_b32_e32 v16, 1, v10
	v_lshlrev_b64 v[16:17], 3, v[16:17]
	v_add_co_u32 v18, vcc_lo, s4, v16
	v_add_co_ci_u32_e64 v19, null, s5, v17, vcc_lo
	v_cmp_ge_i32_e32 vcc_lo, v9, v13
	global_load_dwordx4 v[14:17], v[14:15], off
	global_load_dwordx4 v[18:21], v[18:19], off
	s_or_b32 s10, vcc_lo, s10
	s_waitcnt vmcnt(0)
	v_fma_f64 v[7:8], v[14:15], v[18:19], v[7:8]
	v_fma_f64 v[7:8], v[16:17], v[20:21], v[7:8]
	s_andn2_b32 exec_lo, exec_lo, s10
	s_cbranch_execnz .LBB78_8
; %bb.9:
	s_inst_prefetch 0x2
	s_or_b32 exec_lo, exec_lo, s10
.LBB78_10:
	s_or_b32 exec_lo, exec_lo, s9
	v_mbcnt_lo_u32_b32 v11, -1, 0
	v_xor_b32_e32 v9, 8, v11
	v_cmp_gt_i32_e32 vcc_lo, 32, v9
	v_cndmask_b32_e32 v9, v11, v9, vcc_lo
	v_lshlrev_b32_e32 v10, 2, v9
	ds_bpermute_b32 v9, v10, v7
	ds_bpermute_b32 v10, v10, v8
	s_waitcnt lgkmcnt(0)
	v_add_f64 v[7:8], v[7:8], v[9:10]
	v_xor_b32_e32 v9, 4, v11
	v_cmp_gt_i32_e32 vcc_lo, 32, v9
	v_cndmask_b32_e32 v9, v11, v9, vcc_lo
	v_lshlrev_b32_e32 v10, 2, v9
	ds_bpermute_b32 v9, v10, v7
	ds_bpermute_b32 v10, v10, v8
	s_waitcnt lgkmcnt(0)
	v_add_f64 v[7:8], v[7:8], v[9:10]
	;; [unrolled: 8-line block ×3, first 2 shown]
	v_xor_b32_e32 v9, 1, v11
	v_cmp_gt_i32_e32 vcc_lo, 32, v9
	v_cndmask_b32_e32 v9, v11, v9, vcc_lo
	v_cmp_eq_u32_e32 vcc_lo, 15, v0
	v_lshlrev_b32_e32 v10, 2, v9
	ds_bpermute_b32 v9, v10, v7
	ds_bpermute_b32 v10, v10, v8
	s_and_b32 exec_lo, exec_lo, vcc_lo
	s_cbranch_execz .LBB78_15
; %bb.11:
	s_waitcnt lgkmcnt(0)
	v_add_f64 v[7:8], v[7:8], v[9:10]
	v_lshlrev_b64 v[5:6], 3, v[5:6]
	s_mov_b32 s0, exec_lo
	v_mul_f64 v[3:4], v[3:4], v[7:8]
	v_cmpx_eq_f64_e32 0, v[1:2]
	s_xor_b32 s0, exec_lo, s0
	s_cbranch_execz .LBB78_13
; %bb.12:
	v_add_co_u32 v0, vcc_lo, s6, v5
	v_add_co_ci_u32_e64 v1, null, s7, v6, vcc_lo
                                        ; implicit-def: $vgpr5_vgpr6
	global_store_dwordx2 v[0:1], v[3:4], off
                                        ; implicit-def: $vgpr1_vgpr2
                                        ; implicit-def: $vgpr3_vgpr4
.LBB78_13:
	s_andn2_saveexec_b32 s0, s0
	s_cbranch_execz .LBB78_15
; %bb.14:
	v_add_co_u32 v5, vcc_lo, s6, v5
	v_add_co_ci_u32_e64 v6, null, s7, v6, vcc_lo
	global_load_dwordx2 v[7:8], v[5:6], off
	s_waitcnt vmcnt(0)
	v_fma_f64 v[0:1], v[1:2], v[7:8], v[3:4]
	global_store_dwordx2 v[5:6], v[0:1], off
.LBB78_15:
	s_endpgm
	.section	.rodata,"a",@progbits
	.p2align	6, 0x0
	.amdhsa_kernel _ZN9rocsparseL19gebsrmvn_1xn_kernelILj128ELj2ELj16EdEEvi20rocsparse_direction_NS_24const_host_device_scalarIT2_EEPKiS6_PKS3_S8_S4_PS3_21rocsparse_index_base_b
		.amdhsa_group_segment_fixed_size 0
		.amdhsa_private_segment_fixed_size 0
		.amdhsa_kernarg_size 72
		.amdhsa_user_sgpr_count 6
		.amdhsa_user_sgpr_private_segment_buffer 1
		.amdhsa_user_sgpr_dispatch_ptr 0
		.amdhsa_user_sgpr_queue_ptr 0
		.amdhsa_user_sgpr_kernarg_segment_ptr 1
		.amdhsa_user_sgpr_dispatch_id 0
		.amdhsa_user_sgpr_flat_scratch_init 0
		.amdhsa_user_sgpr_private_segment_size 0
		.amdhsa_wavefront_size32 1
		.amdhsa_uses_dynamic_stack 0
		.amdhsa_system_sgpr_private_segment_wavefront_offset 0
		.amdhsa_system_sgpr_workgroup_id_x 1
		.amdhsa_system_sgpr_workgroup_id_y 0
		.amdhsa_system_sgpr_workgroup_id_z 0
		.amdhsa_system_sgpr_workgroup_info 0
		.amdhsa_system_vgpr_workitem_id 0
		.amdhsa_next_free_vgpr 22
		.amdhsa_next_free_sgpr 11
		.amdhsa_reserve_vcc 1
		.amdhsa_reserve_flat_scratch 0
		.amdhsa_float_round_mode_32 0
		.amdhsa_float_round_mode_16_64 0
		.amdhsa_float_denorm_mode_32 3
		.amdhsa_float_denorm_mode_16_64 3
		.amdhsa_dx10_clamp 1
		.amdhsa_ieee_mode 1
		.amdhsa_fp16_overflow 0
		.amdhsa_workgroup_processor_mode 1
		.amdhsa_memory_ordered 1
		.amdhsa_forward_progress 1
		.amdhsa_shared_vgpr_count 0
		.amdhsa_exception_fp_ieee_invalid_op 0
		.amdhsa_exception_fp_denorm_src 0
		.amdhsa_exception_fp_ieee_div_zero 0
		.amdhsa_exception_fp_ieee_overflow 0
		.amdhsa_exception_fp_ieee_underflow 0
		.amdhsa_exception_fp_ieee_inexact 0
		.amdhsa_exception_int_div_zero 0
	.end_amdhsa_kernel
	.section	.text._ZN9rocsparseL19gebsrmvn_1xn_kernelILj128ELj2ELj16EdEEvi20rocsparse_direction_NS_24const_host_device_scalarIT2_EEPKiS6_PKS3_S8_S4_PS3_21rocsparse_index_base_b,"axG",@progbits,_ZN9rocsparseL19gebsrmvn_1xn_kernelILj128ELj2ELj16EdEEvi20rocsparse_direction_NS_24const_host_device_scalarIT2_EEPKiS6_PKS3_S8_S4_PS3_21rocsparse_index_base_b,comdat
.Lfunc_end78:
	.size	_ZN9rocsparseL19gebsrmvn_1xn_kernelILj128ELj2ELj16EdEEvi20rocsparse_direction_NS_24const_host_device_scalarIT2_EEPKiS6_PKS3_S8_S4_PS3_21rocsparse_index_base_b, .Lfunc_end78-_ZN9rocsparseL19gebsrmvn_1xn_kernelILj128ELj2ELj16EdEEvi20rocsparse_direction_NS_24const_host_device_scalarIT2_EEPKiS6_PKS3_S8_S4_PS3_21rocsparse_index_base_b
                                        ; -- End function
	.set _ZN9rocsparseL19gebsrmvn_1xn_kernelILj128ELj2ELj16EdEEvi20rocsparse_direction_NS_24const_host_device_scalarIT2_EEPKiS6_PKS3_S8_S4_PS3_21rocsparse_index_base_b.num_vgpr, 22
	.set _ZN9rocsparseL19gebsrmvn_1xn_kernelILj128ELj2ELj16EdEEvi20rocsparse_direction_NS_24const_host_device_scalarIT2_EEPKiS6_PKS3_S8_S4_PS3_21rocsparse_index_base_b.num_agpr, 0
	.set _ZN9rocsparseL19gebsrmvn_1xn_kernelILj128ELj2ELj16EdEEvi20rocsparse_direction_NS_24const_host_device_scalarIT2_EEPKiS6_PKS3_S8_S4_PS3_21rocsparse_index_base_b.numbered_sgpr, 11
	.set _ZN9rocsparseL19gebsrmvn_1xn_kernelILj128ELj2ELj16EdEEvi20rocsparse_direction_NS_24const_host_device_scalarIT2_EEPKiS6_PKS3_S8_S4_PS3_21rocsparse_index_base_b.num_named_barrier, 0
	.set _ZN9rocsparseL19gebsrmvn_1xn_kernelILj128ELj2ELj16EdEEvi20rocsparse_direction_NS_24const_host_device_scalarIT2_EEPKiS6_PKS3_S8_S4_PS3_21rocsparse_index_base_b.private_seg_size, 0
	.set _ZN9rocsparseL19gebsrmvn_1xn_kernelILj128ELj2ELj16EdEEvi20rocsparse_direction_NS_24const_host_device_scalarIT2_EEPKiS6_PKS3_S8_S4_PS3_21rocsparse_index_base_b.uses_vcc, 1
	.set _ZN9rocsparseL19gebsrmvn_1xn_kernelILj128ELj2ELj16EdEEvi20rocsparse_direction_NS_24const_host_device_scalarIT2_EEPKiS6_PKS3_S8_S4_PS3_21rocsparse_index_base_b.uses_flat_scratch, 0
	.set _ZN9rocsparseL19gebsrmvn_1xn_kernelILj128ELj2ELj16EdEEvi20rocsparse_direction_NS_24const_host_device_scalarIT2_EEPKiS6_PKS3_S8_S4_PS3_21rocsparse_index_base_b.has_dyn_sized_stack, 0
	.set _ZN9rocsparseL19gebsrmvn_1xn_kernelILj128ELj2ELj16EdEEvi20rocsparse_direction_NS_24const_host_device_scalarIT2_EEPKiS6_PKS3_S8_S4_PS3_21rocsparse_index_base_b.has_recursion, 0
	.set _ZN9rocsparseL19gebsrmvn_1xn_kernelILj128ELj2ELj16EdEEvi20rocsparse_direction_NS_24const_host_device_scalarIT2_EEPKiS6_PKS3_S8_S4_PS3_21rocsparse_index_base_b.has_indirect_call, 0
	.section	.AMDGPU.csdata,"",@progbits
; Kernel info:
; codeLenInByte = 804
; TotalNumSgprs: 13
; NumVgprs: 22
; ScratchSize: 0
; MemoryBound: 0
; FloatMode: 240
; IeeeMode: 1
; LDSByteSize: 0 bytes/workgroup (compile time only)
; SGPRBlocks: 0
; VGPRBlocks: 2
; NumSGPRsForWavesPerEU: 13
; NumVGPRsForWavesPerEU: 22
; Occupancy: 16
; WaveLimiterHint : 1
; COMPUTE_PGM_RSRC2:SCRATCH_EN: 0
; COMPUTE_PGM_RSRC2:USER_SGPR: 6
; COMPUTE_PGM_RSRC2:TRAP_HANDLER: 0
; COMPUTE_PGM_RSRC2:TGID_X_EN: 1
; COMPUTE_PGM_RSRC2:TGID_Y_EN: 0
; COMPUTE_PGM_RSRC2:TGID_Z_EN: 0
; COMPUTE_PGM_RSRC2:TIDIG_COMP_CNT: 0
	.section	.text._ZN9rocsparseL19gebsrmvn_1xn_kernelILj128ELj2ELj32EdEEvi20rocsparse_direction_NS_24const_host_device_scalarIT2_EEPKiS6_PKS3_S8_S4_PS3_21rocsparse_index_base_b,"axG",@progbits,_ZN9rocsparseL19gebsrmvn_1xn_kernelILj128ELj2ELj32EdEEvi20rocsparse_direction_NS_24const_host_device_scalarIT2_EEPKiS6_PKS3_S8_S4_PS3_21rocsparse_index_base_b,comdat
	.globl	_ZN9rocsparseL19gebsrmvn_1xn_kernelILj128ELj2ELj32EdEEvi20rocsparse_direction_NS_24const_host_device_scalarIT2_EEPKiS6_PKS3_S8_S4_PS3_21rocsparse_index_base_b ; -- Begin function _ZN9rocsparseL19gebsrmvn_1xn_kernelILj128ELj2ELj32EdEEvi20rocsparse_direction_NS_24const_host_device_scalarIT2_EEPKiS6_PKS3_S8_S4_PS3_21rocsparse_index_base_b
	.p2align	8
	.type	_ZN9rocsparseL19gebsrmvn_1xn_kernelILj128ELj2ELj32EdEEvi20rocsparse_direction_NS_24const_host_device_scalarIT2_EEPKiS6_PKS3_S8_S4_PS3_21rocsparse_index_base_b,@function
_ZN9rocsparseL19gebsrmvn_1xn_kernelILj128ELj2ELj32EdEEvi20rocsparse_direction_NS_24const_host_device_scalarIT2_EEPKiS6_PKS3_S8_S4_PS3_21rocsparse_index_base_b: ; @_ZN9rocsparseL19gebsrmvn_1xn_kernelILj128ELj2ELj32EdEEvi20rocsparse_direction_NS_24const_host_device_scalarIT2_EEPKiS6_PKS3_S8_S4_PS3_21rocsparse_index_base_b
; %bb.0:
	s_clause 0x2
	s_load_dwordx2 s[8:9], s[4:5], 0x40
	s_load_dwordx2 s[2:3], s[4:5], 0x8
	;; [unrolled: 1-line block ×3, first 2 shown]
	s_waitcnt lgkmcnt(0)
	s_bitcmp1_b32 s9, 0
	v_mov_b32_e32 v4, s3
	v_mov_b32_e32 v3, s2
	s_cselect_b32 s7, -1, 0
	s_and_b32 vcc_lo, exec_lo, s7
	s_xor_b32 s7, s7, -1
	s_cbranch_vccnz .LBB79_2
; %bb.1:
	v_mov_b32_e32 v1, s2
	v_mov_b32_e32 v2, s3
	flat_load_dwordx2 v[3:4], v[1:2]
.LBB79_2:
	v_mov_b32_e32 v2, s1
	v_mov_b32_e32 v1, s0
	s_andn2_b32 vcc_lo, exec_lo, s7
	s_cbranch_vccnz .LBB79_4
; %bb.3:
	v_mov_b32_e32 v2, s1
	v_mov_b32_e32 v1, s0
	flat_load_dwordx2 v[1:2], v[1:2]
.LBB79_4:
	s_waitcnt vmcnt(0) lgkmcnt(0)
	v_cmp_neq_f64_e32 vcc_lo, 0, v[3:4]
	v_cmp_neq_f64_e64 s0, 1.0, v[1:2]
	s_or_b32 s0, vcc_lo, s0
	s_and_saveexec_b32 s1, s0
	s_cbranch_execz .LBB79_15
; %bb.5:
	s_load_dword s0, s[4:5], 0x0
	v_lshrrev_b32_e32 v5, 5, v0
	v_lshl_or_b32 v5, s6, 2, v5
	s_waitcnt lgkmcnt(0)
	v_cmp_gt_i32_e32 vcc_lo, s0, v5
	s_and_b32 exec_lo, exec_lo, vcc_lo
	s_cbranch_execz .LBB79_15
; %bb.6:
	s_clause 0x1
	s_load_dwordx2 s[0:1], s[4:5], 0x10
	s_load_dwordx2 s[6:7], s[4:5], 0x38
	v_ashrrev_i32_e32 v6, 31, v5
	v_and_b32_e32 v0, 31, v0
	s_mov_b32 s9, exec_lo
	v_lshlrev_b64 v[7:8], 2, v[5:6]
	v_subrev_nc_u32_e32 v9, s8, v0
	s_waitcnt lgkmcnt(0)
	v_add_co_u32 v7, vcc_lo, s0, v7
	v_add_co_ci_u32_e64 v8, null, s1, v8, vcc_lo
	global_load_dwordx2 v[7:8], v[7:8], off
	s_waitcnt vmcnt(0)
	v_subrev_nc_u32_e32 v13, s8, v8
	v_add_nc_u32_e32 v9, v7, v9
	v_mov_b32_e32 v7, 0
	v_mov_b32_e32 v8, 0
	v_cmpx_lt_i32_e64 v9, v13
	s_cbranch_execz .LBB79_10
; %bb.7:
	s_clause 0x1
	s_load_dwordx4 s[0:3], s[4:5], 0x18
	s_load_dwordx2 s[4:5], s[4:5], 0x28
	v_mov_b32_e32 v7, 0
	v_lshlrev_b32_e32 v11, 1, v9
	v_mov_b32_e32 v8, 0
	v_mov_b32_e32 v12, 0
	s_mov_b32 s10, 0
	s_inst_prefetch 0x1
	.p2align	6
.LBB79_8:                               ; =>This Inner Loop Header: Depth=1
	v_ashrrev_i32_e32 v10, 31, v9
	v_mov_b32_e32 v17, v12
	v_lshlrev_b64 v[14:15], 2, v[9:10]
	v_add_nc_u32_e32 v9, 32, v9
	s_waitcnt lgkmcnt(0)
	v_add_co_u32 v14, vcc_lo, s0, v14
	v_add_co_ci_u32_e64 v15, null, s1, v15, vcc_lo
	global_load_dword v10, v[14:15], off
	v_lshlrev_b64 v[14:15], 3, v[11:12]
	v_add_nc_u32_e32 v11, 64, v11
	v_add_co_u32 v14, vcc_lo, s2, v14
	v_add_co_ci_u32_e64 v15, null, s3, v15, vcc_lo
	s_waitcnt vmcnt(0)
	v_subrev_nc_u32_e32 v10, s8, v10
	v_lshlrev_b32_e32 v16, 1, v10
	v_lshlrev_b64 v[16:17], 3, v[16:17]
	v_add_co_u32 v18, vcc_lo, s4, v16
	v_add_co_ci_u32_e64 v19, null, s5, v17, vcc_lo
	v_cmp_ge_i32_e32 vcc_lo, v9, v13
	global_load_dwordx4 v[14:17], v[14:15], off
	global_load_dwordx4 v[18:21], v[18:19], off
	s_or_b32 s10, vcc_lo, s10
	s_waitcnt vmcnt(0)
	v_fma_f64 v[7:8], v[14:15], v[18:19], v[7:8]
	v_fma_f64 v[7:8], v[16:17], v[20:21], v[7:8]
	s_andn2_b32 exec_lo, exec_lo, s10
	s_cbranch_execnz .LBB79_8
; %bb.9:
	s_inst_prefetch 0x2
	s_or_b32 exec_lo, exec_lo, s10
.LBB79_10:
	s_or_b32 exec_lo, exec_lo, s9
	v_mbcnt_lo_u32_b32 v11, -1, 0
	v_xor_b32_e32 v9, 16, v11
	v_cmp_gt_i32_e32 vcc_lo, 32, v9
	v_cndmask_b32_e32 v9, v11, v9, vcc_lo
	v_lshlrev_b32_e32 v10, 2, v9
	ds_bpermute_b32 v9, v10, v7
	ds_bpermute_b32 v10, v10, v8
	s_waitcnt lgkmcnt(0)
	v_add_f64 v[7:8], v[7:8], v[9:10]
	v_xor_b32_e32 v9, 8, v11
	v_cmp_gt_i32_e32 vcc_lo, 32, v9
	v_cndmask_b32_e32 v9, v11, v9, vcc_lo
	v_lshlrev_b32_e32 v10, 2, v9
	ds_bpermute_b32 v9, v10, v7
	ds_bpermute_b32 v10, v10, v8
	s_waitcnt lgkmcnt(0)
	v_add_f64 v[7:8], v[7:8], v[9:10]
	;; [unrolled: 8-line block ×4, first 2 shown]
	v_xor_b32_e32 v9, 1, v11
	v_cmp_gt_i32_e32 vcc_lo, 32, v9
	v_cndmask_b32_e32 v9, v11, v9, vcc_lo
	v_cmp_eq_u32_e32 vcc_lo, 31, v0
	v_lshlrev_b32_e32 v10, 2, v9
	ds_bpermute_b32 v9, v10, v7
	ds_bpermute_b32 v10, v10, v8
	s_and_b32 exec_lo, exec_lo, vcc_lo
	s_cbranch_execz .LBB79_15
; %bb.11:
	s_waitcnt lgkmcnt(0)
	v_add_f64 v[7:8], v[7:8], v[9:10]
	v_lshlrev_b64 v[5:6], 3, v[5:6]
	s_mov_b32 s0, exec_lo
	v_mul_f64 v[3:4], v[3:4], v[7:8]
	v_cmpx_eq_f64_e32 0, v[1:2]
	s_xor_b32 s0, exec_lo, s0
	s_cbranch_execz .LBB79_13
; %bb.12:
	v_add_co_u32 v0, vcc_lo, s6, v5
	v_add_co_ci_u32_e64 v1, null, s7, v6, vcc_lo
                                        ; implicit-def: $vgpr5_vgpr6
	global_store_dwordx2 v[0:1], v[3:4], off
                                        ; implicit-def: $vgpr1_vgpr2
                                        ; implicit-def: $vgpr3_vgpr4
.LBB79_13:
	s_andn2_saveexec_b32 s0, s0
	s_cbranch_execz .LBB79_15
; %bb.14:
	v_add_co_u32 v5, vcc_lo, s6, v5
	v_add_co_ci_u32_e64 v6, null, s7, v6, vcc_lo
	global_load_dwordx2 v[7:8], v[5:6], off
	s_waitcnt vmcnt(0)
	v_fma_f64 v[0:1], v[1:2], v[7:8], v[3:4]
	global_store_dwordx2 v[5:6], v[0:1], off
.LBB79_15:
	s_endpgm
	.section	.rodata,"a",@progbits
	.p2align	6, 0x0
	.amdhsa_kernel _ZN9rocsparseL19gebsrmvn_1xn_kernelILj128ELj2ELj32EdEEvi20rocsparse_direction_NS_24const_host_device_scalarIT2_EEPKiS6_PKS3_S8_S4_PS3_21rocsparse_index_base_b
		.amdhsa_group_segment_fixed_size 0
		.amdhsa_private_segment_fixed_size 0
		.amdhsa_kernarg_size 72
		.amdhsa_user_sgpr_count 6
		.amdhsa_user_sgpr_private_segment_buffer 1
		.amdhsa_user_sgpr_dispatch_ptr 0
		.amdhsa_user_sgpr_queue_ptr 0
		.amdhsa_user_sgpr_kernarg_segment_ptr 1
		.amdhsa_user_sgpr_dispatch_id 0
		.amdhsa_user_sgpr_flat_scratch_init 0
		.amdhsa_user_sgpr_private_segment_size 0
		.amdhsa_wavefront_size32 1
		.amdhsa_uses_dynamic_stack 0
		.amdhsa_system_sgpr_private_segment_wavefront_offset 0
		.amdhsa_system_sgpr_workgroup_id_x 1
		.amdhsa_system_sgpr_workgroup_id_y 0
		.amdhsa_system_sgpr_workgroup_id_z 0
		.amdhsa_system_sgpr_workgroup_info 0
		.amdhsa_system_vgpr_workitem_id 0
		.amdhsa_next_free_vgpr 22
		.amdhsa_next_free_sgpr 11
		.amdhsa_reserve_vcc 1
		.amdhsa_reserve_flat_scratch 0
		.amdhsa_float_round_mode_32 0
		.amdhsa_float_round_mode_16_64 0
		.amdhsa_float_denorm_mode_32 3
		.amdhsa_float_denorm_mode_16_64 3
		.amdhsa_dx10_clamp 1
		.amdhsa_ieee_mode 1
		.amdhsa_fp16_overflow 0
		.amdhsa_workgroup_processor_mode 1
		.amdhsa_memory_ordered 1
		.amdhsa_forward_progress 1
		.amdhsa_shared_vgpr_count 0
		.amdhsa_exception_fp_ieee_invalid_op 0
		.amdhsa_exception_fp_denorm_src 0
		.amdhsa_exception_fp_ieee_div_zero 0
		.amdhsa_exception_fp_ieee_overflow 0
		.amdhsa_exception_fp_ieee_underflow 0
		.amdhsa_exception_fp_ieee_inexact 0
		.amdhsa_exception_int_div_zero 0
	.end_amdhsa_kernel
	.section	.text._ZN9rocsparseL19gebsrmvn_1xn_kernelILj128ELj2ELj32EdEEvi20rocsparse_direction_NS_24const_host_device_scalarIT2_EEPKiS6_PKS3_S8_S4_PS3_21rocsparse_index_base_b,"axG",@progbits,_ZN9rocsparseL19gebsrmvn_1xn_kernelILj128ELj2ELj32EdEEvi20rocsparse_direction_NS_24const_host_device_scalarIT2_EEPKiS6_PKS3_S8_S4_PS3_21rocsparse_index_base_b,comdat
.Lfunc_end79:
	.size	_ZN9rocsparseL19gebsrmvn_1xn_kernelILj128ELj2ELj32EdEEvi20rocsparse_direction_NS_24const_host_device_scalarIT2_EEPKiS6_PKS3_S8_S4_PS3_21rocsparse_index_base_b, .Lfunc_end79-_ZN9rocsparseL19gebsrmvn_1xn_kernelILj128ELj2ELj32EdEEvi20rocsparse_direction_NS_24const_host_device_scalarIT2_EEPKiS6_PKS3_S8_S4_PS3_21rocsparse_index_base_b
                                        ; -- End function
	.set _ZN9rocsparseL19gebsrmvn_1xn_kernelILj128ELj2ELj32EdEEvi20rocsparse_direction_NS_24const_host_device_scalarIT2_EEPKiS6_PKS3_S8_S4_PS3_21rocsparse_index_base_b.num_vgpr, 22
	.set _ZN9rocsparseL19gebsrmvn_1xn_kernelILj128ELj2ELj32EdEEvi20rocsparse_direction_NS_24const_host_device_scalarIT2_EEPKiS6_PKS3_S8_S4_PS3_21rocsparse_index_base_b.num_agpr, 0
	.set _ZN9rocsparseL19gebsrmvn_1xn_kernelILj128ELj2ELj32EdEEvi20rocsparse_direction_NS_24const_host_device_scalarIT2_EEPKiS6_PKS3_S8_S4_PS3_21rocsparse_index_base_b.numbered_sgpr, 11
	.set _ZN9rocsparseL19gebsrmvn_1xn_kernelILj128ELj2ELj32EdEEvi20rocsparse_direction_NS_24const_host_device_scalarIT2_EEPKiS6_PKS3_S8_S4_PS3_21rocsparse_index_base_b.num_named_barrier, 0
	.set _ZN9rocsparseL19gebsrmvn_1xn_kernelILj128ELj2ELj32EdEEvi20rocsparse_direction_NS_24const_host_device_scalarIT2_EEPKiS6_PKS3_S8_S4_PS3_21rocsparse_index_base_b.private_seg_size, 0
	.set _ZN9rocsparseL19gebsrmvn_1xn_kernelILj128ELj2ELj32EdEEvi20rocsparse_direction_NS_24const_host_device_scalarIT2_EEPKiS6_PKS3_S8_S4_PS3_21rocsparse_index_base_b.uses_vcc, 1
	.set _ZN9rocsparseL19gebsrmvn_1xn_kernelILj128ELj2ELj32EdEEvi20rocsparse_direction_NS_24const_host_device_scalarIT2_EEPKiS6_PKS3_S8_S4_PS3_21rocsparse_index_base_b.uses_flat_scratch, 0
	.set _ZN9rocsparseL19gebsrmvn_1xn_kernelILj128ELj2ELj32EdEEvi20rocsparse_direction_NS_24const_host_device_scalarIT2_EEPKiS6_PKS3_S8_S4_PS3_21rocsparse_index_base_b.has_dyn_sized_stack, 0
	.set _ZN9rocsparseL19gebsrmvn_1xn_kernelILj128ELj2ELj32EdEEvi20rocsparse_direction_NS_24const_host_device_scalarIT2_EEPKiS6_PKS3_S8_S4_PS3_21rocsparse_index_base_b.has_recursion, 0
	.set _ZN9rocsparseL19gebsrmvn_1xn_kernelILj128ELj2ELj32EdEEvi20rocsparse_direction_NS_24const_host_device_scalarIT2_EEPKiS6_PKS3_S8_S4_PS3_21rocsparse_index_base_b.has_indirect_call, 0
	.section	.AMDGPU.csdata,"",@progbits
; Kernel info:
; codeLenInByte = 848
; TotalNumSgprs: 13
; NumVgprs: 22
; ScratchSize: 0
; MemoryBound: 0
; FloatMode: 240
; IeeeMode: 1
; LDSByteSize: 0 bytes/workgroup (compile time only)
; SGPRBlocks: 0
; VGPRBlocks: 2
; NumSGPRsForWavesPerEU: 13
; NumVGPRsForWavesPerEU: 22
; Occupancy: 16
; WaveLimiterHint : 1
; COMPUTE_PGM_RSRC2:SCRATCH_EN: 0
; COMPUTE_PGM_RSRC2:USER_SGPR: 6
; COMPUTE_PGM_RSRC2:TRAP_HANDLER: 0
; COMPUTE_PGM_RSRC2:TGID_X_EN: 1
; COMPUTE_PGM_RSRC2:TGID_Y_EN: 0
; COMPUTE_PGM_RSRC2:TGID_Z_EN: 0
; COMPUTE_PGM_RSRC2:TIDIG_COMP_CNT: 0
	.section	.text._ZN9rocsparseL19gebsrmvn_1xn_kernelILj128ELj2ELj64EdEEvi20rocsparse_direction_NS_24const_host_device_scalarIT2_EEPKiS6_PKS3_S8_S4_PS3_21rocsparse_index_base_b,"axG",@progbits,_ZN9rocsparseL19gebsrmvn_1xn_kernelILj128ELj2ELj64EdEEvi20rocsparse_direction_NS_24const_host_device_scalarIT2_EEPKiS6_PKS3_S8_S4_PS3_21rocsparse_index_base_b,comdat
	.globl	_ZN9rocsparseL19gebsrmvn_1xn_kernelILj128ELj2ELj64EdEEvi20rocsparse_direction_NS_24const_host_device_scalarIT2_EEPKiS6_PKS3_S8_S4_PS3_21rocsparse_index_base_b ; -- Begin function _ZN9rocsparseL19gebsrmvn_1xn_kernelILj128ELj2ELj64EdEEvi20rocsparse_direction_NS_24const_host_device_scalarIT2_EEPKiS6_PKS3_S8_S4_PS3_21rocsparse_index_base_b
	.p2align	8
	.type	_ZN9rocsparseL19gebsrmvn_1xn_kernelILj128ELj2ELj64EdEEvi20rocsparse_direction_NS_24const_host_device_scalarIT2_EEPKiS6_PKS3_S8_S4_PS3_21rocsparse_index_base_b,@function
_ZN9rocsparseL19gebsrmvn_1xn_kernelILj128ELj2ELj64EdEEvi20rocsparse_direction_NS_24const_host_device_scalarIT2_EEPKiS6_PKS3_S8_S4_PS3_21rocsparse_index_base_b: ; @_ZN9rocsparseL19gebsrmvn_1xn_kernelILj128ELj2ELj64EdEEvi20rocsparse_direction_NS_24const_host_device_scalarIT2_EEPKiS6_PKS3_S8_S4_PS3_21rocsparse_index_base_b
; %bb.0:
	s_clause 0x2
	s_load_dwordx2 s[8:9], s[4:5], 0x40
	s_load_dwordx2 s[2:3], s[4:5], 0x8
	;; [unrolled: 1-line block ×3, first 2 shown]
	s_waitcnt lgkmcnt(0)
	s_bitcmp1_b32 s9, 0
	v_mov_b32_e32 v4, s3
	v_mov_b32_e32 v3, s2
	s_cselect_b32 s7, -1, 0
	s_and_b32 vcc_lo, exec_lo, s7
	s_xor_b32 s7, s7, -1
	s_cbranch_vccnz .LBB80_2
; %bb.1:
	v_mov_b32_e32 v1, s2
	v_mov_b32_e32 v2, s3
	flat_load_dwordx2 v[3:4], v[1:2]
.LBB80_2:
	v_mov_b32_e32 v2, s1
	v_mov_b32_e32 v1, s0
	s_andn2_b32 vcc_lo, exec_lo, s7
	s_cbranch_vccnz .LBB80_4
; %bb.3:
	v_mov_b32_e32 v2, s1
	v_mov_b32_e32 v1, s0
	flat_load_dwordx2 v[1:2], v[1:2]
.LBB80_4:
	s_waitcnt vmcnt(0) lgkmcnt(0)
	v_cmp_neq_f64_e32 vcc_lo, 0, v[3:4]
	v_cmp_neq_f64_e64 s0, 1.0, v[1:2]
	s_or_b32 s0, vcc_lo, s0
	s_and_saveexec_b32 s1, s0
	s_cbranch_execz .LBB80_15
; %bb.5:
	s_load_dword s0, s[4:5], 0x0
	v_lshrrev_b32_e32 v5, 6, v0
	v_lshl_or_b32 v5, s6, 1, v5
	s_waitcnt lgkmcnt(0)
	v_cmp_gt_i32_e32 vcc_lo, s0, v5
	s_and_b32 exec_lo, exec_lo, vcc_lo
	s_cbranch_execz .LBB80_15
; %bb.6:
	s_clause 0x1
	s_load_dwordx2 s[0:1], s[4:5], 0x10
	s_load_dwordx2 s[6:7], s[4:5], 0x38
	v_ashrrev_i32_e32 v6, 31, v5
	v_and_b32_e32 v0, 63, v0
	s_mov_b32 s9, exec_lo
	v_lshlrev_b64 v[7:8], 2, v[5:6]
	v_subrev_nc_u32_e32 v9, s8, v0
	s_waitcnt lgkmcnt(0)
	v_add_co_u32 v7, vcc_lo, s0, v7
	v_add_co_ci_u32_e64 v8, null, s1, v8, vcc_lo
	global_load_dwordx2 v[7:8], v[7:8], off
	s_waitcnt vmcnt(0)
	v_subrev_nc_u32_e32 v13, s8, v8
	v_add_nc_u32_e32 v9, v7, v9
	v_mov_b32_e32 v7, 0
	v_mov_b32_e32 v8, 0
	v_cmpx_lt_i32_e64 v9, v13
	s_cbranch_execz .LBB80_10
; %bb.7:
	s_clause 0x1
	s_load_dwordx4 s[0:3], s[4:5], 0x18
	s_load_dwordx2 s[4:5], s[4:5], 0x28
	v_mov_b32_e32 v7, 0
	v_lshlrev_b32_e32 v11, 1, v9
	v_mov_b32_e32 v8, 0
	v_mov_b32_e32 v12, 0
	s_mov_b32 s10, 0
	s_inst_prefetch 0x1
	.p2align	6
.LBB80_8:                               ; =>This Inner Loop Header: Depth=1
	v_ashrrev_i32_e32 v10, 31, v9
	v_mov_b32_e32 v17, v12
	v_lshlrev_b64 v[14:15], 2, v[9:10]
	v_add_nc_u32_e32 v9, 64, v9
	s_waitcnt lgkmcnt(0)
	v_add_co_u32 v14, vcc_lo, s0, v14
	v_add_co_ci_u32_e64 v15, null, s1, v15, vcc_lo
	global_load_dword v10, v[14:15], off
	v_lshlrev_b64 v[14:15], 3, v[11:12]
	v_add_nc_u32_e32 v11, 0x80, v11
	v_add_co_u32 v14, vcc_lo, s2, v14
	v_add_co_ci_u32_e64 v15, null, s3, v15, vcc_lo
	s_waitcnt vmcnt(0)
	v_subrev_nc_u32_e32 v10, s8, v10
	v_lshlrev_b32_e32 v16, 1, v10
	v_lshlrev_b64 v[16:17], 3, v[16:17]
	v_add_co_u32 v18, vcc_lo, s4, v16
	v_add_co_ci_u32_e64 v19, null, s5, v17, vcc_lo
	v_cmp_ge_i32_e32 vcc_lo, v9, v13
	global_load_dwordx4 v[14:17], v[14:15], off
	global_load_dwordx4 v[18:21], v[18:19], off
	s_or_b32 s10, vcc_lo, s10
	s_waitcnt vmcnt(0)
	v_fma_f64 v[7:8], v[14:15], v[18:19], v[7:8]
	v_fma_f64 v[7:8], v[16:17], v[20:21], v[7:8]
	s_andn2_b32 exec_lo, exec_lo, s10
	s_cbranch_execnz .LBB80_8
; %bb.9:
	s_inst_prefetch 0x2
	s_or_b32 exec_lo, exec_lo, s10
.LBB80_10:
	s_or_b32 exec_lo, exec_lo, s9
	v_mbcnt_lo_u32_b32 v11, -1, 0
	v_or_b32_e32 v9, 32, v11
	v_cmp_gt_i32_e32 vcc_lo, 32, v9
	v_cndmask_b32_e32 v9, v11, v9, vcc_lo
	v_lshlrev_b32_e32 v10, 2, v9
	ds_bpermute_b32 v9, v10, v7
	ds_bpermute_b32 v10, v10, v8
	s_waitcnt lgkmcnt(0)
	v_add_f64 v[7:8], v[7:8], v[9:10]
	v_xor_b32_e32 v9, 16, v11
	v_cmp_gt_i32_e32 vcc_lo, 32, v9
	v_cndmask_b32_e32 v9, v11, v9, vcc_lo
	v_lshlrev_b32_e32 v10, 2, v9
	ds_bpermute_b32 v9, v10, v7
	ds_bpermute_b32 v10, v10, v8
	s_waitcnt lgkmcnt(0)
	v_add_f64 v[7:8], v[7:8], v[9:10]
	v_xor_b32_e32 v9, 8, v11
	;; [unrolled: 8-line block ×5, first 2 shown]
	v_cmp_gt_i32_e32 vcc_lo, 32, v9
	v_cndmask_b32_e32 v9, v11, v9, vcc_lo
	v_cmp_eq_u32_e32 vcc_lo, 63, v0
	v_lshlrev_b32_e32 v10, 2, v9
	ds_bpermute_b32 v9, v10, v7
	ds_bpermute_b32 v10, v10, v8
	s_and_b32 exec_lo, exec_lo, vcc_lo
	s_cbranch_execz .LBB80_15
; %bb.11:
	s_waitcnt lgkmcnt(0)
	v_add_f64 v[7:8], v[7:8], v[9:10]
	v_lshlrev_b64 v[5:6], 3, v[5:6]
	s_mov_b32 s0, exec_lo
	v_mul_f64 v[3:4], v[3:4], v[7:8]
	v_cmpx_eq_f64_e32 0, v[1:2]
	s_xor_b32 s0, exec_lo, s0
	s_cbranch_execz .LBB80_13
; %bb.12:
	v_add_co_u32 v0, vcc_lo, s6, v5
	v_add_co_ci_u32_e64 v1, null, s7, v6, vcc_lo
                                        ; implicit-def: $vgpr5_vgpr6
	global_store_dwordx2 v[0:1], v[3:4], off
                                        ; implicit-def: $vgpr1_vgpr2
                                        ; implicit-def: $vgpr3_vgpr4
.LBB80_13:
	s_andn2_saveexec_b32 s0, s0
	s_cbranch_execz .LBB80_15
; %bb.14:
	v_add_co_u32 v5, vcc_lo, s6, v5
	v_add_co_ci_u32_e64 v6, null, s7, v6, vcc_lo
	global_load_dwordx2 v[7:8], v[5:6], off
	s_waitcnt vmcnt(0)
	v_fma_f64 v[0:1], v[1:2], v[7:8], v[3:4]
	global_store_dwordx2 v[5:6], v[0:1], off
.LBB80_15:
	s_endpgm
	.section	.rodata,"a",@progbits
	.p2align	6, 0x0
	.amdhsa_kernel _ZN9rocsparseL19gebsrmvn_1xn_kernelILj128ELj2ELj64EdEEvi20rocsparse_direction_NS_24const_host_device_scalarIT2_EEPKiS6_PKS3_S8_S4_PS3_21rocsparse_index_base_b
		.amdhsa_group_segment_fixed_size 0
		.amdhsa_private_segment_fixed_size 0
		.amdhsa_kernarg_size 72
		.amdhsa_user_sgpr_count 6
		.amdhsa_user_sgpr_private_segment_buffer 1
		.amdhsa_user_sgpr_dispatch_ptr 0
		.amdhsa_user_sgpr_queue_ptr 0
		.amdhsa_user_sgpr_kernarg_segment_ptr 1
		.amdhsa_user_sgpr_dispatch_id 0
		.amdhsa_user_sgpr_flat_scratch_init 0
		.amdhsa_user_sgpr_private_segment_size 0
		.amdhsa_wavefront_size32 1
		.amdhsa_uses_dynamic_stack 0
		.amdhsa_system_sgpr_private_segment_wavefront_offset 0
		.amdhsa_system_sgpr_workgroup_id_x 1
		.amdhsa_system_sgpr_workgroup_id_y 0
		.amdhsa_system_sgpr_workgroup_id_z 0
		.amdhsa_system_sgpr_workgroup_info 0
		.amdhsa_system_vgpr_workitem_id 0
		.amdhsa_next_free_vgpr 22
		.amdhsa_next_free_sgpr 11
		.amdhsa_reserve_vcc 1
		.amdhsa_reserve_flat_scratch 0
		.amdhsa_float_round_mode_32 0
		.amdhsa_float_round_mode_16_64 0
		.amdhsa_float_denorm_mode_32 3
		.amdhsa_float_denorm_mode_16_64 3
		.amdhsa_dx10_clamp 1
		.amdhsa_ieee_mode 1
		.amdhsa_fp16_overflow 0
		.amdhsa_workgroup_processor_mode 1
		.amdhsa_memory_ordered 1
		.amdhsa_forward_progress 1
		.amdhsa_shared_vgpr_count 0
		.amdhsa_exception_fp_ieee_invalid_op 0
		.amdhsa_exception_fp_denorm_src 0
		.amdhsa_exception_fp_ieee_div_zero 0
		.amdhsa_exception_fp_ieee_overflow 0
		.amdhsa_exception_fp_ieee_underflow 0
		.amdhsa_exception_fp_ieee_inexact 0
		.amdhsa_exception_int_div_zero 0
	.end_amdhsa_kernel
	.section	.text._ZN9rocsparseL19gebsrmvn_1xn_kernelILj128ELj2ELj64EdEEvi20rocsparse_direction_NS_24const_host_device_scalarIT2_EEPKiS6_PKS3_S8_S4_PS3_21rocsparse_index_base_b,"axG",@progbits,_ZN9rocsparseL19gebsrmvn_1xn_kernelILj128ELj2ELj64EdEEvi20rocsparse_direction_NS_24const_host_device_scalarIT2_EEPKiS6_PKS3_S8_S4_PS3_21rocsparse_index_base_b,comdat
.Lfunc_end80:
	.size	_ZN9rocsparseL19gebsrmvn_1xn_kernelILj128ELj2ELj64EdEEvi20rocsparse_direction_NS_24const_host_device_scalarIT2_EEPKiS6_PKS3_S8_S4_PS3_21rocsparse_index_base_b, .Lfunc_end80-_ZN9rocsparseL19gebsrmvn_1xn_kernelILj128ELj2ELj64EdEEvi20rocsparse_direction_NS_24const_host_device_scalarIT2_EEPKiS6_PKS3_S8_S4_PS3_21rocsparse_index_base_b
                                        ; -- End function
	.set _ZN9rocsparseL19gebsrmvn_1xn_kernelILj128ELj2ELj64EdEEvi20rocsparse_direction_NS_24const_host_device_scalarIT2_EEPKiS6_PKS3_S8_S4_PS3_21rocsparse_index_base_b.num_vgpr, 22
	.set _ZN9rocsparseL19gebsrmvn_1xn_kernelILj128ELj2ELj64EdEEvi20rocsparse_direction_NS_24const_host_device_scalarIT2_EEPKiS6_PKS3_S8_S4_PS3_21rocsparse_index_base_b.num_agpr, 0
	.set _ZN9rocsparseL19gebsrmvn_1xn_kernelILj128ELj2ELj64EdEEvi20rocsparse_direction_NS_24const_host_device_scalarIT2_EEPKiS6_PKS3_S8_S4_PS3_21rocsparse_index_base_b.numbered_sgpr, 11
	.set _ZN9rocsparseL19gebsrmvn_1xn_kernelILj128ELj2ELj64EdEEvi20rocsparse_direction_NS_24const_host_device_scalarIT2_EEPKiS6_PKS3_S8_S4_PS3_21rocsparse_index_base_b.num_named_barrier, 0
	.set _ZN9rocsparseL19gebsrmvn_1xn_kernelILj128ELj2ELj64EdEEvi20rocsparse_direction_NS_24const_host_device_scalarIT2_EEPKiS6_PKS3_S8_S4_PS3_21rocsparse_index_base_b.private_seg_size, 0
	.set _ZN9rocsparseL19gebsrmvn_1xn_kernelILj128ELj2ELj64EdEEvi20rocsparse_direction_NS_24const_host_device_scalarIT2_EEPKiS6_PKS3_S8_S4_PS3_21rocsparse_index_base_b.uses_vcc, 1
	.set _ZN9rocsparseL19gebsrmvn_1xn_kernelILj128ELj2ELj64EdEEvi20rocsparse_direction_NS_24const_host_device_scalarIT2_EEPKiS6_PKS3_S8_S4_PS3_21rocsparse_index_base_b.uses_flat_scratch, 0
	.set _ZN9rocsparseL19gebsrmvn_1xn_kernelILj128ELj2ELj64EdEEvi20rocsparse_direction_NS_24const_host_device_scalarIT2_EEPKiS6_PKS3_S8_S4_PS3_21rocsparse_index_base_b.has_dyn_sized_stack, 0
	.set _ZN9rocsparseL19gebsrmvn_1xn_kernelILj128ELj2ELj64EdEEvi20rocsparse_direction_NS_24const_host_device_scalarIT2_EEPKiS6_PKS3_S8_S4_PS3_21rocsparse_index_base_b.has_recursion, 0
	.set _ZN9rocsparseL19gebsrmvn_1xn_kernelILj128ELj2ELj64EdEEvi20rocsparse_direction_NS_24const_host_device_scalarIT2_EEPKiS6_PKS3_S8_S4_PS3_21rocsparse_index_base_b.has_indirect_call, 0
	.section	.AMDGPU.csdata,"",@progbits
; Kernel info:
; codeLenInByte = 896
; TotalNumSgprs: 13
; NumVgprs: 22
; ScratchSize: 0
; MemoryBound: 0
; FloatMode: 240
; IeeeMode: 1
; LDSByteSize: 0 bytes/workgroup (compile time only)
; SGPRBlocks: 0
; VGPRBlocks: 2
; NumSGPRsForWavesPerEU: 13
; NumVGPRsForWavesPerEU: 22
; Occupancy: 16
; WaveLimiterHint : 1
; COMPUTE_PGM_RSRC2:SCRATCH_EN: 0
; COMPUTE_PGM_RSRC2:USER_SGPR: 6
; COMPUTE_PGM_RSRC2:TRAP_HANDLER: 0
; COMPUTE_PGM_RSRC2:TGID_X_EN: 1
; COMPUTE_PGM_RSRC2:TGID_Y_EN: 0
; COMPUTE_PGM_RSRC2:TGID_Z_EN: 0
; COMPUTE_PGM_RSRC2:TIDIG_COMP_CNT: 0
	.section	.text._ZN9rocsparseL19gebsrmvn_1xn_kernelILj128ELj3ELj4EdEEvi20rocsparse_direction_NS_24const_host_device_scalarIT2_EEPKiS6_PKS3_S8_S4_PS3_21rocsparse_index_base_b,"axG",@progbits,_ZN9rocsparseL19gebsrmvn_1xn_kernelILj128ELj3ELj4EdEEvi20rocsparse_direction_NS_24const_host_device_scalarIT2_EEPKiS6_PKS3_S8_S4_PS3_21rocsparse_index_base_b,comdat
	.globl	_ZN9rocsparseL19gebsrmvn_1xn_kernelILj128ELj3ELj4EdEEvi20rocsparse_direction_NS_24const_host_device_scalarIT2_EEPKiS6_PKS3_S8_S4_PS3_21rocsparse_index_base_b ; -- Begin function _ZN9rocsparseL19gebsrmvn_1xn_kernelILj128ELj3ELj4EdEEvi20rocsparse_direction_NS_24const_host_device_scalarIT2_EEPKiS6_PKS3_S8_S4_PS3_21rocsparse_index_base_b
	.p2align	8
	.type	_ZN9rocsparseL19gebsrmvn_1xn_kernelILj128ELj3ELj4EdEEvi20rocsparse_direction_NS_24const_host_device_scalarIT2_EEPKiS6_PKS3_S8_S4_PS3_21rocsparse_index_base_b,@function
_ZN9rocsparseL19gebsrmvn_1xn_kernelILj128ELj3ELj4EdEEvi20rocsparse_direction_NS_24const_host_device_scalarIT2_EEPKiS6_PKS3_S8_S4_PS3_21rocsparse_index_base_b: ; @_ZN9rocsparseL19gebsrmvn_1xn_kernelILj128ELj3ELj4EdEEvi20rocsparse_direction_NS_24const_host_device_scalarIT2_EEPKiS6_PKS3_S8_S4_PS3_21rocsparse_index_base_b
; %bb.0:
	s_clause 0x2
	s_load_dwordx2 s[8:9], s[4:5], 0x40
	s_load_dwordx2 s[2:3], s[4:5], 0x8
	;; [unrolled: 1-line block ×3, first 2 shown]
	s_waitcnt lgkmcnt(0)
	s_bitcmp1_b32 s9, 0
	v_mov_b32_e32 v4, s3
	v_mov_b32_e32 v3, s2
	s_cselect_b32 s7, -1, 0
	s_and_b32 vcc_lo, exec_lo, s7
	s_xor_b32 s7, s7, -1
	s_cbranch_vccnz .LBB81_2
; %bb.1:
	v_mov_b32_e32 v1, s2
	v_mov_b32_e32 v2, s3
	flat_load_dwordx2 v[3:4], v[1:2]
.LBB81_2:
	v_mov_b32_e32 v2, s1
	v_mov_b32_e32 v1, s0
	s_andn2_b32 vcc_lo, exec_lo, s7
	s_cbranch_vccnz .LBB81_4
; %bb.3:
	v_mov_b32_e32 v2, s1
	v_mov_b32_e32 v1, s0
	flat_load_dwordx2 v[1:2], v[1:2]
.LBB81_4:
	s_waitcnt vmcnt(0) lgkmcnt(0)
	v_cmp_neq_f64_e32 vcc_lo, 0, v[3:4]
	v_cmp_neq_f64_e64 s0, 1.0, v[1:2]
	s_or_b32 s0, vcc_lo, s0
	s_and_saveexec_b32 s1, s0
	s_cbranch_execz .LBB81_15
; %bb.5:
	s_load_dword s0, s[4:5], 0x0
	v_lshrrev_b32_e32 v5, 2, v0
	v_lshl_or_b32 v5, s6, 5, v5
	s_waitcnt lgkmcnt(0)
	v_cmp_gt_i32_e32 vcc_lo, s0, v5
	s_and_b32 exec_lo, exec_lo, vcc_lo
	s_cbranch_execz .LBB81_15
; %bb.6:
	s_clause 0x1
	s_load_dwordx2 s[0:1], s[4:5], 0x10
	s_load_dwordx2 s[6:7], s[4:5], 0x38
	v_ashrrev_i32_e32 v6, 31, v5
	v_and_b32_e32 v0, 3, v0
	s_mov_b32 s9, exec_lo
	v_lshlrev_b64 v[7:8], 2, v[5:6]
	v_subrev_nc_u32_e32 v9, s8, v0
	s_waitcnt lgkmcnt(0)
	v_add_co_u32 v7, vcc_lo, s0, v7
	v_add_co_ci_u32_e64 v8, null, s1, v8, vcc_lo
	global_load_dwordx2 v[7:8], v[7:8], off
	s_waitcnt vmcnt(0)
	v_subrev_nc_u32_e32 v13, s8, v8
	v_add_nc_u32_e32 v9, v7, v9
	v_mov_b32_e32 v7, 0
	v_mov_b32_e32 v8, 0
	v_cmpx_lt_i32_e64 v9, v13
	s_cbranch_execz .LBB81_10
; %bb.7:
	s_clause 0x1
	s_load_dwordx4 s[0:3], s[4:5], 0x18
	s_load_dwordx2 s[4:5], s[4:5], 0x28
	v_mov_b32_e32 v7, 0
	v_lshl_add_u32 v11, v9, 1, v9
	v_mov_b32_e32 v8, 0
	v_mov_b32_e32 v12, 0
	s_mov_b32 s10, 0
.LBB81_8:                               ; =>This Inner Loop Header: Depth=1
	v_ashrrev_i32_e32 v10, 31, v9
	v_mov_b32_e32 v17, v12
	v_add_nc_u32_e32 v19, 1, v11
	v_mov_b32_e32 v20, v12
	v_mov_b32_e32 v21, v12
	v_lshlrev_b64 v[14:15], 2, v[9:10]
	v_mov_b32_e32 v24, v12
	v_mov_b32_e32 v25, v12
	v_lshlrev_b64 v[22:23], 3, v[19:20]
	v_add_nc_u32_e32 v9, 4, v9
	s_waitcnt lgkmcnt(0)
	v_add_co_u32 v14, vcc_lo, s0, v14
	v_add_co_ci_u32_e64 v15, null, s1, v15, vcc_lo
	global_load_dword v10, v[14:15], off
	v_lshlrev_b64 v[14:15], 3, v[11:12]
	v_add_co_u32 v14, vcc_lo, s2, v14
	v_add_co_ci_u32_e64 v15, null, s3, v15, vcc_lo
	s_waitcnt vmcnt(0)
	v_subrev_nc_u32_e32 v10, s8, v10
	v_lshl_add_u32 v16, v10, 1, v10
	v_lshlrev_b64 v[17:18], 3, v[16:17]
	v_add_nc_u32_e32 v20, 1, v16
	v_add_co_u32 v17, vcc_lo, s4, v17
	v_add_co_ci_u32_e64 v18, null, s5, v18, vcc_lo
	v_add_co_u32 v19, vcc_lo, s2, v22
	global_load_dwordx2 v[14:15], v[14:15], off
	global_load_dwordx2 v[17:18], v[17:18], off
	v_lshlrev_b64 v[21:22], 3, v[20:21]
	v_add_co_ci_u32_e64 v20, null, s3, v23, vcc_lo
	v_add_nc_u32_e32 v23, 2, v11
	v_add_nc_u32_e32 v11, 12, v11
	v_add_co_u32 v21, vcc_lo, s4, v21
	v_add_co_ci_u32_e64 v22, null, s5, v22, vcc_lo
	global_load_dwordx2 v[19:20], v[19:20], off
	global_load_dwordx2 v[21:22], v[21:22], off
	v_lshlrev_b64 v[26:27], 3, v[23:24]
	v_add_nc_u32_e32 v24, 2, v16
	v_add_co_u32 v23, vcc_lo, s2, v26
	v_lshlrev_b64 v[25:26], 3, v[24:25]
	v_add_co_ci_u32_e64 v24, null, s3, v27, vcc_lo
	v_add_co_u32 v25, vcc_lo, s4, v25
	v_add_co_ci_u32_e64 v26, null, s5, v26, vcc_lo
	global_load_dwordx2 v[23:24], v[23:24], off
	global_load_dwordx2 v[25:26], v[25:26], off
	v_cmp_ge_i32_e32 vcc_lo, v9, v13
	s_or_b32 s10, vcc_lo, s10
	s_waitcnt vmcnt(4)
	v_fma_f64 v[7:8], v[14:15], v[17:18], v[7:8]
	s_waitcnt vmcnt(2)
	v_fma_f64 v[7:8], v[19:20], v[21:22], v[7:8]
	;; [unrolled: 2-line block ×3, first 2 shown]
	s_andn2_b32 exec_lo, exec_lo, s10
	s_cbranch_execnz .LBB81_8
; %bb.9:
	s_or_b32 exec_lo, exec_lo, s10
.LBB81_10:
	s_or_b32 exec_lo, exec_lo, s9
	v_mbcnt_lo_u32_b32 v11, -1, 0
	v_xor_b32_e32 v9, 2, v11
	v_cmp_gt_i32_e32 vcc_lo, 32, v9
	v_cndmask_b32_e32 v9, v11, v9, vcc_lo
	v_lshlrev_b32_e32 v10, 2, v9
	ds_bpermute_b32 v9, v10, v7
	ds_bpermute_b32 v10, v10, v8
	s_waitcnt lgkmcnt(0)
	v_add_f64 v[7:8], v[7:8], v[9:10]
	v_xor_b32_e32 v9, 1, v11
	v_cmp_gt_i32_e32 vcc_lo, 32, v9
	v_cndmask_b32_e32 v9, v11, v9, vcc_lo
	v_cmp_eq_u32_e32 vcc_lo, 3, v0
	v_lshlrev_b32_e32 v10, 2, v9
	ds_bpermute_b32 v9, v10, v7
	ds_bpermute_b32 v10, v10, v8
	s_and_b32 exec_lo, exec_lo, vcc_lo
	s_cbranch_execz .LBB81_15
; %bb.11:
	s_waitcnt lgkmcnt(0)
	v_add_f64 v[7:8], v[7:8], v[9:10]
	v_lshlrev_b64 v[5:6], 3, v[5:6]
	s_mov_b32 s0, exec_lo
	v_mul_f64 v[3:4], v[3:4], v[7:8]
	v_cmpx_eq_f64_e32 0, v[1:2]
	s_xor_b32 s0, exec_lo, s0
	s_cbranch_execz .LBB81_13
; %bb.12:
	v_add_co_u32 v0, vcc_lo, s6, v5
	v_add_co_ci_u32_e64 v1, null, s7, v6, vcc_lo
                                        ; implicit-def: $vgpr5_vgpr6
	global_store_dwordx2 v[0:1], v[3:4], off
                                        ; implicit-def: $vgpr1_vgpr2
                                        ; implicit-def: $vgpr3_vgpr4
.LBB81_13:
	s_andn2_saveexec_b32 s0, s0
	s_cbranch_execz .LBB81_15
; %bb.14:
	v_add_co_u32 v5, vcc_lo, s6, v5
	v_add_co_ci_u32_e64 v6, null, s7, v6, vcc_lo
	global_load_dwordx2 v[7:8], v[5:6], off
	s_waitcnt vmcnt(0)
	v_fma_f64 v[0:1], v[1:2], v[7:8], v[3:4]
	global_store_dwordx2 v[5:6], v[0:1], off
.LBB81_15:
	s_endpgm
	.section	.rodata,"a",@progbits
	.p2align	6, 0x0
	.amdhsa_kernel _ZN9rocsparseL19gebsrmvn_1xn_kernelILj128ELj3ELj4EdEEvi20rocsparse_direction_NS_24const_host_device_scalarIT2_EEPKiS6_PKS3_S8_S4_PS3_21rocsparse_index_base_b
		.amdhsa_group_segment_fixed_size 0
		.amdhsa_private_segment_fixed_size 0
		.amdhsa_kernarg_size 72
		.amdhsa_user_sgpr_count 6
		.amdhsa_user_sgpr_private_segment_buffer 1
		.amdhsa_user_sgpr_dispatch_ptr 0
		.amdhsa_user_sgpr_queue_ptr 0
		.amdhsa_user_sgpr_kernarg_segment_ptr 1
		.amdhsa_user_sgpr_dispatch_id 0
		.amdhsa_user_sgpr_flat_scratch_init 0
		.amdhsa_user_sgpr_private_segment_size 0
		.amdhsa_wavefront_size32 1
		.amdhsa_uses_dynamic_stack 0
		.amdhsa_system_sgpr_private_segment_wavefront_offset 0
		.amdhsa_system_sgpr_workgroup_id_x 1
		.amdhsa_system_sgpr_workgroup_id_y 0
		.amdhsa_system_sgpr_workgroup_id_z 0
		.amdhsa_system_sgpr_workgroup_info 0
		.amdhsa_system_vgpr_workitem_id 0
		.amdhsa_next_free_vgpr 28
		.amdhsa_next_free_sgpr 11
		.amdhsa_reserve_vcc 1
		.amdhsa_reserve_flat_scratch 0
		.amdhsa_float_round_mode_32 0
		.amdhsa_float_round_mode_16_64 0
		.amdhsa_float_denorm_mode_32 3
		.amdhsa_float_denorm_mode_16_64 3
		.amdhsa_dx10_clamp 1
		.amdhsa_ieee_mode 1
		.amdhsa_fp16_overflow 0
		.amdhsa_workgroup_processor_mode 1
		.amdhsa_memory_ordered 1
		.amdhsa_forward_progress 1
		.amdhsa_shared_vgpr_count 0
		.amdhsa_exception_fp_ieee_invalid_op 0
		.amdhsa_exception_fp_denorm_src 0
		.amdhsa_exception_fp_ieee_div_zero 0
		.amdhsa_exception_fp_ieee_overflow 0
		.amdhsa_exception_fp_ieee_underflow 0
		.amdhsa_exception_fp_ieee_inexact 0
		.amdhsa_exception_int_div_zero 0
	.end_amdhsa_kernel
	.section	.text._ZN9rocsparseL19gebsrmvn_1xn_kernelILj128ELj3ELj4EdEEvi20rocsparse_direction_NS_24const_host_device_scalarIT2_EEPKiS6_PKS3_S8_S4_PS3_21rocsparse_index_base_b,"axG",@progbits,_ZN9rocsparseL19gebsrmvn_1xn_kernelILj128ELj3ELj4EdEEvi20rocsparse_direction_NS_24const_host_device_scalarIT2_EEPKiS6_PKS3_S8_S4_PS3_21rocsparse_index_base_b,comdat
.Lfunc_end81:
	.size	_ZN9rocsparseL19gebsrmvn_1xn_kernelILj128ELj3ELj4EdEEvi20rocsparse_direction_NS_24const_host_device_scalarIT2_EEPKiS6_PKS3_S8_S4_PS3_21rocsparse_index_base_b, .Lfunc_end81-_ZN9rocsparseL19gebsrmvn_1xn_kernelILj128ELj3ELj4EdEEvi20rocsparse_direction_NS_24const_host_device_scalarIT2_EEPKiS6_PKS3_S8_S4_PS3_21rocsparse_index_base_b
                                        ; -- End function
	.set _ZN9rocsparseL19gebsrmvn_1xn_kernelILj128ELj3ELj4EdEEvi20rocsparse_direction_NS_24const_host_device_scalarIT2_EEPKiS6_PKS3_S8_S4_PS3_21rocsparse_index_base_b.num_vgpr, 28
	.set _ZN9rocsparseL19gebsrmvn_1xn_kernelILj128ELj3ELj4EdEEvi20rocsparse_direction_NS_24const_host_device_scalarIT2_EEPKiS6_PKS3_S8_S4_PS3_21rocsparse_index_base_b.num_agpr, 0
	.set _ZN9rocsparseL19gebsrmvn_1xn_kernelILj128ELj3ELj4EdEEvi20rocsparse_direction_NS_24const_host_device_scalarIT2_EEPKiS6_PKS3_S8_S4_PS3_21rocsparse_index_base_b.numbered_sgpr, 11
	.set _ZN9rocsparseL19gebsrmvn_1xn_kernelILj128ELj3ELj4EdEEvi20rocsparse_direction_NS_24const_host_device_scalarIT2_EEPKiS6_PKS3_S8_S4_PS3_21rocsparse_index_base_b.num_named_barrier, 0
	.set _ZN9rocsparseL19gebsrmvn_1xn_kernelILj128ELj3ELj4EdEEvi20rocsparse_direction_NS_24const_host_device_scalarIT2_EEPKiS6_PKS3_S8_S4_PS3_21rocsparse_index_base_b.private_seg_size, 0
	.set _ZN9rocsparseL19gebsrmvn_1xn_kernelILj128ELj3ELj4EdEEvi20rocsparse_direction_NS_24const_host_device_scalarIT2_EEPKiS6_PKS3_S8_S4_PS3_21rocsparse_index_base_b.uses_vcc, 1
	.set _ZN9rocsparseL19gebsrmvn_1xn_kernelILj128ELj3ELj4EdEEvi20rocsparse_direction_NS_24const_host_device_scalarIT2_EEPKiS6_PKS3_S8_S4_PS3_21rocsparse_index_base_b.uses_flat_scratch, 0
	.set _ZN9rocsparseL19gebsrmvn_1xn_kernelILj128ELj3ELj4EdEEvi20rocsparse_direction_NS_24const_host_device_scalarIT2_EEPKiS6_PKS3_S8_S4_PS3_21rocsparse_index_base_b.has_dyn_sized_stack, 0
	.set _ZN9rocsparseL19gebsrmvn_1xn_kernelILj128ELj3ELj4EdEEvi20rocsparse_direction_NS_24const_host_device_scalarIT2_EEPKiS6_PKS3_S8_S4_PS3_21rocsparse_index_base_b.has_recursion, 0
	.set _ZN9rocsparseL19gebsrmvn_1xn_kernelILj128ELj3ELj4EdEEvi20rocsparse_direction_NS_24const_host_device_scalarIT2_EEPKiS6_PKS3_S8_S4_PS3_21rocsparse_index_base_b.has_indirect_call, 0
	.section	.AMDGPU.csdata,"",@progbits
; Kernel info:
; codeLenInByte = 892
; TotalNumSgprs: 13
; NumVgprs: 28
; ScratchSize: 0
; MemoryBound: 0
; FloatMode: 240
; IeeeMode: 1
; LDSByteSize: 0 bytes/workgroup (compile time only)
; SGPRBlocks: 0
; VGPRBlocks: 3
; NumSGPRsForWavesPerEU: 13
; NumVGPRsForWavesPerEU: 28
; Occupancy: 16
; WaveLimiterHint : 1
; COMPUTE_PGM_RSRC2:SCRATCH_EN: 0
; COMPUTE_PGM_RSRC2:USER_SGPR: 6
; COMPUTE_PGM_RSRC2:TRAP_HANDLER: 0
; COMPUTE_PGM_RSRC2:TGID_X_EN: 1
; COMPUTE_PGM_RSRC2:TGID_Y_EN: 0
; COMPUTE_PGM_RSRC2:TGID_Z_EN: 0
; COMPUTE_PGM_RSRC2:TIDIG_COMP_CNT: 0
	.section	.text._ZN9rocsparseL19gebsrmvn_1xn_kernelILj128ELj3ELj8EdEEvi20rocsparse_direction_NS_24const_host_device_scalarIT2_EEPKiS6_PKS3_S8_S4_PS3_21rocsparse_index_base_b,"axG",@progbits,_ZN9rocsparseL19gebsrmvn_1xn_kernelILj128ELj3ELj8EdEEvi20rocsparse_direction_NS_24const_host_device_scalarIT2_EEPKiS6_PKS3_S8_S4_PS3_21rocsparse_index_base_b,comdat
	.globl	_ZN9rocsparseL19gebsrmvn_1xn_kernelILj128ELj3ELj8EdEEvi20rocsparse_direction_NS_24const_host_device_scalarIT2_EEPKiS6_PKS3_S8_S4_PS3_21rocsparse_index_base_b ; -- Begin function _ZN9rocsparseL19gebsrmvn_1xn_kernelILj128ELj3ELj8EdEEvi20rocsparse_direction_NS_24const_host_device_scalarIT2_EEPKiS6_PKS3_S8_S4_PS3_21rocsparse_index_base_b
	.p2align	8
	.type	_ZN9rocsparseL19gebsrmvn_1xn_kernelILj128ELj3ELj8EdEEvi20rocsparse_direction_NS_24const_host_device_scalarIT2_EEPKiS6_PKS3_S8_S4_PS3_21rocsparse_index_base_b,@function
_ZN9rocsparseL19gebsrmvn_1xn_kernelILj128ELj3ELj8EdEEvi20rocsparse_direction_NS_24const_host_device_scalarIT2_EEPKiS6_PKS3_S8_S4_PS3_21rocsparse_index_base_b: ; @_ZN9rocsparseL19gebsrmvn_1xn_kernelILj128ELj3ELj8EdEEvi20rocsparse_direction_NS_24const_host_device_scalarIT2_EEPKiS6_PKS3_S8_S4_PS3_21rocsparse_index_base_b
; %bb.0:
	s_clause 0x2
	s_load_dwordx2 s[8:9], s[4:5], 0x40
	s_load_dwordx2 s[2:3], s[4:5], 0x8
	;; [unrolled: 1-line block ×3, first 2 shown]
	s_waitcnt lgkmcnt(0)
	s_bitcmp1_b32 s9, 0
	v_mov_b32_e32 v4, s3
	v_mov_b32_e32 v3, s2
	s_cselect_b32 s7, -1, 0
	s_and_b32 vcc_lo, exec_lo, s7
	s_xor_b32 s7, s7, -1
	s_cbranch_vccnz .LBB82_2
; %bb.1:
	v_mov_b32_e32 v1, s2
	v_mov_b32_e32 v2, s3
	flat_load_dwordx2 v[3:4], v[1:2]
.LBB82_2:
	v_mov_b32_e32 v2, s1
	v_mov_b32_e32 v1, s0
	s_andn2_b32 vcc_lo, exec_lo, s7
	s_cbranch_vccnz .LBB82_4
; %bb.3:
	v_mov_b32_e32 v2, s1
	v_mov_b32_e32 v1, s0
	flat_load_dwordx2 v[1:2], v[1:2]
.LBB82_4:
	s_waitcnt vmcnt(0) lgkmcnt(0)
	v_cmp_neq_f64_e32 vcc_lo, 0, v[3:4]
	v_cmp_neq_f64_e64 s0, 1.0, v[1:2]
	s_or_b32 s0, vcc_lo, s0
	s_and_saveexec_b32 s1, s0
	s_cbranch_execz .LBB82_15
; %bb.5:
	s_load_dword s0, s[4:5], 0x0
	v_lshrrev_b32_e32 v5, 3, v0
	v_lshl_or_b32 v5, s6, 4, v5
	s_waitcnt lgkmcnt(0)
	v_cmp_gt_i32_e32 vcc_lo, s0, v5
	s_and_b32 exec_lo, exec_lo, vcc_lo
	s_cbranch_execz .LBB82_15
; %bb.6:
	s_clause 0x1
	s_load_dwordx2 s[0:1], s[4:5], 0x10
	s_load_dwordx2 s[6:7], s[4:5], 0x38
	v_ashrrev_i32_e32 v6, 31, v5
	v_and_b32_e32 v0, 7, v0
	s_mov_b32 s9, exec_lo
	v_lshlrev_b64 v[7:8], 2, v[5:6]
	v_subrev_nc_u32_e32 v9, s8, v0
	s_waitcnt lgkmcnt(0)
	v_add_co_u32 v7, vcc_lo, s0, v7
	v_add_co_ci_u32_e64 v8, null, s1, v8, vcc_lo
	global_load_dwordx2 v[7:8], v[7:8], off
	s_waitcnt vmcnt(0)
	v_subrev_nc_u32_e32 v13, s8, v8
	v_add_nc_u32_e32 v9, v7, v9
	v_mov_b32_e32 v7, 0
	v_mov_b32_e32 v8, 0
	v_cmpx_lt_i32_e64 v9, v13
	s_cbranch_execz .LBB82_10
; %bb.7:
	s_clause 0x1
	s_load_dwordx4 s[0:3], s[4:5], 0x18
	s_load_dwordx2 s[4:5], s[4:5], 0x28
	v_mov_b32_e32 v7, 0
	v_lshl_add_u32 v11, v9, 1, v9
	v_mov_b32_e32 v8, 0
	v_mov_b32_e32 v12, 0
	s_mov_b32 s10, 0
.LBB82_8:                               ; =>This Inner Loop Header: Depth=1
	v_ashrrev_i32_e32 v10, 31, v9
	v_mov_b32_e32 v17, v12
	v_add_nc_u32_e32 v19, 1, v11
	v_mov_b32_e32 v20, v12
	v_mov_b32_e32 v21, v12
	v_lshlrev_b64 v[14:15], 2, v[9:10]
	v_mov_b32_e32 v24, v12
	v_mov_b32_e32 v25, v12
	v_lshlrev_b64 v[22:23], 3, v[19:20]
	v_add_nc_u32_e32 v9, 8, v9
	s_waitcnt lgkmcnt(0)
	v_add_co_u32 v14, vcc_lo, s0, v14
	v_add_co_ci_u32_e64 v15, null, s1, v15, vcc_lo
	global_load_dword v10, v[14:15], off
	v_lshlrev_b64 v[14:15], 3, v[11:12]
	v_add_co_u32 v14, vcc_lo, s2, v14
	v_add_co_ci_u32_e64 v15, null, s3, v15, vcc_lo
	s_waitcnt vmcnt(0)
	v_subrev_nc_u32_e32 v10, s8, v10
	v_lshl_add_u32 v16, v10, 1, v10
	v_lshlrev_b64 v[17:18], 3, v[16:17]
	v_add_nc_u32_e32 v20, 1, v16
	v_add_co_u32 v17, vcc_lo, s4, v17
	v_add_co_ci_u32_e64 v18, null, s5, v18, vcc_lo
	v_add_co_u32 v19, vcc_lo, s2, v22
	global_load_dwordx2 v[14:15], v[14:15], off
	global_load_dwordx2 v[17:18], v[17:18], off
	v_lshlrev_b64 v[21:22], 3, v[20:21]
	v_add_co_ci_u32_e64 v20, null, s3, v23, vcc_lo
	v_add_nc_u32_e32 v23, 2, v11
	v_add_nc_u32_e32 v11, 24, v11
	v_add_co_u32 v21, vcc_lo, s4, v21
	v_add_co_ci_u32_e64 v22, null, s5, v22, vcc_lo
	global_load_dwordx2 v[19:20], v[19:20], off
	global_load_dwordx2 v[21:22], v[21:22], off
	v_lshlrev_b64 v[26:27], 3, v[23:24]
	v_add_nc_u32_e32 v24, 2, v16
	v_add_co_u32 v23, vcc_lo, s2, v26
	v_lshlrev_b64 v[25:26], 3, v[24:25]
	v_add_co_ci_u32_e64 v24, null, s3, v27, vcc_lo
	v_add_co_u32 v25, vcc_lo, s4, v25
	v_add_co_ci_u32_e64 v26, null, s5, v26, vcc_lo
	global_load_dwordx2 v[23:24], v[23:24], off
	global_load_dwordx2 v[25:26], v[25:26], off
	v_cmp_ge_i32_e32 vcc_lo, v9, v13
	s_or_b32 s10, vcc_lo, s10
	s_waitcnt vmcnt(4)
	v_fma_f64 v[7:8], v[14:15], v[17:18], v[7:8]
	s_waitcnt vmcnt(2)
	v_fma_f64 v[7:8], v[19:20], v[21:22], v[7:8]
	;; [unrolled: 2-line block ×3, first 2 shown]
	s_andn2_b32 exec_lo, exec_lo, s10
	s_cbranch_execnz .LBB82_8
; %bb.9:
	s_or_b32 exec_lo, exec_lo, s10
.LBB82_10:
	s_or_b32 exec_lo, exec_lo, s9
	v_mbcnt_lo_u32_b32 v11, -1, 0
	v_xor_b32_e32 v9, 4, v11
	v_cmp_gt_i32_e32 vcc_lo, 32, v9
	v_cndmask_b32_e32 v9, v11, v9, vcc_lo
	v_lshlrev_b32_e32 v10, 2, v9
	ds_bpermute_b32 v9, v10, v7
	ds_bpermute_b32 v10, v10, v8
	s_waitcnt lgkmcnt(0)
	v_add_f64 v[7:8], v[7:8], v[9:10]
	v_xor_b32_e32 v9, 2, v11
	v_cmp_gt_i32_e32 vcc_lo, 32, v9
	v_cndmask_b32_e32 v9, v11, v9, vcc_lo
	v_lshlrev_b32_e32 v10, 2, v9
	ds_bpermute_b32 v9, v10, v7
	ds_bpermute_b32 v10, v10, v8
	s_waitcnt lgkmcnt(0)
	v_add_f64 v[7:8], v[7:8], v[9:10]
	v_xor_b32_e32 v9, 1, v11
	v_cmp_gt_i32_e32 vcc_lo, 32, v9
	v_cndmask_b32_e32 v9, v11, v9, vcc_lo
	v_cmp_eq_u32_e32 vcc_lo, 7, v0
	v_lshlrev_b32_e32 v10, 2, v9
	ds_bpermute_b32 v9, v10, v7
	ds_bpermute_b32 v10, v10, v8
	s_and_b32 exec_lo, exec_lo, vcc_lo
	s_cbranch_execz .LBB82_15
; %bb.11:
	s_waitcnt lgkmcnt(0)
	v_add_f64 v[7:8], v[7:8], v[9:10]
	v_lshlrev_b64 v[5:6], 3, v[5:6]
	s_mov_b32 s0, exec_lo
	v_mul_f64 v[3:4], v[3:4], v[7:8]
	v_cmpx_eq_f64_e32 0, v[1:2]
	s_xor_b32 s0, exec_lo, s0
	s_cbranch_execz .LBB82_13
; %bb.12:
	v_add_co_u32 v0, vcc_lo, s6, v5
	v_add_co_ci_u32_e64 v1, null, s7, v6, vcc_lo
                                        ; implicit-def: $vgpr5_vgpr6
	global_store_dwordx2 v[0:1], v[3:4], off
                                        ; implicit-def: $vgpr1_vgpr2
                                        ; implicit-def: $vgpr3_vgpr4
.LBB82_13:
	s_andn2_saveexec_b32 s0, s0
	s_cbranch_execz .LBB82_15
; %bb.14:
	v_add_co_u32 v5, vcc_lo, s6, v5
	v_add_co_ci_u32_e64 v6, null, s7, v6, vcc_lo
	global_load_dwordx2 v[7:8], v[5:6], off
	s_waitcnt vmcnt(0)
	v_fma_f64 v[0:1], v[1:2], v[7:8], v[3:4]
	global_store_dwordx2 v[5:6], v[0:1], off
.LBB82_15:
	s_endpgm
	.section	.rodata,"a",@progbits
	.p2align	6, 0x0
	.amdhsa_kernel _ZN9rocsparseL19gebsrmvn_1xn_kernelILj128ELj3ELj8EdEEvi20rocsparse_direction_NS_24const_host_device_scalarIT2_EEPKiS6_PKS3_S8_S4_PS3_21rocsparse_index_base_b
		.amdhsa_group_segment_fixed_size 0
		.amdhsa_private_segment_fixed_size 0
		.amdhsa_kernarg_size 72
		.amdhsa_user_sgpr_count 6
		.amdhsa_user_sgpr_private_segment_buffer 1
		.amdhsa_user_sgpr_dispatch_ptr 0
		.amdhsa_user_sgpr_queue_ptr 0
		.amdhsa_user_sgpr_kernarg_segment_ptr 1
		.amdhsa_user_sgpr_dispatch_id 0
		.amdhsa_user_sgpr_flat_scratch_init 0
		.amdhsa_user_sgpr_private_segment_size 0
		.amdhsa_wavefront_size32 1
		.amdhsa_uses_dynamic_stack 0
		.amdhsa_system_sgpr_private_segment_wavefront_offset 0
		.amdhsa_system_sgpr_workgroup_id_x 1
		.amdhsa_system_sgpr_workgroup_id_y 0
		.amdhsa_system_sgpr_workgroup_id_z 0
		.amdhsa_system_sgpr_workgroup_info 0
		.amdhsa_system_vgpr_workitem_id 0
		.amdhsa_next_free_vgpr 28
		.amdhsa_next_free_sgpr 11
		.amdhsa_reserve_vcc 1
		.amdhsa_reserve_flat_scratch 0
		.amdhsa_float_round_mode_32 0
		.amdhsa_float_round_mode_16_64 0
		.amdhsa_float_denorm_mode_32 3
		.amdhsa_float_denorm_mode_16_64 3
		.amdhsa_dx10_clamp 1
		.amdhsa_ieee_mode 1
		.amdhsa_fp16_overflow 0
		.amdhsa_workgroup_processor_mode 1
		.amdhsa_memory_ordered 1
		.amdhsa_forward_progress 1
		.amdhsa_shared_vgpr_count 0
		.amdhsa_exception_fp_ieee_invalid_op 0
		.amdhsa_exception_fp_denorm_src 0
		.amdhsa_exception_fp_ieee_div_zero 0
		.amdhsa_exception_fp_ieee_overflow 0
		.amdhsa_exception_fp_ieee_underflow 0
		.amdhsa_exception_fp_ieee_inexact 0
		.amdhsa_exception_int_div_zero 0
	.end_amdhsa_kernel
	.section	.text._ZN9rocsparseL19gebsrmvn_1xn_kernelILj128ELj3ELj8EdEEvi20rocsparse_direction_NS_24const_host_device_scalarIT2_EEPKiS6_PKS3_S8_S4_PS3_21rocsparse_index_base_b,"axG",@progbits,_ZN9rocsparseL19gebsrmvn_1xn_kernelILj128ELj3ELj8EdEEvi20rocsparse_direction_NS_24const_host_device_scalarIT2_EEPKiS6_PKS3_S8_S4_PS3_21rocsparse_index_base_b,comdat
.Lfunc_end82:
	.size	_ZN9rocsparseL19gebsrmvn_1xn_kernelILj128ELj3ELj8EdEEvi20rocsparse_direction_NS_24const_host_device_scalarIT2_EEPKiS6_PKS3_S8_S4_PS3_21rocsparse_index_base_b, .Lfunc_end82-_ZN9rocsparseL19gebsrmvn_1xn_kernelILj128ELj3ELj8EdEEvi20rocsparse_direction_NS_24const_host_device_scalarIT2_EEPKiS6_PKS3_S8_S4_PS3_21rocsparse_index_base_b
                                        ; -- End function
	.set _ZN9rocsparseL19gebsrmvn_1xn_kernelILj128ELj3ELj8EdEEvi20rocsparse_direction_NS_24const_host_device_scalarIT2_EEPKiS6_PKS3_S8_S4_PS3_21rocsparse_index_base_b.num_vgpr, 28
	.set _ZN9rocsparseL19gebsrmvn_1xn_kernelILj128ELj3ELj8EdEEvi20rocsparse_direction_NS_24const_host_device_scalarIT2_EEPKiS6_PKS3_S8_S4_PS3_21rocsparse_index_base_b.num_agpr, 0
	.set _ZN9rocsparseL19gebsrmvn_1xn_kernelILj128ELj3ELj8EdEEvi20rocsparse_direction_NS_24const_host_device_scalarIT2_EEPKiS6_PKS3_S8_S4_PS3_21rocsparse_index_base_b.numbered_sgpr, 11
	.set _ZN9rocsparseL19gebsrmvn_1xn_kernelILj128ELj3ELj8EdEEvi20rocsparse_direction_NS_24const_host_device_scalarIT2_EEPKiS6_PKS3_S8_S4_PS3_21rocsparse_index_base_b.num_named_barrier, 0
	.set _ZN9rocsparseL19gebsrmvn_1xn_kernelILj128ELj3ELj8EdEEvi20rocsparse_direction_NS_24const_host_device_scalarIT2_EEPKiS6_PKS3_S8_S4_PS3_21rocsparse_index_base_b.private_seg_size, 0
	.set _ZN9rocsparseL19gebsrmvn_1xn_kernelILj128ELj3ELj8EdEEvi20rocsparse_direction_NS_24const_host_device_scalarIT2_EEPKiS6_PKS3_S8_S4_PS3_21rocsparse_index_base_b.uses_vcc, 1
	.set _ZN9rocsparseL19gebsrmvn_1xn_kernelILj128ELj3ELj8EdEEvi20rocsparse_direction_NS_24const_host_device_scalarIT2_EEPKiS6_PKS3_S8_S4_PS3_21rocsparse_index_base_b.uses_flat_scratch, 0
	.set _ZN9rocsparseL19gebsrmvn_1xn_kernelILj128ELj3ELj8EdEEvi20rocsparse_direction_NS_24const_host_device_scalarIT2_EEPKiS6_PKS3_S8_S4_PS3_21rocsparse_index_base_b.has_dyn_sized_stack, 0
	.set _ZN9rocsparseL19gebsrmvn_1xn_kernelILj128ELj3ELj8EdEEvi20rocsparse_direction_NS_24const_host_device_scalarIT2_EEPKiS6_PKS3_S8_S4_PS3_21rocsparse_index_base_b.has_recursion, 0
	.set _ZN9rocsparseL19gebsrmvn_1xn_kernelILj128ELj3ELj8EdEEvi20rocsparse_direction_NS_24const_host_device_scalarIT2_EEPKiS6_PKS3_S8_S4_PS3_21rocsparse_index_base_b.has_indirect_call, 0
	.section	.AMDGPU.csdata,"",@progbits
; Kernel info:
; codeLenInByte = 936
; TotalNumSgprs: 13
; NumVgprs: 28
; ScratchSize: 0
; MemoryBound: 0
; FloatMode: 240
; IeeeMode: 1
; LDSByteSize: 0 bytes/workgroup (compile time only)
; SGPRBlocks: 0
; VGPRBlocks: 3
; NumSGPRsForWavesPerEU: 13
; NumVGPRsForWavesPerEU: 28
; Occupancy: 16
; WaveLimiterHint : 1
; COMPUTE_PGM_RSRC2:SCRATCH_EN: 0
; COMPUTE_PGM_RSRC2:USER_SGPR: 6
; COMPUTE_PGM_RSRC2:TRAP_HANDLER: 0
; COMPUTE_PGM_RSRC2:TGID_X_EN: 1
; COMPUTE_PGM_RSRC2:TGID_Y_EN: 0
; COMPUTE_PGM_RSRC2:TGID_Z_EN: 0
; COMPUTE_PGM_RSRC2:TIDIG_COMP_CNT: 0
	.section	.text._ZN9rocsparseL19gebsrmvn_1xn_kernelILj128ELj3ELj16EdEEvi20rocsparse_direction_NS_24const_host_device_scalarIT2_EEPKiS6_PKS3_S8_S4_PS3_21rocsparse_index_base_b,"axG",@progbits,_ZN9rocsparseL19gebsrmvn_1xn_kernelILj128ELj3ELj16EdEEvi20rocsparse_direction_NS_24const_host_device_scalarIT2_EEPKiS6_PKS3_S8_S4_PS3_21rocsparse_index_base_b,comdat
	.globl	_ZN9rocsparseL19gebsrmvn_1xn_kernelILj128ELj3ELj16EdEEvi20rocsparse_direction_NS_24const_host_device_scalarIT2_EEPKiS6_PKS3_S8_S4_PS3_21rocsparse_index_base_b ; -- Begin function _ZN9rocsparseL19gebsrmvn_1xn_kernelILj128ELj3ELj16EdEEvi20rocsparse_direction_NS_24const_host_device_scalarIT2_EEPKiS6_PKS3_S8_S4_PS3_21rocsparse_index_base_b
	.p2align	8
	.type	_ZN9rocsparseL19gebsrmvn_1xn_kernelILj128ELj3ELj16EdEEvi20rocsparse_direction_NS_24const_host_device_scalarIT2_EEPKiS6_PKS3_S8_S4_PS3_21rocsparse_index_base_b,@function
_ZN9rocsparseL19gebsrmvn_1xn_kernelILj128ELj3ELj16EdEEvi20rocsparse_direction_NS_24const_host_device_scalarIT2_EEPKiS6_PKS3_S8_S4_PS3_21rocsparse_index_base_b: ; @_ZN9rocsparseL19gebsrmvn_1xn_kernelILj128ELj3ELj16EdEEvi20rocsparse_direction_NS_24const_host_device_scalarIT2_EEPKiS6_PKS3_S8_S4_PS3_21rocsparse_index_base_b
; %bb.0:
	s_clause 0x2
	s_load_dwordx2 s[8:9], s[4:5], 0x40
	s_load_dwordx2 s[2:3], s[4:5], 0x8
	;; [unrolled: 1-line block ×3, first 2 shown]
	s_waitcnt lgkmcnt(0)
	s_bitcmp1_b32 s9, 0
	v_mov_b32_e32 v4, s3
	v_mov_b32_e32 v3, s2
	s_cselect_b32 s7, -1, 0
	s_and_b32 vcc_lo, exec_lo, s7
	s_xor_b32 s7, s7, -1
	s_cbranch_vccnz .LBB83_2
; %bb.1:
	v_mov_b32_e32 v1, s2
	v_mov_b32_e32 v2, s3
	flat_load_dwordx2 v[3:4], v[1:2]
.LBB83_2:
	v_mov_b32_e32 v2, s1
	v_mov_b32_e32 v1, s0
	s_andn2_b32 vcc_lo, exec_lo, s7
	s_cbranch_vccnz .LBB83_4
; %bb.3:
	v_mov_b32_e32 v2, s1
	v_mov_b32_e32 v1, s0
	flat_load_dwordx2 v[1:2], v[1:2]
.LBB83_4:
	s_waitcnt vmcnt(0) lgkmcnt(0)
	v_cmp_neq_f64_e32 vcc_lo, 0, v[3:4]
	v_cmp_neq_f64_e64 s0, 1.0, v[1:2]
	s_or_b32 s0, vcc_lo, s0
	s_and_saveexec_b32 s1, s0
	s_cbranch_execz .LBB83_15
; %bb.5:
	s_load_dword s0, s[4:5], 0x0
	v_lshrrev_b32_e32 v5, 4, v0
	v_lshl_or_b32 v5, s6, 3, v5
	s_waitcnt lgkmcnt(0)
	v_cmp_gt_i32_e32 vcc_lo, s0, v5
	s_and_b32 exec_lo, exec_lo, vcc_lo
	s_cbranch_execz .LBB83_15
; %bb.6:
	s_clause 0x1
	s_load_dwordx2 s[0:1], s[4:5], 0x10
	s_load_dwordx2 s[6:7], s[4:5], 0x38
	v_ashrrev_i32_e32 v6, 31, v5
	v_and_b32_e32 v0, 15, v0
	s_mov_b32 s9, exec_lo
	v_lshlrev_b64 v[7:8], 2, v[5:6]
	v_subrev_nc_u32_e32 v9, s8, v0
	s_waitcnt lgkmcnt(0)
	v_add_co_u32 v7, vcc_lo, s0, v7
	v_add_co_ci_u32_e64 v8, null, s1, v8, vcc_lo
	global_load_dwordx2 v[7:8], v[7:8], off
	s_waitcnt vmcnt(0)
	v_subrev_nc_u32_e32 v13, s8, v8
	v_add_nc_u32_e32 v9, v7, v9
	v_mov_b32_e32 v7, 0
	v_mov_b32_e32 v8, 0
	v_cmpx_lt_i32_e64 v9, v13
	s_cbranch_execz .LBB83_10
; %bb.7:
	s_clause 0x1
	s_load_dwordx4 s[0:3], s[4:5], 0x18
	s_load_dwordx2 s[4:5], s[4:5], 0x28
	v_mov_b32_e32 v7, 0
	v_lshl_add_u32 v11, v9, 1, v9
	v_mov_b32_e32 v8, 0
	v_mov_b32_e32 v12, 0
	s_mov_b32 s10, 0
.LBB83_8:                               ; =>This Inner Loop Header: Depth=1
	v_ashrrev_i32_e32 v10, 31, v9
	v_mov_b32_e32 v17, v12
	v_add_nc_u32_e32 v19, 1, v11
	v_mov_b32_e32 v20, v12
	v_mov_b32_e32 v21, v12
	v_lshlrev_b64 v[14:15], 2, v[9:10]
	v_mov_b32_e32 v24, v12
	v_mov_b32_e32 v25, v12
	v_lshlrev_b64 v[22:23], 3, v[19:20]
	v_add_nc_u32_e32 v9, 16, v9
	s_waitcnt lgkmcnt(0)
	v_add_co_u32 v14, vcc_lo, s0, v14
	v_add_co_ci_u32_e64 v15, null, s1, v15, vcc_lo
	global_load_dword v10, v[14:15], off
	v_lshlrev_b64 v[14:15], 3, v[11:12]
	v_add_co_u32 v14, vcc_lo, s2, v14
	v_add_co_ci_u32_e64 v15, null, s3, v15, vcc_lo
	s_waitcnt vmcnt(0)
	v_subrev_nc_u32_e32 v10, s8, v10
	v_lshl_add_u32 v16, v10, 1, v10
	v_lshlrev_b64 v[17:18], 3, v[16:17]
	v_add_nc_u32_e32 v20, 1, v16
	v_add_co_u32 v17, vcc_lo, s4, v17
	v_add_co_ci_u32_e64 v18, null, s5, v18, vcc_lo
	v_add_co_u32 v19, vcc_lo, s2, v22
	global_load_dwordx2 v[14:15], v[14:15], off
	global_load_dwordx2 v[17:18], v[17:18], off
	v_lshlrev_b64 v[21:22], 3, v[20:21]
	v_add_co_ci_u32_e64 v20, null, s3, v23, vcc_lo
	v_add_nc_u32_e32 v23, 2, v11
	v_add_nc_u32_e32 v11, 48, v11
	v_add_co_u32 v21, vcc_lo, s4, v21
	v_add_co_ci_u32_e64 v22, null, s5, v22, vcc_lo
	global_load_dwordx2 v[19:20], v[19:20], off
	global_load_dwordx2 v[21:22], v[21:22], off
	v_lshlrev_b64 v[26:27], 3, v[23:24]
	v_add_nc_u32_e32 v24, 2, v16
	v_add_co_u32 v23, vcc_lo, s2, v26
	v_lshlrev_b64 v[25:26], 3, v[24:25]
	v_add_co_ci_u32_e64 v24, null, s3, v27, vcc_lo
	v_add_co_u32 v25, vcc_lo, s4, v25
	v_add_co_ci_u32_e64 v26, null, s5, v26, vcc_lo
	global_load_dwordx2 v[23:24], v[23:24], off
	global_load_dwordx2 v[25:26], v[25:26], off
	v_cmp_ge_i32_e32 vcc_lo, v9, v13
	s_or_b32 s10, vcc_lo, s10
	s_waitcnt vmcnt(4)
	v_fma_f64 v[7:8], v[14:15], v[17:18], v[7:8]
	s_waitcnt vmcnt(2)
	v_fma_f64 v[7:8], v[19:20], v[21:22], v[7:8]
	;; [unrolled: 2-line block ×3, first 2 shown]
	s_andn2_b32 exec_lo, exec_lo, s10
	s_cbranch_execnz .LBB83_8
; %bb.9:
	s_or_b32 exec_lo, exec_lo, s10
.LBB83_10:
	s_or_b32 exec_lo, exec_lo, s9
	v_mbcnt_lo_u32_b32 v11, -1, 0
	v_xor_b32_e32 v9, 8, v11
	v_cmp_gt_i32_e32 vcc_lo, 32, v9
	v_cndmask_b32_e32 v9, v11, v9, vcc_lo
	v_lshlrev_b32_e32 v10, 2, v9
	ds_bpermute_b32 v9, v10, v7
	ds_bpermute_b32 v10, v10, v8
	s_waitcnt lgkmcnt(0)
	v_add_f64 v[7:8], v[7:8], v[9:10]
	v_xor_b32_e32 v9, 4, v11
	v_cmp_gt_i32_e32 vcc_lo, 32, v9
	v_cndmask_b32_e32 v9, v11, v9, vcc_lo
	v_lshlrev_b32_e32 v10, 2, v9
	ds_bpermute_b32 v9, v10, v7
	ds_bpermute_b32 v10, v10, v8
	s_waitcnt lgkmcnt(0)
	v_add_f64 v[7:8], v[7:8], v[9:10]
	;; [unrolled: 8-line block ×3, first 2 shown]
	v_xor_b32_e32 v9, 1, v11
	v_cmp_gt_i32_e32 vcc_lo, 32, v9
	v_cndmask_b32_e32 v9, v11, v9, vcc_lo
	v_cmp_eq_u32_e32 vcc_lo, 15, v0
	v_lshlrev_b32_e32 v10, 2, v9
	ds_bpermute_b32 v9, v10, v7
	ds_bpermute_b32 v10, v10, v8
	s_and_b32 exec_lo, exec_lo, vcc_lo
	s_cbranch_execz .LBB83_15
; %bb.11:
	s_waitcnt lgkmcnt(0)
	v_add_f64 v[7:8], v[7:8], v[9:10]
	v_lshlrev_b64 v[5:6], 3, v[5:6]
	s_mov_b32 s0, exec_lo
	v_mul_f64 v[3:4], v[3:4], v[7:8]
	v_cmpx_eq_f64_e32 0, v[1:2]
	s_xor_b32 s0, exec_lo, s0
	s_cbranch_execz .LBB83_13
; %bb.12:
	v_add_co_u32 v0, vcc_lo, s6, v5
	v_add_co_ci_u32_e64 v1, null, s7, v6, vcc_lo
                                        ; implicit-def: $vgpr5_vgpr6
	global_store_dwordx2 v[0:1], v[3:4], off
                                        ; implicit-def: $vgpr1_vgpr2
                                        ; implicit-def: $vgpr3_vgpr4
.LBB83_13:
	s_andn2_saveexec_b32 s0, s0
	s_cbranch_execz .LBB83_15
; %bb.14:
	v_add_co_u32 v5, vcc_lo, s6, v5
	v_add_co_ci_u32_e64 v6, null, s7, v6, vcc_lo
	global_load_dwordx2 v[7:8], v[5:6], off
	s_waitcnt vmcnt(0)
	v_fma_f64 v[0:1], v[1:2], v[7:8], v[3:4]
	global_store_dwordx2 v[5:6], v[0:1], off
.LBB83_15:
	s_endpgm
	.section	.rodata,"a",@progbits
	.p2align	6, 0x0
	.amdhsa_kernel _ZN9rocsparseL19gebsrmvn_1xn_kernelILj128ELj3ELj16EdEEvi20rocsparse_direction_NS_24const_host_device_scalarIT2_EEPKiS6_PKS3_S8_S4_PS3_21rocsparse_index_base_b
		.amdhsa_group_segment_fixed_size 0
		.amdhsa_private_segment_fixed_size 0
		.amdhsa_kernarg_size 72
		.amdhsa_user_sgpr_count 6
		.amdhsa_user_sgpr_private_segment_buffer 1
		.amdhsa_user_sgpr_dispatch_ptr 0
		.amdhsa_user_sgpr_queue_ptr 0
		.amdhsa_user_sgpr_kernarg_segment_ptr 1
		.amdhsa_user_sgpr_dispatch_id 0
		.amdhsa_user_sgpr_flat_scratch_init 0
		.amdhsa_user_sgpr_private_segment_size 0
		.amdhsa_wavefront_size32 1
		.amdhsa_uses_dynamic_stack 0
		.amdhsa_system_sgpr_private_segment_wavefront_offset 0
		.amdhsa_system_sgpr_workgroup_id_x 1
		.amdhsa_system_sgpr_workgroup_id_y 0
		.amdhsa_system_sgpr_workgroup_id_z 0
		.amdhsa_system_sgpr_workgroup_info 0
		.amdhsa_system_vgpr_workitem_id 0
		.amdhsa_next_free_vgpr 28
		.amdhsa_next_free_sgpr 11
		.amdhsa_reserve_vcc 1
		.amdhsa_reserve_flat_scratch 0
		.amdhsa_float_round_mode_32 0
		.amdhsa_float_round_mode_16_64 0
		.amdhsa_float_denorm_mode_32 3
		.amdhsa_float_denorm_mode_16_64 3
		.amdhsa_dx10_clamp 1
		.amdhsa_ieee_mode 1
		.amdhsa_fp16_overflow 0
		.amdhsa_workgroup_processor_mode 1
		.amdhsa_memory_ordered 1
		.amdhsa_forward_progress 1
		.amdhsa_shared_vgpr_count 0
		.amdhsa_exception_fp_ieee_invalid_op 0
		.amdhsa_exception_fp_denorm_src 0
		.amdhsa_exception_fp_ieee_div_zero 0
		.amdhsa_exception_fp_ieee_overflow 0
		.amdhsa_exception_fp_ieee_underflow 0
		.amdhsa_exception_fp_ieee_inexact 0
		.amdhsa_exception_int_div_zero 0
	.end_amdhsa_kernel
	.section	.text._ZN9rocsparseL19gebsrmvn_1xn_kernelILj128ELj3ELj16EdEEvi20rocsparse_direction_NS_24const_host_device_scalarIT2_EEPKiS6_PKS3_S8_S4_PS3_21rocsparse_index_base_b,"axG",@progbits,_ZN9rocsparseL19gebsrmvn_1xn_kernelILj128ELj3ELj16EdEEvi20rocsparse_direction_NS_24const_host_device_scalarIT2_EEPKiS6_PKS3_S8_S4_PS3_21rocsparse_index_base_b,comdat
.Lfunc_end83:
	.size	_ZN9rocsparseL19gebsrmvn_1xn_kernelILj128ELj3ELj16EdEEvi20rocsparse_direction_NS_24const_host_device_scalarIT2_EEPKiS6_PKS3_S8_S4_PS3_21rocsparse_index_base_b, .Lfunc_end83-_ZN9rocsparseL19gebsrmvn_1xn_kernelILj128ELj3ELj16EdEEvi20rocsparse_direction_NS_24const_host_device_scalarIT2_EEPKiS6_PKS3_S8_S4_PS3_21rocsparse_index_base_b
                                        ; -- End function
	.set _ZN9rocsparseL19gebsrmvn_1xn_kernelILj128ELj3ELj16EdEEvi20rocsparse_direction_NS_24const_host_device_scalarIT2_EEPKiS6_PKS3_S8_S4_PS3_21rocsparse_index_base_b.num_vgpr, 28
	.set _ZN9rocsparseL19gebsrmvn_1xn_kernelILj128ELj3ELj16EdEEvi20rocsparse_direction_NS_24const_host_device_scalarIT2_EEPKiS6_PKS3_S8_S4_PS3_21rocsparse_index_base_b.num_agpr, 0
	.set _ZN9rocsparseL19gebsrmvn_1xn_kernelILj128ELj3ELj16EdEEvi20rocsparse_direction_NS_24const_host_device_scalarIT2_EEPKiS6_PKS3_S8_S4_PS3_21rocsparse_index_base_b.numbered_sgpr, 11
	.set _ZN9rocsparseL19gebsrmvn_1xn_kernelILj128ELj3ELj16EdEEvi20rocsparse_direction_NS_24const_host_device_scalarIT2_EEPKiS6_PKS3_S8_S4_PS3_21rocsparse_index_base_b.num_named_barrier, 0
	.set _ZN9rocsparseL19gebsrmvn_1xn_kernelILj128ELj3ELj16EdEEvi20rocsparse_direction_NS_24const_host_device_scalarIT2_EEPKiS6_PKS3_S8_S4_PS3_21rocsparse_index_base_b.private_seg_size, 0
	.set _ZN9rocsparseL19gebsrmvn_1xn_kernelILj128ELj3ELj16EdEEvi20rocsparse_direction_NS_24const_host_device_scalarIT2_EEPKiS6_PKS3_S8_S4_PS3_21rocsparse_index_base_b.uses_vcc, 1
	.set _ZN9rocsparseL19gebsrmvn_1xn_kernelILj128ELj3ELj16EdEEvi20rocsparse_direction_NS_24const_host_device_scalarIT2_EEPKiS6_PKS3_S8_S4_PS3_21rocsparse_index_base_b.uses_flat_scratch, 0
	.set _ZN9rocsparseL19gebsrmvn_1xn_kernelILj128ELj3ELj16EdEEvi20rocsparse_direction_NS_24const_host_device_scalarIT2_EEPKiS6_PKS3_S8_S4_PS3_21rocsparse_index_base_b.has_dyn_sized_stack, 0
	.set _ZN9rocsparseL19gebsrmvn_1xn_kernelILj128ELj3ELj16EdEEvi20rocsparse_direction_NS_24const_host_device_scalarIT2_EEPKiS6_PKS3_S8_S4_PS3_21rocsparse_index_base_b.has_recursion, 0
	.set _ZN9rocsparseL19gebsrmvn_1xn_kernelILj128ELj3ELj16EdEEvi20rocsparse_direction_NS_24const_host_device_scalarIT2_EEPKiS6_PKS3_S8_S4_PS3_21rocsparse_index_base_b.has_indirect_call, 0
	.section	.AMDGPU.csdata,"",@progbits
; Kernel info:
; codeLenInByte = 980
; TotalNumSgprs: 13
; NumVgprs: 28
; ScratchSize: 0
; MemoryBound: 0
; FloatMode: 240
; IeeeMode: 1
; LDSByteSize: 0 bytes/workgroup (compile time only)
; SGPRBlocks: 0
; VGPRBlocks: 3
; NumSGPRsForWavesPerEU: 13
; NumVGPRsForWavesPerEU: 28
; Occupancy: 16
; WaveLimiterHint : 1
; COMPUTE_PGM_RSRC2:SCRATCH_EN: 0
; COMPUTE_PGM_RSRC2:USER_SGPR: 6
; COMPUTE_PGM_RSRC2:TRAP_HANDLER: 0
; COMPUTE_PGM_RSRC2:TGID_X_EN: 1
; COMPUTE_PGM_RSRC2:TGID_Y_EN: 0
; COMPUTE_PGM_RSRC2:TGID_Z_EN: 0
; COMPUTE_PGM_RSRC2:TIDIG_COMP_CNT: 0
	.section	.text._ZN9rocsparseL19gebsrmvn_1xn_kernelILj128ELj3ELj32EdEEvi20rocsparse_direction_NS_24const_host_device_scalarIT2_EEPKiS6_PKS3_S8_S4_PS3_21rocsparse_index_base_b,"axG",@progbits,_ZN9rocsparseL19gebsrmvn_1xn_kernelILj128ELj3ELj32EdEEvi20rocsparse_direction_NS_24const_host_device_scalarIT2_EEPKiS6_PKS3_S8_S4_PS3_21rocsparse_index_base_b,comdat
	.globl	_ZN9rocsparseL19gebsrmvn_1xn_kernelILj128ELj3ELj32EdEEvi20rocsparse_direction_NS_24const_host_device_scalarIT2_EEPKiS6_PKS3_S8_S4_PS3_21rocsparse_index_base_b ; -- Begin function _ZN9rocsparseL19gebsrmvn_1xn_kernelILj128ELj3ELj32EdEEvi20rocsparse_direction_NS_24const_host_device_scalarIT2_EEPKiS6_PKS3_S8_S4_PS3_21rocsparse_index_base_b
	.p2align	8
	.type	_ZN9rocsparseL19gebsrmvn_1xn_kernelILj128ELj3ELj32EdEEvi20rocsparse_direction_NS_24const_host_device_scalarIT2_EEPKiS6_PKS3_S8_S4_PS3_21rocsparse_index_base_b,@function
_ZN9rocsparseL19gebsrmvn_1xn_kernelILj128ELj3ELj32EdEEvi20rocsparse_direction_NS_24const_host_device_scalarIT2_EEPKiS6_PKS3_S8_S4_PS3_21rocsparse_index_base_b: ; @_ZN9rocsparseL19gebsrmvn_1xn_kernelILj128ELj3ELj32EdEEvi20rocsparse_direction_NS_24const_host_device_scalarIT2_EEPKiS6_PKS3_S8_S4_PS3_21rocsparse_index_base_b
; %bb.0:
	s_clause 0x2
	s_load_dwordx2 s[8:9], s[4:5], 0x40
	s_load_dwordx2 s[2:3], s[4:5], 0x8
	;; [unrolled: 1-line block ×3, first 2 shown]
	s_waitcnt lgkmcnt(0)
	s_bitcmp1_b32 s9, 0
	v_mov_b32_e32 v4, s3
	v_mov_b32_e32 v3, s2
	s_cselect_b32 s7, -1, 0
	s_and_b32 vcc_lo, exec_lo, s7
	s_xor_b32 s7, s7, -1
	s_cbranch_vccnz .LBB84_2
; %bb.1:
	v_mov_b32_e32 v1, s2
	v_mov_b32_e32 v2, s3
	flat_load_dwordx2 v[3:4], v[1:2]
.LBB84_2:
	v_mov_b32_e32 v2, s1
	v_mov_b32_e32 v1, s0
	s_andn2_b32 vcc_lo, exec_lo, s7
	s_cbranch_vccnz .LBB84_4
; %bb.3:
	v_mov_b32_e32 v2, s1
	v_mov_b32_e32 v1, s0
	flat_load_dwordx2 v[1:2], v[1:2]
.LBB84_4:
	s_waitcnt vmcnt(0) lgkmcnt(0)
	v_cmp_neq_f64_e32 vcc_lo, 0, v[3:4]
	v_cmp_neq_f64_e64 s0, 1.0, v[1:2]
	s_or_b32 s0, vcc_lo, s0
	s_and_saveexec_b32 s1, s0
	s_cbranch_execz .LBB84_15
; %bb.5:
	s_load_dword s0, s[4:5], 0x0
	v_lshrrev_b32_e32 v5, 5, v0
	v_lshl_or_b32 v5, s6, 2, v5
	s_waitcnt lgkmcnt(0)
	v_cmp_gt_i32_e32 vcc_lo, s0, v5
	s_and_b32 exec_lo, exec_lo, vcc_lo
	s_cbranch_execz .LBB84_15
; %bb.6:
	s_clause 0x1
	s_load_dwordx2 s[0:1], s[4:5], 0x10
	s_load_dwordx2 s[6:7], s[4:5], 0x38
	v_ashrrev_i32_e32 v6, 31, v5
	v_and_b32_e32 v0, 31, v0
	s_mov_b32 s9, exec_lo
	v_lshlrev_b64 v[7:8], 2, v[5:6]
	v_subrev_nc_u32_e32 v9, s8, v0
	s_waitcnt lgkmcnt(0)
	v_add_co_u32 v7, vcc_lo, s0, v7
	v_add_co_ci_u32_e64 v8, null, s1, v8, vcc_lo
	global_load_dwordx2 v[7:8], v[7:8], off
	s_waitcnt vmcnt(0)
	v_subrev_nc_u32_e32 v13, s8, v8
	v_add_nc_u32_e32 v9, v7, v9
	v_mov_b32_e32 v7, 0
	v_mov_b32_e32 v8, 0
	v_cmpx_lt_i32_e64 v9, v13
	s_cbranch_execz .LBB84_10
; %bb.7:
	s_clause 0x1
	s_load_dwordx4 s[0:3], s[4:5], 0x18
	s_load_dwordx2 s[4:5], s[4:5], 0x28
	v_mov_b32_e32 v7, 0
	v_lshl_add_u32 v11, v9, 1, v9
	v_mov_b32_e32 v8, 0
	v_mov_b32_e32 v12, 0
	s_mov_b32 s10, 0
.LBB84_8:                               ; =>This Inner Loop Header: Depth=1
	v_ashrrev_i32_e32 v10, 31, v9
	v_mov_b32_e32 v17, v12
	v_add_nc_u32_e32 v19, 1, v11
	v_mov_b32_e32 v20, v12
	v_mov_b32_e32 v21, v12
	v_lshlrev_b64 v[14:15], 2, v[9:10]
	v_mov_b32_e32 v24, v12
	v_mov_b32_e32 v25, v12
	v_lshlrev_b64 v[22:23], 3, v[19:20]
	v_add_nc_u32_e32 v9, 32, v9
	s_waitcnt lgkmcnt(0)
	v_add_co_u32 v14, vcc_lo, s0, v14
	v_add_co_ci_u32_e64 v15, null, s1, v15, vcc_lo
	global_load_dword v10, v[14:15], off
	v_lshlrev_b64 v[14:15], 3, v[11:12]
	v_add_co_u32 v14, vcc_lo, s2, v14
	v_add_co_ci_u32_e64 v15, null, s3, v15, vcc_lo
	s_waitcnt vmcnt(0)
	v_subrev_nc_u32_e32 v10, s8, v10
	v_lshl_add_u32 v16, v10, 1, v10
	v_lshlrev_b64 v[17:18], 3, v[16:17]
	v_add_nc_u32_e32 v20, 1, v16
	v_add_co_u32 v17, vcc_lo, s4, v17
	v_add_co_ci_u32_e64 v18, null, s5, v18, vcc_lo
	v_add_co_u32 v19, vcc_lo, s2, v22
	global_load_dwordx2 v[14:15], v[14:15], off
	global_load_dwordx2 v[17:18], v[17:18], off
	v_lshlrev_b64 v[21:22], 3, v[20:21]
	v_add_co_ci_u32_e64 v20, null, s3, v23, vcc_lo
	v_add_nc_u32_e32 v23, 2, v11
	v_add_nc_u32_e32 v11, 0x60, v11
	v_add_co_u32 v21, vcc_lo, s4, v21
	v_add_co_ci_u32_e64 v22, null, s5, v22, vcc_lo
	global_load_dwordx2 v[19:20], v[19:20], off
	global_load_dwordx2 v[21:22], v[21:22], off
	v_lshlrev_b64 v[26:27], 3, v[23:24]
	v_add_nc_u32_e32 v24, 2, v16
	v_add_co_u32 v23, vcc_lo, s2, v26
	v_lshlrev_b64 v[25:26], 3, v[24:25]
	v_add_co_ci_u32_e64 v24, null, s3, v27, vcc_lo
	v_add_co_u32 v25, vcc_lo, s4, v25
	v_add_co_ci_u32_e64 v26, null, s5, v26, vcc_lo
	global_load_dwordx2 v[23:24], v[23:24], off
	global_load_dwordx2 v[25:26], v[25:26], off
	v_cmp_ge_i32_e32 vcc_lo, v9, v13
	s_or_b32 s10, vcc_lo, s10
	s_waitcnt vmcnt(4)
	v_fma_f64 v[7:8], v[14:15], v[17:18], v[7:8]
	s_waitcnt vmcnt(2)
	v_fma_f64 v[7:8], v[19:20], v[21:22], v[7:8]
	;; [unrolled: 2-line block ×3, first 2 shown]
	s_andn2_b32 exec_lo, exec_lo, s10
	s_cbranch_execnz .LBB84_8
; %bb.9:
	s_or_b32 exec_lo, exec_lo, s10
.LBB84_10:
	s_or_b32 exec_lo, exec_lo, s9
	v_mbcnt_lo_u32_b32 v11, -1, 0
	v_xor_b32_e32 v9, 16, v11
	v_cmp_gt_i32_e32 vcc_lo, 32, v9
	v_cndmask_b32_e32 v9, v11, v9, vcc_lo
	v_lshlrev_b32_e32 v10, 2, v9
	ds_bpermute_b32 v9, v10, v7
	ds_bpermute_b32 v10, v10, v8
	s_waitcnt lgkmcnt(0)
	v_add_f64 v[7:8], v[7:8], v[9:10]
	v_xor_b32_e32 v9, 8, v11
	v_cmp_gt_i32_e32 vcc_lo, 32, v9
	v_cndmask_b32_e32 v9, v11, v9, vcc_lo
	v_lshlrev_b32_e32 v10, 2, v9
	ds_bpermute_b32 v9, v10, v7
	ds_bpermute_b32 v10, v10, v8
	s_waitcnt lgkmcnt(0)
	v_add_f64 v[7:8], v[7:8], v[9:10]
	;; [unrolled: 8-line block ×4, first 2 shown]
	v_xor_b32_e32 v9, 1, v11
	v_cmp_gt_i32_e32 vcc_lo, 32, v9
	v_cndmask_b32_e32 v9, v11, v9, vcc_lo
	v_cmp_eq_u32_e32 vcc_lo, 31, v0
	v_lshlrev_b32_e32 v10, 2, v9
	ds_bpermute_b32 v9, v10, v7
	ds_bpermute_b32 v10, v10, v8
	s_and_b32 exec_lo, exec_lo, vcc_lo
	s_cbranch_execz .LBB84_15
; %bb.11:
	s_waitcnt lgkmcnt(0)
	v_add_f64 v[7:8], v[7:8], v[9:10]
	v_lshlrev_b64 v[5:6], 3, v[5:6]
	s_mov_b32 s0, exec_lo
	v_mul_f64 v[3:4], v[3:4], v[7:8]
	v_cmpx_eq_f64_e32 0, v[1:2]
	s_xor_b32 s0, exec_lo, s0
	s_cbranch_execz .LBB84_13
; %bb.12:
	v_add_co_u32 v0, vcc_lo, s6, v5
	v_add_co_ci_u32_e64 v1, null, s7, v6, vcc_lo
                                        ; implicit-def: $vgpr5_vgpr6
	global_store_dwordx2 v[0:1], v[3:4], off
                                        ; implicit-def: $vgpr1_vgpr2
                                        ; implicit-def: $vgpr3_vgpr4
.LBB84_13:
	s_andn2_saveexec_b32 s0, s0
	s_cbranch_execz .LBB84_15
; %bb.14:
	v_add_co_u32 v5, vcc_lo, s6, v5
	v_add_co_ci_u32_e64 v6, null, s7, v6, vcc_lo
	global_load_dwordx2 v[7:8], v[5:6], off
	s_waitcnt vmcnt(0)
	v_fma_f64 v[0:1], v[1:2], v[7:8], v[3:4]
	global_store_dwordx2 v[5:6], v[0:1], off
.LBB84_15:
	s_endpgm
	.section	.rodata,"a",@progbits
	.p2align	6, 0x0
	.amdhsa_kernel _ZN9rocsparseL19gebsrmvn_1xn_kernelILj128ELj3ELj32EdEEvi20rocsparse_direction_NS_24const_host_device_scalarIT2_EEPKiS6_PKS3_S8_S4_PS3_21rocsparse_index_base_b
		.amdhsa_group_segment_fixed_size 0
		.amdhsa_private_segment_fixed_size 0
		.amdhsa_kernarg_size 72
		.amdhsa_user_sgpr_count 6
		.amdhsa_user_sgpr_private_segment_buffer 1
		.amdhsa_user_sgpr_dispatch_ptr 0
		.amdhsa_user_sgpr_queue_ptr 0
		.amdhsa_user_sgpr_kernarg_segment_ptr 1
		.amdhsa_user_sgpr_dispatch_id 0
		.amdhsa_user_sgpr_flat_scratch_init 0
		.amdhsa_user_sgpr_private_segment_size 0
		.amdhsa_wavefront_size32 1
		.amdhsa_uses_dynamic_stack 0
		.amdhsa_system_sgpr_private_segment_wavefront_offset 0
		.amdhsa_system_sgpr_workgroup_id_x 1
		.amdhsa_system_sgpr_workgroup_id_y 0
		.amdhsa_system_sgpr_workgroup_id_z 0
		.amdhsa_system_sgpr_workgroup_info 0
		.amdhsa_system_vgpr_workitem_id 0
		.amdhsa_next_free_vgpr 28
		.amdhsa_next_free_sgpr 11
		.amdhsa_reserve_vcc 1
		.amdhsa_reserve_flat_scratch 0
		.amdhsa_float_round_mode_32 0
		.amdhsa_float_round_mode_16_64 0
		.amdhsa_float_denorm_mode_32 3
		.amdhsa_float_denorm_mode_16_64 3
		.amdhsa_dx10_clamp 1
		.amdhsa_ieee_mode 1
		.amdhsa_fp16_overflow 0
		.amdhsa_workgroup_processor_mode 1
		.amdhsa_memory_ordered 1
		.amdhsa_forward_progress 1
		.amdhsa_shared_vgpr_count 0
		.amdhsa_exception_fp_ieee_invalid_op 0
		.amdhsa_exception_fp_denorm_src 0
		.amdhsa_exception_fp_ieee_div_zero 0
		.amdhsa_exception_fp_ieee_overflow 0
		.amdhsa_exception_fp_ieee_underflow 0
		.amdhsa_exception_fp_ieee_inexact 0
		.amdhsa_exception_int_div_zero 0
	.end_amdhsa_kernel
	.section	.text._ZN9rocsparseL19gebsrmvn_1xn_kernelILj128ELj3ELj32EdEEvi20rocsparse_direction_NS_24const_host_device_scalarIT2_EEPKiS6_PKS3_S8_S4_PS3_21rocsparse_index_base_b,"axG",@progbits,_ZN9rocsparseL19gebsrmvn_1xn_kernelILj128ELj3ELj32EdEEvi20rocsparse_direction_NS_24const_host_device_scalarIT2_EEPKiS6_PKS3_S8_S4_PS3_21rocsparse_index_base_b,comdat
.Lfunc_end84:
	.size	_ZN9rocsparseL19gebsrmvn_1xn_kernelILj128ELj3ELj32EdEEvi20rocsparse_direction_NS_24const_host_device_scalarIT2_EEPKiS6_PKS3_S8_S4_PS3_21rocsparse_index_base_b, .Lfunc_end84-_ZN9rocsparseL19gebsrmvn_1xn_kernelILj128ELj3ELj32EdEEvi20rocsparse_direction_NS_24const_host_device_scalarIT2_EEPKiS6_PKS3_S8_S4_PS3_21rocsparse_index_base_b
                                        ; -- End function
	.set _ZN9rocsparseL19gebsrmvn_1xn_kernelILj128ELj3ELj32EdEEvi20rocsparse_direction_NS_24const_host_device_scalarIT2_EEPKiS6_PKS3_S8_S4_PS3_21rocsparse_index_base_b.num_vgpr, 28
	.set _ZN9rocsparseL19gebsrmvn_1xn_kernelILj128ELj3ELj32EdEEvi20rocsparse_direction_NS_24const_host_device_scalarIT2_EEPKiS6_PKS3_S8_S4_PS3_21rocsparse_index_base_b.num_agpr, 0
	.set _ZN9rocsparseL19gebsrmvn_1xn_kernelILj128ELj3ELj32EdEEvi20rocsparse_direction_NS_24const_host_device_scalarIT2_EEPKiS6_PKS3_S8_S4_PS3_21rocsparse_index_base_b.numbered_sgpr, 11
	.set _ZN9rocsparseL19gebsrmvn_1xn_kernelILj128ELj3ELj32EdEEvi20rocsparse_direction_NS_24const_host_device_scalarIT2_EEPKiS6_PKS3_S8_S4_PS3_21rocsparse_index_base_b.num_named_barrier, 0
	.set _ZN9rocsparseL19gebsrmvn_1xn_kernelILj128ELj3ELj32EdEEvi20rocsparse_direction_NS_24const_host_device_scalarIT2_EEPKiS6_PKS3_S8_S4_PS3_21rocsparse_index_base_b.private_seg_size, 0
	.set _ZN9rocsparseL19gebsrmvn_1xn_kernelILj128ELj3ELj32EdEEvi20rocsparse_direction_NS_24const_host_device_scalarIT2_EEPKiS6_PKS3_S8_S4_PS3_21rocsparse_index_base_b.uses_vcc, 1
	.set _ZN9rocsparseL19gebsrmvn_1xn_kernelILj128ELj3ELj32EdEEvi20rocsparse_direction_NS_24const_host_device_scalarIT2_EEPKiS6_PKS3_S8_S4_PS3_21rocsparse_index_base_b.uses_flat_scratch, 0
	.set _ZN9rocsparseL19gebsrmvn_1xn_kernelILj128ELj3ELj32EdEEvi20rocsparse_direction_NS_24const_host_device_scalarIT2_EEPKiS6_PKS3_S8_S4_PS3_21rocsparse_index_base_b.has_dyn_sized_stack, 0
	.set _ZN9rocsparseL19gebsrmvn_1xn_kernelILj128ELj3ELj32EdEEvi20rocsparse_direction_NS_24const_host_device_scalarIT2_EEPKiS6_PKS3_S8_S4_PS3_21rocsparse_index_base_b.has_recursion, 0
	.set _ZN9rocsparseL19gebsrmvn_1xn_kernelILj128ELj3ELj32EdEEvi20rocsparse_direction_NS_24const_host_device_scalarIT2_EEPKiS6_PKS3_S8_S4_PS3_21rocsparse_index_base_b.has_indirect_call, 0
	.section	.AMDGPU.csdata,"",@progbits
; Kernel info:
; codeLenInByte = 1028
; TotalNumSgprs: 13
; NumVgprs: 28
; ScratchSize: 0
; MemoryBound: 0
; FloatMode: 240
; IeeeMode: 1
; LDSByteSize: 0 bytes/workgroup (compile time only)
; SGPRBlocks: 0
; VGPRBlocks: 3
; NumSGPRsForWavesPerEU: 13
; NumVGPRsForWavesPerEU: 28
; Occupancy: 16
; WaveLimiterHint : 1
; COMPUTE_PGM_RSRC2:SCRATCH_EN: 0
; COMPUTE_PGM_RSRC2:USER_SGPR: 6
; COMPUTE_PGM_RSRC2:TRAP_HANDLER: 0
; COMPUTE_PGM_RSRC2:TGID_X_EN: 1
; COMPUTE_PGM_RSRC2:TGID_Y_EN: 0
; COMPUTE_PGM_RSRC2:TGID_Z_EN: 0
; COMPUTE_PGM_RSRC2:TIDIG_COMP_CNT: 0
	.section	.text._ZN9rocsparseL19gebsrmvn_1xn_kernelILj128ELj3ELj64EdEEvi20rocsparse_direction_NS_24const_host_device_scalarIT2_EEPKiS6_PKS3_S8_S4_PS3_21rocsparse_index_base_b,"axG",@progbits,_ZN9rocsparseL19gebsrmvn_1xn_kernelILj128ELj3ELj64EdEEvi20rocsparse_direction_NS_24const_host_device_scalarIT2_EEPKiS6_PKS3_S8_S4_PS3_21rocsparse_index_base_b,comdat
	.globl	_ZN9rocsparseL19gebsrmvn_1xn_kernelILj128ELj3ELj64EdEEvi20rocsparse_direction_NS_24const_host_device_scalarIT2_EEPKiS6_PKS3_S8_S4_PS3_21rocsparse_index_base_b ; -- Begin function _ZN9rocsparseL19gebsrmvn_1xn_kernelILj128ELj3ELj64EdEEvi20rocsparse_direction_NS_24const_host_device_scalarIT2_EEPKiS6_PKS3_S8_S4_PS3_21rocsparse_index_base_b
	.p2align	8
	.type	_ZN9rocsparseL19gebsrmvn_1xn_kernelILj128ELj3ELj64EdEEvi20rocsparse_direction_NS_24const_host_device_scalarIT2_EEPKiS6_PKS3_S8_S4_PS3_21rocsparse_index_base_b,@function
_ZN9rocsparseL19gebsrmvn_1xn_kernelILj128ELj3ELj64EdEEvi20rocsparse_direction_NS_24const_host_device_scalarIT2_EEPKiS6_PKS3_S8_S4_PS3_21rocsparse_index_base_b: ; @_ZN9rocsparseL19gebsrmvn_1xn_kernelILj128ELj3ELj64EdEEvi20rocsparse_direction_NS_24const_host_device_scalarIT2_EEPKiS6_PKS3_S8_S4_PS3_21rocsparse_index_base_b
; %bb.0:
	s_clause 0x2
	s_load_dwordx2 s[8:9], s[4:5], 0x40
	s_load_dwordx2 s[2:3], s[4:5], 0x8
	;; [unrolled: 1-line block ×3, first 2 shown]
	s_waitcnt lgkmcnt(0)
	s_bitcmp1_b32 s9, 0
	v_mov_b32_e32 v4, s3
	v_mov_b32_e32 v3, s2
	s_cselect_b32 s7, -1, 0
	s_and_b32 vcc_lo, exec_lo, s7
	s_xor_b32 s7, s7, -1
	s_cbranch_vccnz .LBB85_2
; %bb.1:
	v_mov_b32_e32 v1, s2
	v_mov_b32_e32 v2, s3
	flat_load_dwordx2 v[3:4], v[1:2]
.LBB85_2:
	v_mov_b32_e32 v2, s1
	v_mov_b32_e32 v1, s0
	s_andn2_b32 vcc_lo, exec_lo, s7
	s_cbranch_vccnz .LBB85_4
; %bb.3:
	v_mov_b32_e32 v2, s1
	v_mov_b32_e32 v1, s0
	flat_load_dwordx2 v[1:2], v[1:2]
.LBB85_4:
	s_waitcnt vmcnt(0) lgkmcnt(0)
	v_cmp_neq_f64_e32 vcc_lo, 0, v[3:4]
	v_cmp_neq_f64_e64 s0, 1.0, v[1:2]
	s_or_b32 s0, vcc_lo, s0
	s_and_saveexec_b32 s1, s0
	s_cbranch_execz .LBB85_15
; %bb.5:
	s_load_dword s0, s[4:5], 0x0
	v_lshrrev_b32_e32 v5, 6, v0
	v_lshl_or_b32 v5, s6, 1, v5
	s_waitcnt lgkmcnt(0)
	v_cmp_gt_i32_e32 vcc_lo, s0, v5
	s_and_b32 exec_lo, exec_lo, vcc_lo
	s_cbranch_execz .LBB85_15
; %bb.6:
	s_clause 0x1
	s_load_dwordx2 s[0:1], s[4:5], 0x10
	s_load_dwordx2 s[6:7], s[4:5], 0x38
	v_ashrrev_i32_e32 v6, 31, v5
	v_and_b32_e32 v0, 63, v0
	s_mov_b32 s9, exec_lo
	v_lshlrev_b64 v[7:8], 2, v[5:6]
	v_subrev_nc_u32_e32 v9, s8, v0
	s_waitcnt lgkmcnt(0)
	v_add_co_u32 v7, vcc_lo, s0, v7
	v_add_co_ci_u32_e64 v8, null, s1, v8, vcc_lo
	global_load_dwordx2 v[7:8], v[7:8], off
	s_waitcnt vmcnt(0)
	v_subrev_nc_u32_e32 v13, s8, v8
	v_add_nc_u32_e32 v9, v7, v9
	v_mov_b32_e32 v7, 0
	v_mov_b32_e32 v8, 0
	v_cmpx_lt_i32_e64 v9, v13
	s_cbranch_execz .LBB85_10
; %bb.7:
	s_clause 0x1
	s_load_dwordx4 s[0:3], s[4:5], 0x18
	s_load_dwordx2 s[4:5], s[4:5], 0x28
	v_mov_b32_e32 v7, 0
	v_lshl_add_u32 v11, v9, 1, v9
	v_mov_b32_e32 v8, 0
	v_mov_b32_e32 v12, 0
	s_mov_b32 s10, 0
.LBB85_8:                               ; =>This Inner Loop Header: Depth=1
	v_ashrrev_i32_e32 v10, 31, v9
	v_mov_b32_e32 v17, v12
	v_add_nc_u32_e32 v19, 1, v11
	v_mov_b32_e32 v20, v12
	v_mov_b32_e32 v21, v12
	v_lshlrev_b64 v[14:15], 2, v[9:10]
	v_mov_b32_e32 v24, v12
	v_mov_b32_e32 v25, v12
	v_lshlrev_b64 v[22:23], 3, v[19:20]
	v_add_nc_u32_e32 v9, 64, v9
	s_waitcnt lgkmcnt(0)
	v_add_co_u32 v14, vcc_lo, s0, v14
	v_add_co_ci_u32_e64 v15, null, s1, v15, vcc_lo
	global_load_dword v10, v[14:15], off
	v_lshlrev_b64 v[14:15], 3, v[11:12]
	v_add_co_u32 v14, vcc_lo, s2, v14
	v_add_co_ci_u32_e64 v15, null, s3, v15, vcc_lo
	s_waitcnt vmcnt(0)
	v_subrev_nc_u32_e32 v10, s8, v10
	v_lshl_add_u32 v16, v10, 1, v10
	v_lshlrev_b64 v[17:18], 3, v[16:17]
	v_add_nc_u32_e32 v20, 1, v16
	v_add_co_u32 v17, vcc_lo, s4, v17
	v_add_co_ci_u32_e64 v18, null, s5, v18, vcc_lo
	v_add_co_u32 v19, vcc_lo, s2, v22
	global_load_dwordx2 v[14:15], v[14:15], off
	global_load_dwordx2 v[17:18], v[17:18], off
	v_lshlrev_b64 v[21:22], 3, v[20:21]
	v_add_co_ci_u32_e64 v20, null, s3, v23, vcc_lo
	v_add_nc_u32_e32 v23, 2, v11
	v_add_nc_u32_e32 v11, 0xc0, v11
	v_add_co_u32 v21, vcc_lo, s4, v21
	v_add_co_ci_u32_e64 v22, null, s5, v22, vcc_lo
	global_load_dwordx2 v[19:20], v[19:20], off
	global_load_dwordx2 v[21:22], v[21:22], off
	v_lshlrev_b64 v[26:27], 3, v[23:24]
	v_add_nc_u32_e32 v24, 2, v16
	v_add_co_u32 v23, vcc_lo, s2, v26
	v_lshlrev_b64 v[25:26], 3, v[24:25]
	v_add_co_ci_u32_e64 v24, null, s3, v27, vcc_lo
	v_add_co_u32 v25, vcc_lo, s4, v25
	v_add_co_ci_u32_e64 v26, null, s5, v26, vcc_lo
	global_load_dwordx2 v[23:24], v[23:24], off
	global_load_dwordx2 v[25:26], v[25:26], off
	v_cmp_ge_i32_e32 vcc_lo, v9, v13
	s_or_b32 s10, vcc_lo, s10
	s_waitcnt vmcnt(4)
	v_fma_f64 v[7:8], v[14:15], v[17:18], v[7:8]
	s_waitcnt vmcnt(2)
	v_fma_f64 v[7:8], v[19:20], v[21:22], v[7:8]
	;; [unrolled: 2-line block ×3, first 2 shown]
	s_andn2_b32 exec_lo, exec_lo, s10
	s_cbranch_execnz .LBB85_8
; %bb.9:
	s_or_b32 exec_lo, exec_lo, s10
.LBB85_10:
	s_or_b32 exec_lo, exec_lo, s9
	v_mbcnt_lo_u32_b32 v11, -1, 0
	v_or_b32_e32 v9, 32, v11
	v_cmp_gt_i32_e32 vcc_lo, 32, v9
	v_cndmask_b32_e32 v9, v11, v9, vcc_lo
	v_lshlrev_b32_e32 v10, 2, v9
	ds_bpermute_b32 v9, v10, v7
	ds_bpermute_b32 v10, v10, v8
	s_waitcnt lgkmcnt(0)
	v_add_f64 v[7:8], v[7:8], v[9:10]
	v_xor_b32_e32 v9, 16, v11
	v_cmp_gt_i32_e32 vcc_lo, 32, v9
	v_cndmask_b32_e32 v9, v11, v9, vcc_lo
	v_lshlrev_b32_e32 v10, 2, v9
	ds_bpermute_b32 v9, v10, v7
	ds_bpermute_b32 v10, v10, v8
	s_waitcnt lgkmcnt(0)
	v_add_f64 v[7:8], v[7:8], v[9:10]
	v_xor_b32_e32 v9, 8, v11
	;; [unrolled: 8-line block ×5, first 2 shown]
	v_cmp_gt_i32_e32 vcc_lo, 32, v9
	v_cndmask_b32_e32 v9, v11, v9, vcc_lo
	v_cmp_eq_u32_e32 vcc_lo, 63, v0
	v_lshlrev_b32_e32 v10, 2, v9
	ds_bpermute_b32 v9, v10, v7
	ds_bpermute_b32 v10, v10, v8
	s_and_b32 exec_lo, exec_lo, vcc_lo
	s_cbranch_execz .LBB85_15
; %bb.11:
	s_waitcnt lgkmcnt(0)
	v_add_f64 v[7:8], v[7:8], v[9:10]
	v_lshlrev_b64 v[5:6], 3, v[5:6]
	s_mov_b32 s0, exec_lo
	v_mul_f64 v[3:4], v[3:4], v[7:8]
	v_cmpx_eq_f64_e32 0, v[1:2]
	s_xor_b32 s0, exec_lo, s0
	s_cbranch_execz .LBB85_13
; %bb.12:
	v_add_co_u32 v0, vcc_lo, s6, v5
	v_add_co_ci_u32_e64 v1, null, s7, v6, vcc_lo
                                        ; implicit-def: $vgpr5_vgpr6
	global_store_dwordx2 v[0:1], v[3:4], off
                                        ; implicit-def: $vgpr1_vgpr2
                                        ; implicit-def: $vgpr3_vgpr4
.LBB85_13:
	s_andn2_saveexec_b32 s0, s0
	s_cbranch_execz .LBB85_15
; %bb.14:
	v_add_co_u32 v5, vcc_lo, s6, v5
	v_add_co_ci_u32_e64 v6, null, s7, v6, vcc_lo
	global_load_dwordx2 v[7:8], v[5:6], off
	s_waitcnt vmcnt(0)
	v_fma_f64 v[0:1], v[1:2], v[7:8], v[3:4]
	global_store_dwordx2 v[5:6], v[0:1], off
.LBB85_15:
	s_endpgm
	.section	.rodata,"a",@progbits
	.p2align	6, 0x0
	.amdhsa_kernel _ZN9rocsparseL19gebsrmvn_1xn_kernelILj128ELj3ELj64EdEEvi20rocsparse_direction_NS_24const_host_device_scalarIT2_EEPKiS6_PKS3_S8_S4_PS3_21rocsparse_index_base_b
		.amdhsa_group_segment_fixed_size 0
		.amdhsa_private_segment_fixed_size 0
		.amdhsa_kernarg_size 72
		.amdhsa_user_sgpr_count 6
		.amdhsa_user_sgpr_private_segment_buffer 1
		.amdhsa_user_sgpr_dispatch_ptr 0
		.amdhsa_user_sgpr_queue_ptr 0
		.amdhsa_user_sgpr_kernarg_segment_ptr 1
		.amdhsa_user_sgpr_dispatch_id 0
		.amdhsa_user_sgpr_flat_scratch_init 0
		.amdhsa_user_sgpr_private_segment_size 0
		.amdhsa_wavefront_size32 1
		.amdhsa_uses_dynamic_stack 0
		.amdhsa_system_sgpr_private_segment_wavefront_offset 0
		.amdhsa_system_sgpr_workgroup_id_x 1
		.amdhsa_system_sgpr_workgroup_id_y 0
		.amdhsa_system_sgpr_workgroup_id_z 0
		.amdhsa_system_sgpr_workgroup_info 0
		.amdhsa_system_vgpr_workitem_id 0
		.amdhsa_next_free_vgpr 28
		.amdhsa_next_free_sgpr 11
		.amdhsa_reserve_vcc 1
		.amdhsa_reserve_flat_scratch 0
		.amdhsa_float_round_mode_32 0
		.amdhsa_float_round_mode_16_64 0
		.amdhsa_float_denorm_mode_32 3
		.amdhsa_float_denorm_mode_16_64 3
		.amdhsa_dx10_clamp 1
		.amdhsa_ieee_mode 1
		.amdhsa_fp16_overflow 0
		.amdhsa_workgroup_processor_mode 1
		.amdhsa_memory_ordered 1
		.amdhsa_forward_progress 1
		.amdhsa_shared_vgpr_count 0
		.amdhsa_exception_fp_ieee_invalid_op 0
		.amdhsa_exception_fp_denorm_src 0
		.amdhsa_exception_fp_ieee_div_zero 0
		.amdhsa_exception_fp_ieee_overflow 0
		.amdhsa_exception_fp_ieee_underflow 0
		.amdhsa_exception_fp_ieee_inexact 0
		.amdhsa_exception_int_div_zero 0
	.end_amdhsa_kernel
	.section	.text._ZN9rocsparseL19gebsrmvn_1xn_kernelILj128ELj3ELj64EdEEvi20rocsparse_direction_NS_24const_host_device_scalarIT2_EEPKiS6_PKS3_S8_S4_PS3_21rocsparse_index_base_b,"axG",@progbits,_ZN9rocsparseL19gebsrmvn_1xn_kernelILj128ELj3ELj64EdEEvi20rocsparse_direction_NS_24const_host_device_scalarIT2_EEPKiS6_PKS3_S8_S4_PS3_21rocsparse_index_base_b,comdat
.Lfunc_end85:
	.size	_ZN9rocsparseL19gebsrmvn_1xn_kernelILj128ELj3ELj64EdEEvi20rocsparse_direction_NS_24const_host_device_scalarIT2_EEPKiS6_PKS3_S8_S4_PS3_21rocsparse_index_base_b, .Lfunc_end85-_ZN9rocsparseL19gebsrmvn_1xn_kernelILj128ELj3ELj64EdEEvi20rocsparse_direction_NS_24const_host_device_scalarIT2_EEPKiS6_PKS3_S8_S4_PS3_21rocsparse_index_base_b
                                        ; -- End function
	.set _ZN9rocsparseL19gebsrmvn_1xn_kernelILj128ELj3ELj64EdEEvi20rocsparse_direction_NS_24const_host_device_scalarIT2_EEPKiS6_PKS3_S8_S4_PS3_21rocsparse_index_base_b.num_vgpr, 28
	.set _ZN9rocsparseL19gebsrmvn_1xn_kernelILj128ELj3ELj64EdEEvi20rocsparse_direction_NS_24const_host_device_scalarIT2_EEPKiS6_PKS3_S8_S4_PS3_21rocsparse_index_base_b.num_agpr, 0
	.set _ZN9rocsparseL19gebsrmvn_1xn_kernelILj128ELj3ELj64EdEEvi20rocsparse_direction_NS_24const_host_device_scalarIT2_EEPKiS6_PKS3_S8_S4_PS3_21rocsparse_index_base_b.numbered_sgpr, 11
	.set _ZN9rocsparseL19gebsrmvn_1xn_kernelILj128ELj3ELj64EdEEvi20rocsparse_direction_NS_24const_host_device_scalarIT2_EEPKiS6_PKS3_S8_S4_PS3_21rocsparse_index_base_b.num_named_barrier, 0
	.set _ZN9rocsparseL19gebsrmvn_1xn_kernelILj128ELj3ELj64EdEEvi20rocsparse_direction_NS_24const_host_device_scalarIT2_EEPKiS6_PKS3_S8_S4_PS3_21rocsparse_index_base_b.private_seg_size, 0
	.set _ZN9rocsparseL19gebsrmvn_1xn_kernelILj128ELj3ELj64EdEEvi20rocsparse_direction_NS_24const_host_device_scalarIT2_EEPKiS6_PKS3_S8_S4_PS3_21rocsparse_index_base_b.uses_vcc, 1
	.set _ZN9rocsparseL19gebsrmvn_1xn_kernelILj128ELj3ELj64EdEEvi20rocsparse_direction_NS_24const_host_device_scalarIT2_EEPKiS6_PKS3_S8_S4_PS3_21rocsparse_index_base_b.uses_flat_scratch, 0
	.set _ZN9rocsparseL19gebsrmvn_1xn_kernelILj128ELj3ELj64EdEEvi20rocsparse_direction_NS_24const_host_device_scalarIT2_EEPKiS6_PKS3_S8_S4_PS3_21rocsparse_index_base_b.has_dyn_sized_stack, 0
	.set _ZN9rocsparseL19gebsrmvn_1xn_kernelILj128ELj3ELj64EdEEvi20rocsparse_direction_NS_24const_host_device_scalarIT2_EEPKiS6_PKS3_S8_S4_PS3_21rocsparse_index_base_b.has_recursion, 0
	.set _ZN9rocsparseL19gebsrmvn_1xn_kernelILj128ELj3ELj64EdEEvi20rocsparse_direction_NS_24const_host_device_scalarIT2_EEPKiS6_PKS3_S8_S4_PS3_21rocsparse_index_base_b.has_indirect_call, 0
	.section	.AMDGPU.csdata,"",@progbits
; Kernel info:
; codeLenInByte = 1072
; TotalNumSgprs: 13
; NumVgprs: 28
; ScratchSize: 0
; MemoryBound: 0
; FloatMode: 240
; IeeeMode: 1
; LDSByteSize: 0 bytes/workgroup (compile time only)
; SGPRBlocks: 0
; VGPRBlocks: 3
; NumSGPRsForWavesPerEU: 13
; NumVGPRsForWavesPerEU: 28
; Occupancy: 16
; WaveLimiterHint : 1
; COMPUTE_PGM_RSRC2:SCRATCH_EN: 0
; COMPUTE_PGM_RSRC2:USER_SGPR: 6
; COMPUTE_PGM_RSRC2:TRAP_HANDLER: 0
; COMPUTE_PGM_RSRC2:TGID_X_EN: 1
; COMPUTE_PGM_RSRC2:TGID_Y_EN: 0
; COMPUTE_PGM_RSRC2:TGID_Z_EN: 0
; COMPUTE_PGM_RSRC2:TIDIG_COMP_CNT: 0
	.section	.text._ZN9rocsparseL19gebsrmvn_1xn_kernelILj128ELj4ELj4EdEEvi20rocsparse_direction_NS_24const_host_device_scalarIT2_EEPKiS6_PKS3_S8_S4_PS3_21rocsparse_index_base_b,"axG",@progbits,_ZN9rocsparseL19gebsrmvn_1xn_kernelILj128ELj4ELj4EdEEvi20rocsparse_direction_NS_24const_host_device_scalarIT2_EEPKiS6_PKS3_S8_S4_PS3_21rocsparse_index_base_b,comdat
	.globl	_ZN9rocsparseL19gebsrmvn_1xn_kernelILj128ELj4ELj4EdEEvi20rocsparse_direction_NS_24const_host_device_scalarIT2_EEPKiS6_PKS3_S8_S4_PS3_21rocsparse_index_base_b ; -- Begin function _ZN9rocsparseL19gebsrmvn_1xn_kernelILj128ELj4ELj4EdEEvi20rocsparse_direction_NS_24const_host_device_scalarIT2_EEPKiS6_PKS3_S8_S4_PS3_21rocsparse_index_base_b
	.p2align	8
	.type	_ZN9rocsparseL19gebsrmvn_1xn_kernelILj128ELj4ELj4EdEEvi20rocsparse_direction_NS_24const_host_device_scalarIT2_EEPKiS6_PKS3_S8_S4_PS3_21rocsparse_index_base_b,@function
_ZN9rocsparseL19gebsrmvn_1xn_kernelILj128ELj4ELj4EdEEvi20rocsparse_direction_NS_24const_host_device_scalarIT2_EEPKiS6_PKS3_S8_S4_PS3_21rocsparse_index_base_b: ; @_ZN9rocsparseL19gebsrmvn_1xn_kernelILj128ELj4ELj4EdEEvi20rocsparse_direction_NS_24const_host_device_scalarIT2_EEPKiS6_PKS3_S8_S4_PS3_21rocsparse_index_base_b
; %bb.0:
	s_clause 0x2
	s_load_dwordx2 s[8:9], s[4:5], 0x40
	s_load_dwordx2 s[2:3], s[4:5], 0x8
	;; [unrolled: 1-line block ×3, first 2 shown]
	s_waitcnt lgkmcnt(0)
	s_bitcmp1_b32 s9, 0
	v_mov_b32_e32 v4, s3
	v_mov_b32_e32 v3, s2
	s_cselect_b32 s7, -1, 0
	s_and_b32 vcc_lo, exec_lo, s7
	s_xor_b32 s7, s7, -1
	s_cbranch_vccnz .LBB86_2
; %bb.1:
	v_mov_b32_e32 v1, s2
	v_mov_b32_e32 v2, s3
	flat_load_dwordx2 v[3:4], v[1:2]
.LBB86_2:
	v_mov_b32_e32 v2, s1
	v_mov_b32_e32 v1, s0
	s_andn2_b32 vcc_lo, exec_lo, s7
	s_cbranch_vccnz .LBB86_4
; %bb.3:
	v_mov_b32_e32 v2, s1
	v_mov_b32_e32 v1, s0
	flat_load_dwordx2 v[1:2], v[1:2]
.LBB86_4:
	s_waitcnt vmcnt(0) lgkmcnt(0)
	v_cmp_neq_f64_e32 vcc_lo, 0, v[3:4]
	v_cmp_neq_f64_e64 s0, 1.0, v[1:2]
	s_or_b32 s0, vcc_lo, s0
	s_and_saveexec_b32 s1, s0
	s_cbranch_execz .LBB86_15
; %bb.5:
	s_load_dword s0, s[4:5], 0x0
	v_lshrrev_b32_e32 v5, 2, v0
	v_lshl_or_b32 v5, s6, 5, v5
	s_waitcnt lgkmcnt(0)
	v_cmp_gt_i32_e32 vcc_lo, s0, v5
	s_and_b32 exec_lo, exec_lo, vcc_lo
	s_cbranch_execz .LBB86_15
; %bb.6:
	s_clause 0x1
	s_load_dwordx2 s[0:1], s[4:5], 0x10
	s_load_dwordx2 s[6:7], s[4:5], 0x38
	v_ashrrev_i32_e32 v6, 31, v5
	v_and_b32_e32 v0, 3, v0
	s_mov_b32 s9, exec_lo
	v_lshlrev_b64 v[7:8], 2, v[5:6]
	v_subrev_nc_u32_e32 v9, s8, v0
	s_waitcnt lgkmcnt(0)
	v_add_co_u32 v7, vcc_lo, s0, v7
	v_add_co_ci_u32_e64 v8, null, s1, v8, vcc_lo
	global_load_dwordx2 v[7:8], v[7:8], off
	s_waitcnt vmcnt(0)
	v_subrev_nc_u32_e32 v13, s8, v8
	v_add_nc_u32_e32 v9, v7, v9
	v_mov_b32_e32 v7, 0
	v_mov_b32_e32 v8, 0
	v_cmpx_lt_i32_e64 v9, v13
	s_cbranch_execz .LBB86_10
; %bb.7:
	s_clause 0x1
	s_load_dwordx4 s[0:3], s[4:5], 0x18
	s_load_dwordx2 s[4:5], s[4:5], 0x28
	v_mov_b32_e32 v7, 0
	v_lshlrev_b32_e32 v11, 2, v9
	v_mov_b32_e32 v8, 0
	v_mov_b32_e32 v12, 0
	s_mov_b32 s10, 0
	s_inst_prefetch 0x1
	.p2align	6
.LBB86_8:                               ; =>This Inner Loop Header: Depth=1
	v_ashrrev_i32_e32 v10, 31, v9
	v_mov_b32_e32 v17, v12
	v_lshlrev_b64 v[14:15], 2, v[9:10]
	v_add_nc_u32_e32 v9, 4, v9
	s_waitcnt lgkmcnt(0)
	v_add_co_u32 v14, vcc_lo, s0, v14
	v_add_co_ci_u32_e64 v15, null, s1, v15, vcc_lo
	global_load_dword v10, v[14:15], off
	v_lshlrev_b64 v[14:15], 3, v[11:12]
	v_add_nc_u32_e32 v11, 16, v11
	v_add_co_u32 v18, vcc_lo, s2, v14
	v_add_co_ci_u32_e64 v19, null, s3, v15, vcc_lo
	s_waitcnt vmcnt(0)
	v_subrev_nc_u32_e32 v10, s8, v10
	v_lshlrev_b32_e32 v16, 2, v10
	v_lshlrev_b64 v[16:17], 3, v[16:17]
	v_add_co_u32 v26, vcc_lo, s4, v16
	v_add_co_ci_u32_e64 v27, null, s5, v17, vcc_lo
	v_cmp_ge_i32_e32 vcc_lo, v9, v13
	s_clause 0x1
	global_load_dwordx4 v[14:17], v[18:19], off offset:16
	global_load_dwordx4 v[18:21], v[18:19], off
	s_clause 0x1
	global_load_dwordx4 v[22:25], v[26:27], off
	global_load_dwordx4 v[26:29], v[26:27], off offset:16
	s_or_b32 s10, vcc_lo, s10
	s_waitcnt vmcnt(1)
	v_fma_f64 v[7:8], v[18:19], v[22:23], v[7:8]
	v_fma_f64 v[7:8], v[20:21], v[24:25], v[7:8]
	s_waitcnt vmcnt(0)
	v_fma_f64 v[7:8], v[14:15], v[26:27], v[7:8]
	v_fma_f64 v[7:8], v[16:17], v[28:29], v[7:8]
	s_andn2_b32 exec_lo, exec_lo, s10
	s_cbranch_execnz .LBB86_8
; %bb.9:
	s_inst_prefetch 0x2
	s_or_b32 exec_lo, exec_lo, s10
.LBB86_10:
	s_or_b32 exec_lo, exec_lo, s9
	v_mbcnt_lo_u32_b32 v11, -1, 0
	v_xor_b32_e32 v9, 2, v11
	v_cmp_gt_i32_e32 vcc_lo, 32, v9
	v_cndmask_b32_e32 v9, v11, v9, vcc_lo
	v_lshlrev_b32_e32 v10, 2, v9
	ds_bpermute_b32 v9, v10, v7
	ds_bpermute_b32 v10, v10, v8
	s_waitcnt lgkmcnt(0)
	v_add_f64 v[7:8], v[7:8], v[9:10]
	v_xor_b32_e32 v9, 1, v11
	v_cmp_gt_i32_e32 vcc_lo, 32, v9
	v_cndmask_b32_e32 v9, v11, v9, vcc_lo
	v_cmp_eq_u32_e32 vcc_lo, 3, v0
	v_lshlrev_b32_e32 v10, 2, v9
	ds_bpermute_b32 v9, v10, v7
	ds_bpermute_b32 v10, v10, v8
	s_and_b32 exec_lo, exec_lo, vcc_lo
	s_cbranch_execz .LBB86_15
; %bb.11:
	s_waitcnt lgkmcnt(0)
	v_add_f64 v[7:8], v[7:8], v[9:10]
	v_lshlrev_b64 v[5:6], 3, v[5:6]
	s_mov_b32 s0, exec_lo
	v_mul_f64 v[3:4], v[3:4], v[7:8]
	v_cmpx_eq_f64_e32 0, v[1:2]
	s_xor_b32 s0, exec_lo, s0
	s_cbranch_execz .LBB86_13
; %bb.12:
	v_add_co_u32 v0, vcc_lo, s6, v5
	v_add_co_ci_u32_e64 v1, null, s7, v6, vcc_lo
                                        ; implicit-def: $vgpr5_vgpr6
	global_store_dwordx2 v[0:1], v[3:4], off
                                        ; implicit-def: $vgpr1_vgpr2
                                        ; implicit-def: $vgpr3_vgpr4
.LBB86_13:
	s_andn2_saveexec_b32 s0, s0
	s_cbranch_execz .LBB86_15
; %bb.14:
	v_add_co_u32 v5, vcc_lo, s6, v5
	v_add_co_ci_u32_e64 v6, null, s7, v6, vcc_lo
	global_load_dwordx2 v[7:8], v[5:6], off
	s_waitcnt vmcnt(0)
	v_fma_f64 v[0:1], v[1:2], v[7:8], v[3:4]
	global_store_dwordx2 v[5:6], v[0:1], off
.LBB86_15:
	s_endpgm
	.section	.rodata,"a",@progbits
	.p2align	6, 0x0
	.amdhsa_kernel _ZN9rocsparseL19gebsrmvn_1xn_kernelILj128ELj4ELj4EdEEvi20rocsparse_direction_NS_24const_host_device_scalarIT2_EEPKiS6_PKS3_S8_S4_PS3_21rocsparse_index_base_b
		.amdhsa_group_segment_fixed_size 0
		.amdhsa_private_segment_fixed_size 0
		.amdhsa_kernarg_size 72
		.amdhsa_user_sgpr_count 6
		.amdhsa_user_sgpr_private_segment_buffer 1
		.amdhsa_user_sgpr_dispatch_ptr 0
		.amdhsa_user_sgpr_queue_ptr 0
		.amdhsa_user_sgpr_kernarg_segment_ptr 1
		.amdhsa_user_sgpr_dispatch_id 0
		.amdhsa_user_sgpr_flat_scratch_init 0
		.amdhsa_user_sgpr_private_segment_size 0
		.amdhsa_wavefront_size32 1
		.amdhsa_uses_dynamic_stack 0
		.amdhsa_system_sgpr_private_segment_wavefront_offset 0
		.amdhsa_system_sgpr_workgroup_id_x 1
		.amdhsa_system_sgpr_workgroup_id_y 0
		.amdhsa_system_sgpr_workgroup_id_z 0
		.amdhsa_system_sgpr_workgroup_info 0
		.amdhsa_system_vgpr_workitem_id 0
		.amdhsa_next_free_vgpr 30
		.amdhsa_next_free_sgpr 11
		.amdhsa_reserve_vcc 1
		.amdhsa_reserve_flat_scratch 0
		.amdhsa_float_round_mode_32 0
		.amdhsa_float_round_mode_16_64 0
		.amdhsa_float_denorm_mode_32 3
		.amdhsa_float_denorm_mode_16_64 3
		.amdhsa_dx10_clamp 1
		.amdhsa_ieee_mode 1
		.amdhsa_fp16_overflow 0
		.amdhsa_workgroup_processor_mode 1
		.amdhsa_memory_ordered 1
		.amdhsa_forward_progress 1
		.amdhsa_shared_vgpr_count 0
		.amdhsa_exception_fp_ieee_invalid_op 0
		.amdhsa_exception_fp_denorm_src 0
		.amdhsa_exception_fp_ieee_div_zero 0
		.amdhsa_exception_fp_ieee_overflow 0
		.amdhsa_exception_fp_ieee_underflow 0
		.amdhsa_exception_fp_ieee_inexact 0
		.amdhsa_exception_int_div_zero 0
	.end_amdhsa_kernel
	.section	.text._ZN9rocsparseL19gebsrmvn_1xn_kernelILj128ELj4ELj4EdEEvi20rocsparse_direction_NS_24const_host_device_scalarIT2_EEPKiS6_PKS3_S8_S4_PS3_21rocsparse_index_base_b,"axG",@progbits,_ZN9rocsparseL19gebsrmvn_1xn_kernelILj128ELj4ELj4EdEEvi20rocsparse_direction_NS_24const_host_device_scalarIT2_EEPKiS6_PKS3_S8_S4_PS3_21rocsparse_index_base_b,comdat
.Lfunc_end86:
	.size	_ZN9rocsparseL19gebsrmvn_1xn_kernelILj128ELj4ELj4EdEEvi20rocsparse_direction_NS_24const_host_device_scalarIT2_EEPKiS6_PKS3_S8_S4_PS3_21rocsparse_index_base_b, .Lfunc_end86-_ZN9rocsparseL19gebsrmvn_1xn_kernelILj128ELj4ELj4EdEEvi20rocsparse_direction_NS_24const_host_device_scalarIT2_EEPKiS6_PKS3_S8_S4_PS3_21rocsparse_index_base_b
                                        ; -- End function
	.set _ZN9rocsparseL19gebsrmvn_1xn_kernelILj128ELj4ELj4EdEEvi20rocsparse_direction_NS_24const_host_device_scalarIT2_EEPKiS6_PKS3_S8_S4_PS3_21rocsparse_index_base_b.num_vgpr, 30
	.set _ZN9rocsparseL19gebsrmvn_1xn_kernelILj128ELj4ELj4EdEEvi20rocsparse_direction_NS_24const_host_device_scalarIT2_EEPKiS6_PKS3_S8_S4_PS3_21rocsparse_index_base_b.num_agpr, 0
	.set _ZN9rocsparseL19gebsrmvn_1xn_kernelILj128ELj4ELj4EdEEvi20rocsparse_direction_NS_24const_host_device_scalarIT2_EEPKiS6_PKS3_S8_S4_PS3_21rocsparse_index_base_b.numbered_sgpr, 11
	.set _ZN9rocsparseL19gebsrmvn_1xn_kernelILj128ELj4ELj4EdEEvi20rocsparse_direction_NS_24const_host_device_scalarIT2_EEPKiS6_PKS3_S8_S4_PS3_21rocsparse_index_base_b.num_named_barrier, 0
	.set _ZN9rocsparseL19gebsrmvn_1xn_kernelILj128ELj4ELj4EdEEvi20rocsparse_direction_NS_24const_host_device_scalarIT2_EEPKiS6_PKS3_S8_S4_PS3_21rocsparse_index_base_b.private_seg_size, 0
	.set _ZN9rocsparseL19gebsrmvn_1xn_kernelILj128ELj4ELj4EdEEvi20rocsparse_direction_NS_24const_host_device_scalarIT2_EEPKiS6_PKS3_S8_S4_PS3_21rocsparse_index_base_b.uses_vcc, 1
	.set _ZN9rocsparseL19gebsrmvn_1xn_kernelILj128ELj4ELj4EdEEvi20rocsparse_direction_NS_24const_host_device_scalarIT2_EEPKiS6_PKS3_S8_S4_PS3_21rocsparse_index_base_b.uses_flat_scratch, 0
	.set _ZN9rocsparseL19gebsrmvn_1xn_kernelILj128ELj4ELj4EdEEvi20rocsparse_direction_NS_24const_host_device_scalarIT2_EEPKiS6_PKS3_S8_S4_PS3_21rocsparse_index_base_b.has_dyn_sized_stack, 0
	.set _ZN9rocsparseL19gebsrmvn_1xn_kernelILj128ELj4ELj4EdEEvi20rocsparse_direction_NS_24const_host_device_scalarIT2_EEPKiS6_PKS3_S8_S4_PS3_21rocsparse_index_base_b.has_recursion, 0
	.set _ZN9rocsparseL19gebsrmvn_1xn_kernelILj128ELj4ELj4EdEEvi20rocsparse_direction_NS_24const_host_device_scalarIT2_EEPKiS6_PKS3_S8_S4_PS3_21rocsparse_index_base_b.has_indirect_call, 0
	.section	.AMDGPU.csdata,"",@progbits
; Kernel info:
; codeLenInByte = 760
; TotalNumSgprs: 13
; NumVgprs: 30
; ScratchSize: 0
; MemoryBound: 1
; FloatMode: 240
; IeeeMode: 1
; LDSByteSize: 0 bytes/workgroup (compile time only)
; SGPRBlocks: 0
; VGPRBlocks: 3
; NumSGPRsForWavesPerEU: 13
; NumVGPRsForWavesPerEU: 30
; Occupancy: 16
; WaveLimiterHint : 1
; COMPUTE_PGM_RSRC2:SCRATCH_EN: 0
; COMPUTE_PGM_RSRC2:USER_SGPR: 6
; COMPUTE_PGM_RSRC2:TRAP_HANDLER: 0
; COMPUTE_PGM_RSRC2:TGID_X_EN: 1
; COMPUTE_PGM_RSRC2:TGID_Y_EN: 0
; COMPUTE_PGM_RSRC2:TGID_Z_EN: 0
; COMPUTE_PGM_RSRC2:TIDIG_COMP_CNT: 0
	.section	.text._ZN9rocsparseL19gebsrmvn_1xn_kernelILj128ELj4ELj8EdEEvi20rocsparse_direction_NS_24const_host_device_scalarIT2_EEPKiS6_PKS3_S8_S4_PS3_21rocsparse_index_base_b,"axG",@progbits,_ZN9rocsparseL19gebsrmvn_1xn_kernelILj128ELj4ELj8EdEEvi20rocsparse_direction_NS_24const_host_device_scalarIT2_EEPKiS6_PKS3_S8_S4_PS3_21rocsparse_index_base_b,comdat
	.globl	_ZN9rocsparseL19gebsrmvn_1xn_kernelILj128ELj4ELj8EdEEvi20rocsparse_direction_NS_24const_host_device_scalarIT2_EEPKiS6_PKS3_S8_S4_PS3_21rocsparse_index_base_b ; -- Begin function _ZN9rocsparseL19gebsrmvn_1xn_kernelILj128ELj4ELj8EdEEvi20rocsparse_direction_NS_24const_host_device_scalarIT2_EEPKiS6_PKS3_S8_S4_PS3_21rocsparse_index_base_b
	.p2align	8
	.type	_ZN9rocsparseL19gebsrmvn_1xn_kernelILj128ELj4ELj8EdEEvi20rocsparse_direction_NS_24const_host_device_scalarIT2_EEPKiS6_PKS3_S8_S4_PS3_21rocsparse_index_base_b,@function
_ZN9rocsparseL19gebsrmvn_1xn_kernelILj128ELj4ELj8EdEEvi20rocsparse_direction_NS_24const_host_device_scalarIT2_EEPKiS6_PKS3_S8_S4_PS3_21rocsparse_index_base_b: ; @_ZN9rocsparseL19gebsrmvn_1xn_kernelILj128ELj4ELj8EdEEvi20rocsparse_direction_NS_24const_host_device_scalarIT2_EEPKiS6_PKS3_S8_S4_PS3_21rocsparse_index_base_b
; %bb.0:
	s_clause 0x2
	s_load_dwordx2 s[8:9], s[4:5], 0x40
	s_load_dwordx2 s[2:3], s[4:5], 0x8
	;; [unrolled: 1-line block ×3, first 2 shown]
	s_waitcnt lgkmcnt(0)
	s_bitcmp1_b32 s9, 0
	v_mov_b32_e32 v4, s3
	v_mov_b32_e32 v3, s2
	s_cselect_b32 s7, -1, 0
	s_and_b32 vcc_lo, exec_lo, s7
	s_xor_b32 s7, s7, -1
	s_cbranch_vccnz .LBB87_2
; %bb.1:
	v_mov_b32_e32 v1, s2
	v_mov_b32_e32 v2, s3
	flat_load_dwordx2 v[3:4], v[1:2]
.LBB87_2:
	v_mov_b32_e32 v2, s1
	v_mov_b32_e32 v1, s0
	s_andn2_b32 vcc_lo, exec_lo, s7
	s_cbranch_vccnz .LBB87_4
; %bb.3:
	v_mov_b32_e32 v2, s1
	v_mov_b32_e32 v1, s0
	flat_load_dwordx2 v[1:2], v[1:2]
.LBB87_4:
	s_waitcnt vmcnt(0) lgkmcnt(0)
	v_cmp_neq_f64_e32 vcc_lo, 0, v[3:4]
	v_cmp_neq_f64_e64 s0, 1.0, v[1:2]
	s_or_b32 s0, vcc_lo, s0
	s_and_saveexec_b32 s1, s0
	s_cbranch_execz .LBB87_15
; %bb.5:
	s_load_dword s0, s[4:5], 0x0
	v_lshrrev_b32_e32 v5, 3, v0
	v_lshl_or_b32 v5, s6, 4, v5
	s_waitcnt lgkmcnt(0)
	v_cmp_gt_i32_e32 vcc_lo, s0, v5
	s_and_b32 exec_lo, exec_lo, vcc_lo
	s_cbranch_execz .LBB87_15
; %bb.6:
	s_clause 0x1
	s_load_dwordx2 s[0:1], s[4:5], 0x10
	s_load_dwordx2 s[6:7], s[4:5], 0x38
	v_ashrrev_i32_e32 v6, 31, v5
	v_and_b32_e32 v0, 7, v0
	s_mov_b32 s9, exec_lo
	v_lshlrev_b64 v[7:8], 2, v[5:6]
	v_subrev_nc_u32_e32 v9, s8, v0
	s_waitcnt lgkmcnt(0)
	v_add_co_u32 v7, vcc_lo, s0, v7
	v_add_co_ci_u32_e64 v8, null, s1, v8, vcc_lo
	global_load_dwordx2 v[7:8], v[7:8], off
	s_waitcnt vmcnt(0)
	v_subrev_nc_u32_e32 v13, s8, v8
	v_add_nc_u32_e32 v9, v7, v9
	v_mov_b32_e32 v7, 0
	v_mov_b32_e32 v8, 0
	v_cmpx_lt_i32_e64 v9, v13
	s_cbranch_execz .LBB87_10
; %bb.7:
	s_clause 0x1
	s_load_dwordx4 s[0:3], s[4:5], 0x18
	s_load_dwordx2 s[4:5], s[4:5], 0x28
	v_mov_b32_e32 v7, 0
	v_lshlrev_b32_e32 v11, 2, v9
	v_mov_b32_e32 v8, 0
	v_mov_b32_e32 v12, 0
	s_mov_b32 s10, 0
	s_inst_prefetch 0x1
	.p2align	6
.LBB87_8:                               ; =>This Inner Loop Header: Depth=1
	v_ashrrev_i32_e32 v10, 31, v9
	v_mov_b32_e32 v17, v12
	v_lshlrev_b64 v[14:15], 2, v[9:10]
	v_add_nc_u32_e32 v9, 8, v9
	s_waitcnt lgkmcnt(0)
	v_add_co_u32 v14, vcc_lo, s0, v14
	v_add_co_ci_u32_e64 v15, null, s1, v15, vcc_lo
	global_load_dword v10, v[14:15], off
	v_lshlrev_b64 v[14:15], 3, v[11:12]
	v_add_nc_u32_e32 v11, 32, v11
	v_add_co_u32 v18, vcc_lo, s2, v14
	v_add_co_ci_u32_e64 v19, null, s3, v15, vcc_lo
	s_waitcnt vmcnt(0)
	v_subrev_nc_u32_e32 v10, s8, v10
	v_lshlrev_b32_e32 v16, 2, v10
	v_lshlrev_b64 v[16:17], 3, v[16:17]
	v_add_co_u32 v26, vcc_lo, s4, v16
	v_add_co_ci_u32_e64 v27, null, s5, v17, vcc_lo
	v_cmp_ge_i32_e32 vcc_lo, v9, v13
	s_clause 0x1
	global_load_dwordx4 v[14:17], v[18:19], off offset:16
	global_load_dwordx4 v[18:21], v[18:19], off
	s_clause 0x1
	global_load_dwordx4 v[22:25], v[26:27], off
	global_load_dwordx4 v[26:29], v[26:27], off offset:16
	s_or_b32 s10, vcc_lo, s10
	s_waitcnt vmcnt(1)
	v_fma_f64 v[7:8], v[18:19], v[22:23], v[7:8]
	v_fma_f64 v[7:8], v[20:21], v[24:25], v[7:8]
	s_waitcnt vmcnt(0)
	v_fma_f64 v[7:8], v[14:15], v[26:27], v[7:8]
	v_fma_f64 v[7:8], v[16:17], v[28:29], v[7:8]
	s_andn2_b32 exec_lo, exec_lo, s10
	s_cbranch_execnz .LBB87_8
; %bb.9:
	s_inst_prefetch 0x2
	s_or_b32 exec_lo, exec_lo, s10
.LBB87_10:
	s_or_b32 exec_lo, exec_lo, s9
	v_mbcnt_lo_u32_b32 v11, -1, 0
	v_xor_b32_e32 v9, 4, v11
	v_cmp_gt_i32_e32 vcc_lo, 32, v9
	v_cndmask_b32_e32 v9, v11, v9, vcc_lo
	v_lshlrev_b32_e32 v10, 2, v9
	ds_bpermute_b32 v9, v10, v7
	ds_bpermute_b32 v10, v10, v8
	s_waitcnt lgkmcnt(0)
	v_add_f64 v[7:8], v[7:8], v[9:10]
	v_xor_b32_e32 v9, 2, v11
	v_cmp_gt_i32_e32 vcc_lo, 32, v9
	v_cndmask_b32_e32 v9, v11, v9, vcc_lo
	v_lshlrev_b32_e32 v10, 2, v9
	ds_bpermute_b32 v9, v10, v7
	ds_bpermute_b32 v10, v10, v8
	s_waitcnt lgkmcnt(0)
	v_add_f64 v[7:8], v[7:8], v[9:10]
	v_xor_b32_e32 v9, 1, v11
	v_cmp_gt_i32_e32 vcc_lo, 32, v9
	v_cndmask_b32_e32 v9, v11, v9, vcc_lo
	v_cmp_eq_u32_e32 vcc_lo, 7, v0
	v_lshlrev_b32_e32 v10, 2, v9
	ds_bpermute_b32 v9, v10, v7
	ds_bpermute_b32 v10, v10, v8
	s_and_b32 exec_lo, exec_lo, vcc_lo
	s_cbranch_execz .LBB87_15
; %bb.11:
	s_waitcnt lgkmcnt(0)
	v_add_f64 v[7:8], v[7:8], v[9:10]
	v_lshlrev_b64 v[5:6], 3, v[5:6]
	s_mov_b32 s0, exec_lo
	v_mul_f64 v[3:4], v[3:4], v[7:8]
	v_cmpx_eq_f64_e32 0, v[1:2]
	s_xor_b32 s0, exec_lo, s0
	s_cbranch_execz .LBB87_13
; %bb.12:
	v_add_co_u32 v0, vcc_lo, s6, v5
	v_add_co_ci_u32_e64 v1, null, s7, v6, vcc_lo
                                        ; implicit-def: $vgpr5_vgpr6
	global_store_dwordx2 v[0:1], v[3:4], off
                                        ; implicit-def: $vgpr1_vgpr2
                                        ; implicit-def: $vgpr3_vgpr4
.LBB87_13:
	s_andn2_saveexec_b32 s0, s0
	s_cbranch_execz .LBB87_15
; %bb.14:
	v_add_co_u32 v5, vcc_lo, s6, v5
	v_add_co_ci_u32_e64 v6, null, s7, v6, vcc_lo
	global_load_dwordx2 v[7:8], v[5:6], off
	s_waitcnt vmcnt(0)
	v_fma_f64 v[0:1], v[1:2], v[7:8], v[3:4]
	global_store_dwordx2 v[5:6], v[0:1], off
.LBB87_15:
	s_endpgm
	.section	.rodata,"a",@progbits
	.p2align	6, 0x0
	.amdhsa_kernel _ZN9rocsparseL19gebsrmvn_1xn_kernelILj128ELj4ELj8EdEEvi20rocsparse_direction_NS_24const_host_device_scalarIT2_EEPKiS6_PKS3_S8_S4_PS3_21rocsparse_index_base_b
		.amdhsa_group_segment_fixed_size 0
		.amdhsa_private_segment_fixed_size 0
		.amdhsa_kernarg_size 72
		.amdhsa_user_sgpr_count 6
		.amdhsa_user_sgpr_private_segment_buffer 1
		.amdhsa_user_sgpr_dispatch_ptr 0
		.amdhsa_user_sgpr_queue_ptr 0
		.amdhsa_user_sgpr_kernarg_segment_ptr 1
		.amdhsa_user_sgpr_dispatch_id 0
		.amdhsa_user_sgpr_flat_scratch_init 0
		.amdhsa_user_sgpr_private_segment_size 0
		.amdhsa_wavefront_size32 1
		.amdhsa_uses_dynamic_stack 0
		.amdhsa_system_sgpr_private_segment_wavefront_offset 0
		.amdhsa_system_sgpr_workgroup_id_x 1
		.amdhsa_system_sgpr_workgroup_id_y 0
		.amdhsa_system_sgpr_workgroup_id_z 0
		.amdhsa_system_sgpr_workgroup_info 0
		.amdhsa_system_vgpr_workitem_id 0
		.amdhsa_next_free_vgpr 30
		.amdhsa_next_free_sgpr 11
		.amdhsa_reserve_vcc 1
		.amdhsa_reserve_flat_scratch 0
		.amdhsa_float_round_mode_32 0
		.amdhsa_float_round_mode_16_64 0
		.amdhsa_float_denorm_mode_32 3
		.amdhsa_float_denorm_mode_16_64 3
		.amdhsa_dx10_clamp 1
		.amdhsa_ieee_mode 1
		.amdhsa_fp16_overflow 0
		.amdhsa_workgroup_processor_mode 1
		.amdhsa_memory_ordered 1
		.amdhsa_forward_progress 1
		.amdhsa_shared_vgpr_count 0
		.amdhsa_exception_fp_ieee_invalid_op 0
		.amdhsa_exception_fp_denorm_src 0
		.amdhsa_exception_fp_ieee_div_zero 0
		.amdhsa_exception_fp_ieee_overflow 0
		.amdhsa_exception_fp_ieee_underflow 0
		.amdhsa_exception_fp_ieee_inexact 0
		.amdhsa_exception_int_div_zero 0
	.end_amdhsa_kernel
	.section	.text._ZN9rocsparseL19gebsrmvn_1xn_kernelILj128ELj4ELj8EdEEvi20rocsparse_direction_NS_24const_host_device_scalarIT2_EEPKiS6_PKS3_S8_S4_PS3_21rocsparse_index_base_b,"axG",@progbits,_ZN9rocsparseL19gebsrmvn_1xn_kernelILj128ELj4ELj8EdEEvi20rocsparse_direction_NS_24const_host_device_scalarIT2_EEPKiS6_PKS3_S8_S4_PS3_21rocsparse_index_base_b,comdat
.Lfunc_end87:
	.size	_ZN9rocsparseL19gebsrmvn_1xn_kernelILj128ELj4ELj8EdEEvi20rocsparse_direction_NS_24const_host_device_scalarIT2_EEPKiS6_PKS3_S8_S4_PS3_21rocsparse_index_base_b, .Lfunc_end87-_ZN9rocsparseL19gebsrmvn_1xn_kernelILj128ELj4ELj8EdEEvi20rocsparse_direction_NS_24const_host_device_scalarIT2_EEPKiS6_PKS3_S8_S4_PS3_21rocsparse_index_base_b
                                        ; -- End function
	.set _ZN9rocsparseL19gebsrmvn_1xn_kernelILj128ELj4ELj8EdEEvi20rocsparse_direction_NS_24const_host_device_scalarIT2_EEPKiS6_PKS3_S8_S4_PS3_21rocsparse_index_base_b.num_vgpr, 30
	.set _ZN9rocsparseL19gebsrmvn_1xn_kernelILj128ELj4ELj8EdEEvi20rocsparse_direction_NS_24const_host_device_scalarIT2_EEPKiS6_PKS3_S8_S4_PS3_21rocsparse_index_base_b.num_agpr, 0
	.set _ZN9rocsparseL19gebsrmvn_1xn_kernelILj128ELj4ELj8EdEEvi20rocsparse_direction_NS_24const_host_device_scalarIT2_EEPKiS6_PKS3_S8_S4_PS3_21rocsparse_index_base_b.numbered_sgpr, 11
	.set _ZN9rocsparseL19gebsrmvn_1xn_kernelILj128ELj4ELj8EdEEvi20rocsparse_direction_NS_24const_host_device_scalarIT2_EEPKiS6_PKS3_S8_S4_PS3_21rocsparse_index_base_b.num_named_barrier, 0
	.set _ZN9rocsparseL19gebsrmvn_1xn_kernelILj128ELj4ELj8EdEEvi20rocsparse_direction_NS_24const_host_device_scalarIT2_EEPKiS6_PKS3_S8_S4_PS3_21rocsparse_index_base_b.private_seg_size, 0
	.set _ZN9rocsparseL19gebsrmvn_1xn_kernelILj128ELj4ELj8EdEEvi20rocsparse_direction_NS_24const_host_device_scalarIT2_EEPKiS6_PKS3_S8_S4_PS3_21rocsparse_index_base_b.uses_vcc, 1
	.set _ZN9rocsparseL19gebsrmvn_1xn_kernelILj128ELj4ELj8EdEEvi20rocsparse_direction_NS_24const_host_device_scalarIT2_EEPKiS6_PKS3_S8_S4_PS3_21rocsparse_index_base_b.uses_flat_scratch, 0
	.set _ZN9rocsparseL19gebsrmvn_1xn_kernelILj128ELj4ELj8EdEEvi20rocsparse_direction_NS_24const_host_device_scalarIT2_EEPKiS6_PKS3_S8_S4_PS3_21rocsparse_index_base_b.has_dyn_sized_stack, 0
	.set _ZN9rocsparseL19gebsrmvn_1xn_kernelILj128ELj4ELj8EdEEvi20rocsparse_direction_NS_24const_host_device_scalarIT2_EEPKiS6_PKS3_S8_S4_PS3_21rocsparse_index_base_b.has_recursion, 0
	.set _ZN9rocsparseL19gebsrmvn_1xn_kernelILj128ELj4ELj8EdEEvi20rocsparse_direction_NS_24const_host_device_scalarIT2_EEPKiS6_PKS3_S8_S4_PS3_21rocsparse_index_base_b.has_indirect_call, 0
	.section	.AMDGPU.csdata,"",@progbits
; Kernel info:
; codeLenInByte = 804
; TotalNumSgprs: 13
; NumVgprs: 30
; ScratchSize: 0
; MemoryBound: 1
; FloatMode: 240
; IeeeMode: 1
; LDSByteSize: 0 bytes/workgroup (compile time only)
; SGPRBlocks: 0
; VGPRBlocks: 3
; NumSGPRsForWavesPerEU: 13
; NumVGPRsForWavesPerEU: 30
; Occupancy: 16
; WaveLimiterHint : 1
; COMPUTE_PGM_RSRC2:SCRATCH_EN: 0
; COMPUTE_PGM_RSRC2:USER_SGPR: 6
; COMPUTE_PGM_RSRC2:TRAP_HANDLER: 0
; COMPUTE_PGM_RSRC2:TGID_X_EN: 1
; COMPUTE_PGM_RSRC2:TGID_Y_EN: 0
; COMPUTE_PGM_RSRC2:TGID_Z_EN: 0
; COMPUTE_PGM_RSRC2:TIDIG_COMP_CNT: 0
	.section	.text._ZN9rocsparseL19gebsrmvn_1xn_kernelILj128ELj4ELj16EdEEvi20rocsparse_direction_NS_24const_host_device_scalarIT2_EEPKiS6_PKS3_S8_S4_PS3_21rocsparse_index_base_b,"axG",@progbits,_ZN9rocsparseL19gebsrmvn_1xn_kernelILj128ELj4ELj16EdEEvi20rocsparse_direction_NS_24const_host_device_scalarIT2_EEPKiS6_PKS3_S8_S4_PS3_21rocsparse_index_base_b,comdat
	.globl	_ZN9rocsparseL19gebsrmvn_1xn_kernelILj128ELj4ELj16EdEEvi20rocsparse_direction_NS_24const_host_device_scalarIT2_EEPKiS6_PKS3_S8_S4_PS3_21rocsparse_index_base_b ; -- Begin function _ZN9rocsparseL19gebsrmvn_1xn_kernelILj128ELj4ELj16EdEEvi20rocsparse_direction_NS_24const_host_device_scalarIT2_EEPKiS6_PKS3_S8_S4_PS3_21rocsparse_index_base_b
	.p2align	8
	.type	_ZN9rocsparseL19gebsrmvn_1xn_kernelILj128ELj4ELj16EdEEvi20rocsparse_direction_NS_24const_host_device_scalarIT2_EEPKiS6_PKS3_S8_S4_PS3_21rocsparse_index_base_b,@function
_ZN9rocsparseL19gebsrmvn_1xn_kernelILj128ELj4ELj16EdEEvi20rocsparse_direction_NS_24const_host_device_scalarIT2_EEPKiS6_PKS3_S8_S4_PS3_21rocsparse_index_base_b: ; @_ZN9rocsparseL19gebsrmvn_1xn_kernelILj128ELj4ELj16EdEEvi20rocsparse_direction_NS_24const_host_device_scalarIT2_EEPKiS6_PKS3_S8_S4_PS3_21rocsparse_index_base_b
; %bb.0:
	s_clause 0x2
	s_load_dwordx2 s[8:9], s[4:5], 0x40
	s_load_dwordx2 s[2:3], s[4:5], 0x8
	;; [unrolled: 1-line block ×3, first 2 shown]
	s_waitcnt lgkmcnt(0)
	s_bitcmp1_b32 s9, 0
	v_mov_b32_e32 v4, s3
	v_mov_b32_e32 v3, s2
	s_cselect_b32 s7, -1, 0
	s_and_b32 vcc_lo, exec_lo, s7
	s_xor_b32 s7, s7, -1
	s_cbranch_vccnz .LBB88_2
; %bb.1:
	v_mov_b32_e32 v1, s2
	v_mov_b32_e32 v2, s3
	flat_load_dwordx2 v[3:4], v[1:2]
.LBB88_2:
	v_mov_b32_e32 v2, s1
	v_mov_b32_e32 v1, s0
	s_andn2_b32 vcc_lo, exec_lo, s7
	s_cbranch_vccnz .LBB88_4
; %bb.3:
	v_mov_b32_e32 v2, s1
	v_mov_b32_e32 v1, s0
	flat_load_dwordx2 v[1:2], v[1:2]
.LBB88_4:
	s_waitcnt vmcnt(0) lgkmcnt(0)
	v_cmp_neq_f64_e32 vcc_lo, 0, v[3:4]
	v_cmp_neq_f64_e64 s0, 1.0, v[1:2]
	s_or_b32 s0, vcc_lo, s0
	s_and_saveexec_b32 s1, s0
	s_cbranch_execz .LBB88_15
; %bb.5:
	s_load_dword s0, s[4:5], 0x0
	v_lshrrev_b32_e32 v5, 4, v0
	v_lshl_or_b32 v5, s6, 3, v5
	s_waitcnt lgkmcnt(0)
	v_cmp_gt_i32_e32 vcc_lo, s0, v5
	s_and_b32 exec_lo, exec_lo, vcc_lo
	s_cbranch_execz .LBB88_15
; %bb.6:
	s_clause 0x1
	s_load_dwordx2 s[0:1], s[4:5], 0x10
	s_load_dwordx2 s[6:7], s[4:5], 0x38
	v_ashrrev_i32_e32 v6, 31, v5
	v_and_b32_e32 v0, 15, v0
	s_mov_b32 s9, exec_lo
	v_lshlrev_b64 v[7:8], 2, v[5:6]
	v_subrev_nc_u32_e32 v9, s8, v0
	s_waitcnt lgkmcnt(0)
	v_add_co_u32 v7, vcc_lo, s0, v7
	v_add_co_ci_u32_e64 v8, null, s1, v8, vcc_lo
	global_load_dwordx2 v[7:8], v[7:8], off
	s_waitcnt vmcnt(0)
	v_subrev_nc_u32_e32 v13, s8, v8
	v_add_nc_u32_e32 v9, v7, v9
	v_mov_b32_e32 v7, 0
	v_mov_b32_e32 v8, 0
	v_cmpx_lt_i32_e64 v9, v13
	s_cbranch_execz .LBB88_10
; %bb.7:
	s_clause 0x1
	s_load_dwordx4 s[0:3], s[4:5], 0x18
	s_load_dwordx2 s[4:5], s[4:5], 0x28
	v_mov_b32_e32 v7, 0
	v_lshlrev_b32_e32 v11, 2, v9
	v_mov_b32_e32 v8, 0
	v_mov_b32_e32 v12, 0
	s_mov_b32 s10, 0
	s_inst_prefetch 0x1
	.p2align	6
.LBB88_8:                               ; =>This Inner Loop Header: Depth=1
	v_ashrrev_i32_e32 v10, 31, v9
	v_mov_b32_e32 v17, v12
	v_lshlrev_b64 v[14:15], 2, v[9:10]
	v_add_nc_u32_e32 v9, 16, v9
	s_waitcnt lgkmcnt(0)
	v_add_co_u32 v14, vcc_lo, s0, v14
	v_add_co_ci_u32_e64 v15, null, s1, v15, vcc_lo
	global_load_dword v10, v[14:15], off
	v_lshlrev_b64 v[14:15], 3, v[11:12]
	v_add_nc_u32_e32 v11, 64, v11
	v_add_co_u32 v18, vcc_lo, s2, v14
	v_add_co_ci_u32_e64 v19, null, s3, v15, vcc_lo
	s_waitcnt vmcnt(0)
	v_subrev_nc_u32_e32 v10, s8, v10
	v_lshlrev_b32_e32 v16, 2, v10
	v_lshlrev_b64 v[16:17], 3, v[16:17]
	v_add_co_u32 v26, vcc_lo, s4, v16
	v_add_co_ci_u32_e64 v27, null, s5, v17, vcc_lo
	v_cmp_ge_i32_e32 vcc_lo, v9, v13
	s_clause 0x1
	global_load_dwordx4 v[14:17], v[18:19], off offset:16
	global_load_dwordx4 v[18:21], v[18:19], off
	s_clause 0x1
	global_load_dwordx4 v[22:25], v[26:27], off
	global_load_dwordx4 v[26:29], v[26:27], off offset:16
	s_or_b32 s10, vcc_lo, s10
	s_waitcnt vmcnt(1)
	v_fma_f64 v[7:8], v[18:19], v[22:23], v[7:8]
	v_fma_f64 v[7:8], v[20:21], v[24:25], v[7:8]
	s_waitcnt vmcnt(0)
	v_fma_f64 v[7:8], v[14:15], v[26:27], v[7:8]
	v_fma_f64 v[7:8], v[16:17], v[28:29], v[7:8]
	s_andn2_b32 exec_lo, exec_lo, s10
	s_cbranch_execnz .LBB88_8
; %bb.9:
	s_inst_prefetch 0x2
	s_or_b32 exec_lo, exec_lo, s10
.LBB88_10:
	s_or_b32 exec_lo, exec_lo, s9
	v_mbcnt_lo_u32_b32 v11, -1, 0
	v_xor_b32_e32 v9, 8, v11
	v_cmp_gt_i32_e32 vcc_lo, 32, v9
	v_cndmask_b32_e32 v9, v11, v9, vcc_lo
	v_lshlrev_b32_e32 v10, 2, v9
	ds_bpermute_b32 v9, v10, v7
	ds_bpermute_b32 v10, v10, v8
	s_waitcnt lgkmcnt(0)
	v_add_f64 v[7:8], v[7:8], v[9:10]
	v_xor_b32_e32 v9, 4, v11
	v_cmp_gt_i32_e32 vcc_lo, 32, v9
	v_cndmask_b32_e32 v9, v11, v9, vcc_lo
	v_lshlrev_b32_e32 v10, 2, v9
	ds_bpermute_b32 v9, v10, v7
	ds_bpermute_b32 v10, v10, v8
	s_waitcnt lgkmcnt(0)
	v_add_f64 v[7:8], v[7:8], v[9:10]
	;; [unrolled: 8-line block ×3, first 2 shown]
	v_xor_b32_e32 v9, 1, v11
	v_cmp_gt_i32_e32 vcc_lo, 32, v9
	v_cndmask_b32_e32 v9, v11, v9, vcc_lo
	v_cmp_eq_u32_e32 vcc_lo, 15, v0
	v_lshlrev_b32_e32 v10, 2, v9
	ds_bpermute_b32 v9, v10, v7
	ds_bpermute_b32 v10, v10, v8
	s_and_b32 exec_lo, exec_lo, vcc_lo
	s_cbranch_execz .LBB88_15
; %bb.11:
	s_waitcnt lgkmcnt(0)
	v_add_f64 v[7:8], v[7:8], v[9:10]
	v_lshlrev_b64 v[5:6], 3, v[5:6]
	s_mov_b32 s0, exec_lo
	v_mul_f64 v[3:4], v[3:4], v[7:8]
	v_cmpx_eq_f64_e32 0, v[1:2]
	s_xor_b32 s0, exec_lo, s0
	s_cbranch_execz .LBB88_13
; %bb.12:
	v_add_co_u32 v0, vcc_lo, s6, v5
	v_add_co_ci_u32_e64 v1, null, s7, v6, vcc_lo
                                        ; implicit-def: $vgpr5_vgpr6
	global_store_dwordx2 v[0:1], v[3:4], off
                                        ; implicit-def: $vgpr1_vgpr2
                                        ; implicit-def: $vgpr3_vgpr4
.LBB88_13:
	s_andn2_saveexec_b32 s0, s0
	s_cbranch_execz .LBB88_15
; %bb.14:
	v_add_co_u32 v5, vcc_lo, s6, v5
	v_add_co_ci_u32_e64 v6, null, s7, v6, vcc_lo
	global_load_dwordx2 v[7:8], v[5:6], off
	s_waitcnt vmcnt(0)
	v_fma_f64 v[0:1], v[1:2], v[7:8], v[3:4]
	global_store_dwordx2 v[5:6], v[0:1], off
.LBB88_15:
	s_endpgm
	.section	.rodata,"a",@progbits
	.p2align	6, 0x0
	.amdhsa_kernel _ZN9rocsparseL19gebsrmvn_1xn_kernelILj128ELj4ELj16EdEEvi20rocsparse_direction_NS_24const_host_device_scalarIT2_EEPKiS6_PKS3_S8_S4_PS3_21rocsparse_index_base_b
		.amdhsa_group_segment_fixed_size 0
		.amdhsa_private_segment_fixed_size 0
		.amdhsa_kernarg_size 72
		.amdhsa_user_sgpr_count 6
		.amdhsa_user_sgpr_private_segment_buffer 1
		.amdhsa_user_sgpr_dispatch_ptr 0
		.amdhsa_user_sgpr_queue_ptr 0
		.amdhsa_user_sgpr_kernarg_segment_ptr 1
		.amdhsa_user_sgpr_dispatch_id 0
		.amdhsa_user_sgpr_flat_scratch_init 0
		.amdhsa_user_sgpr_private_segment_size 0
		.amdhsa_wavefront_size32 1
		.amdhsa_uses_dynamic_stack 0
		.amdhsa_system_sgpr_private_segment_wavefront_offset 0
		.amdhsa_system_sgpr_workgroup_id_x 1
		.amdhsa_system_sgpr_workgroup_id_y 0
		.amdhsa_system_sgpr_workgroup_id_z 0
		.amdhsa_system_sgpr_workgroup_info 0
		.amdhsa_system_vgpr_workitem_id 0
		.amdhsa_next_free_vgpr 30
		.amdhsa_next_free_sgpr 11
		.amdhsa_reserve_vcc 1
		.amdhsa_reserve_flat_scratch 0
		.amdhsa_float_round_mode_32 0
		.amdhsa_float_round_mode_16_64 0
		.amdhsa_float_denorm_mode_32 3
		.amdhsa_float_denorm_mode_16_64 3
		.amdhsa_dx10_clamp 1
		.amdhsa_ieee_mode 1
		.amdhsa_fp16_overflow 0
		.amdhsa_workgroup_processor_mode 1
		.amdhsa_memory_ordered 1
		.amdhsa_forward_progress 1
		.amdhsa_shared_vgpr_count 0
		.amdhsa_exception_fp_ieee_invalid_op 0
		.amdhsa_exception_fp_denorm_src 0
		.amdhsa_exception_fp_ieee_div_zero 0
		.amdhsa_exception_fp_ieee_overflow 0
		.amdhsa_exception_fp_ieee_underflow 0
		.amdhsa_exception_fp_ieee_inexact 0
		.amdhsa_exception_int_div_zero 0
	.end_amdhsa_kernel
	.section	.text._ZN9rocsparseL19gebsrmvn_1xn_kernelILj128ELj4ELj16EdEEvi20rocsparse_direction_NS_24const_host_device_scalarIT2_EEPKiS6_PKS3_S8_S4_PS3_21rocsparse_index_base_b,"axG",@progbits,_ZN9rocsparseL19gebsrmvn_1xn_kernelILj128ELj4ELj16EdEEvi20rocsparse_direction_NS_24const_host_device_scalarIT2_EEPKiS6_PKS3_S8_S4_PS3_21rocsparse_index_base_b,comdat
.Lfunc_end88:
	.size	_ZN9rocsparseL19gebsrmvn_1xn_kernelILj128ELj4ELj16EdEEvi20rocsparse_direction_NS_24const_host_device_scalarIT2_EEPKiS6_PKS3_S8_S4_PS3_21rocsparse_index_base_b, .Lfunc_end88-_ZN9rocsparseL19gebsrmvn_1xn_kernelILj128ELj4ELj16EdEEvi20rocsparse_direction_NS_24const_host_device_scalarIT2_EEPKiS6_PKS3_S8_S4_PS3_21rocsparse_index_base_b
                                        ; -- End function
	.set _ZN9rocsparseL19gebsrmvn_1xn_kernelILj128ELj4ELj16EdEEvi20rocsparse_direction_NS_24const_host_device_scalarIT2_EEPKiS6_PKS3_S8_S4_PS3_21rocsparse_index_base_b.num_vgpr, 30
	.set _ZN9rocsparseL19gebsrmvn_1xn_kernelILj128ELj4ELj16EdEEvi20rocsparse_direction_NS_24const_host_device_scalarIT2_EEPKiS6_PKS3_S8_S4_PS3_21rocsparse_index_base_b.num_agpr, 0
	.set _ZN9rocsparseL19gebsrmvn_1xn_kernelILj128ELj4ELj16EdEEvi20rocsparse_direction_NS_24const_host_device_scalarIT2_EEPKiS6_PKS3_S8_S4_PS3_21rocsparse_index_base_b.numbered_sgpr, 11
	.set _ZN9rocsparseL19gebsrmvn_1xn_kernelILj128ELj4ELj16EdEEvi20rocsparse_direction_NS_24const_host_device_scalarIT2_EEPKiS6_PKS3_S8_S4_PS3_21rocsparse_index_base_b.num_named_barrier, 0
	.set _ZN9rocsparseL19gebsrmvn_1xn_kernelILj128ELj4ELj16EdEEvi20rocsparse_direction_NS_24const_host_device_scalarIT2_EEPKiS6_PKS3_S8_S4_PS3_21rocsparse_index_base_b.private_seg_size, 0
	.set _ZN9rocsparseL19gebsrmvn_1xn_kernelILj128ELj4ELj16EdEEvi20rocsparse_direction_NS_24const_host_device_scalarIT2_EEPKiS6_PKS3_S8_S4_PS3_21rocsparse_index_base_b.uses_vcc, 1
	.set _ZN9rocsparseL19gebsrmvn_1xn_kernelILj128ELj4ELj16EdEEvi20rocsparse_direction_NS_24const_host_device_scalarIT2_EEPKiS6_PKS3_S8_S4_PS3_21rocsparse_index_base_b.uses_flat_scratch, 0
	.set _ZN9rocsparseL19gebsrmvn_1xn_kernelILj128ELj4ELj16EdEEvi20rocsparse_direction_NS_24const_host_device_scalarIT2_EEPKiS6_PKS3_S8_S4_PS3_21rocsparse_index_base_b.has_dyn_sized_stack, 0
	.set _ZN9rocsparseL19gebsrmvn_1xn_kernelILj128ELj4ELj16EdEEvi20rocsparse_direction_NS_24const_host_device_scalarIT2_EEPKiS6_PKS3_S8_S4_PS3_21rocsparse_index_base_b.has_recursion, 0
	.set _ZN9rocsparseL19gebsrmvn_1xn_kernelILj128ELj4ELj16EdEEvi20rocsparse_direction_NS_24const_host_device_scalarIT2_EEPKiS6_PKS3_S8_S4_PS3_21rocsparse_index_base_b.has_indirect_call, 0
	.section	.AMDGPU.csdata,"",@progbits
; Kernel info:
; codeLenInByte = 848
; TotalNumSgprs: 13
; NumVgprs: 30
; ScratchSize: 0
; MemoryBound: 1
; FloatMode: 240
; IeeeMode: 1
; LDSByteSize: 0 bytes/workgroup (compile time only)
; SGPRBlocks: 0
; VGPRBlocks: 3
; NumSGPRsForWavesPerEU: 13
; NumVGPRsForWavesPerEU: 30
; Occupancy: 16
; WaveLimiterHint : 1
; COMPUTE_PGM_RSRC2:SCRATCH_EN: 0
; COMPUTE_PGM_RSRC2:USER_SGPR: 6
; COMPUTE_PGM_RSRC2:TRAP_HANDLER: 0
; COMPUTE_PGM_RSRC2:TGID_X_EN: 1
; COMPUTE_PGM_RSRC2:TGID_Y_EN: 0
; COMPUTE_PGM_RSRC2:TGID_Z_EN: 0
; COMPUTE_PGM_RSRC2:TIDIG_COMP_CNT: 0
	.section	.text._ZN9rocsparseL19gebsrmvn_1xn_kernelILj128ELj4ELj32EdEEvi20rocsparse_direction_NS_24const_host_device_scalarIT2_EEPKiS6_PKS3_S8_S4_PS3_21rocsparse_index_base_b,"axG",@progbits,_ZN9rocsparseL19gebsrmvn_1xn_kernelILj128ELj4ELj32EdEEvi20rocsparse_direction_NS_24const_host_device_scalarIT2_EEPKiS6_PKS3_S8_S4_PS3_21rocsparse_index_base_b,comdat
	.globl	_ZN9rocsparseL19gebsrmvn_1xn_kernelILj128ELj4ELj32EdEEvi20rocsparse_direction_NS_24const_host_device_scalarIT2_EEPKiS6_PKS3_S8_S4_PS3_21rocsparse_index_base_b ; -- Begin function _ZN9rocsparseL19gebsrmvn_1xn_kernelILj128ELj4ELj32EdEEvi20rocsparse_direction_NS_24const_host_device_scalarIT2_EEPKiS6_PKS3_S8_S4_PS3_21rocsparse_index_base_b
	.p2align	8
	.type	_ZN9rocsparseL19gebsrmvn_1xn_kernelILj128ELj4ELj32EdEEvi20rocsparse_direction_NS_24const_host_device_scalarIT2_EEPKiS6_PKS3_S8_S4_PS3_21rocsparse_index_base_b,@function
_ZN9rocsparseL19gebsrmvn_1xn_kernelILj128ELj4ELj32EdEEvi20rocsparse_direction_NS_24const_host_device_scalarIT2_EEPKiS6_PKS3_S8_S4_PS3_21rocsparse_index_base_b: ; @_ZN9rocsparseL19gebsrmvn_1xn_kernelILj128ELj4ELj32EdEEvi20rocsparse_direction_NS_24const_host_device_scalarIT2_EEPKiS6_PKS3_S8_S4_PS3_21rocsparse_index_base_b
; %bb.0:
	s_clause 0x2
	s_load_dwordx2 s[8:9], s[4:5], 0x40
	s_load_dwordx2 s[2:3], s[4:5], 0x8
	;; [unrolled: 1-line block ×3, first 2 shown]
	s_waitcnt lgkmcnt(0)
	s_bitcmp1_b32 s9, 0
	v_mov_b32_e32 v4, s3
	v_mov_b32_e32 v3, s2
	s_cselect_b32 s7, -1, 0
	s_and_b32 vcc_lo, exec_lo, s7
	s_xor_b32 s7, s7, -1
	s_cbranch_vccnz .LBB89_2
; %bb.1:
	v_mov_b32_e32 v1, s2
	v_mov_b32_e32 v2, s3
	flat_load_dwordx2 v[3:4], v[1:2]
.LBB89_2:
	v_mov_b32_e32 v2, s1
	v_mov_b32_e32 v1, s0
	s_andn2_b32 vcc_lo, exec_lo, s7
	s_cbranch_vccnz .LBB89_4
; %bb.3:
	v_mov_b32_e32 v2, s1
	v_mov_b32_e32 v1, s0
	flat_load_dwordx2 v[1:2], v[1:2]
.LBB89_4:
	s_waitcnt vmcnt(0) lgkmcnt(0)
	v_cmp_neq_f64_e32 vcc_lo, 0, v[3:4]
	v_cmp_neq_f64_e64 s0, 1.0, v[1:2]
	s_or_b32 s0, vcc_lo, s0
	s_and_saveexec_b32 s1, s0
	s_cbranch_execz .LBB89_15
; %bb.5:
	s_load_dword s0, s[4:5], 0x0
	v_lshrrev_b32_e32 v5, 5, v0
	v_lshl_or_b32 v5, s6, 2, v5
	s_waitcnt lgkmcnt(0)
	v_cmp_gt_i32_e32 vcc_lo, s0, v5
	s_and_b32 exec_lo, exec_lo, vcc_lo
	s_cbranch_execz .LBB89_15
; %bb.6:
	s_clause 0x1
	s_load_dwordx2 s[0:1], s[4:5], 0x10
	s_load_dwordx2 s[6:7], s[4:5], 0x38
	v_ashrrev_i32_e32 v6, 31, v5
	v_and_b32_e32 v0, 31, v0
	s_mov_b32 s9, exec_lo
	v_lshlrev_b64 v[7:8], 2, v[5:6]
	v_subrev_nc_u32_e32 v9, s8, v0
	s_waitcnt lgkmcnt(0)
	v_add_co_u32 v7, vcc_lo, s0, v7
	v_add_co_ci_u32_e64 v8, null, s1, v8, vcc_lo
	global_load_dwordx2 v[7:8], v[7:8], off
	s_waitcnt vmcnt(0)
	v_subrev_nc_u32_e32 v13, s8, v8
	v_add_nc_u32_e32 v9, v7, v9
	v_mov_b32_e32 v7, 0
	v_mov_b32_e32 v8, 0
	v_cmpx_lt_i32_e64 v9, v13
	s_cbranch_execz .LBB89_10
; %bb.7:
	s_clause 0x1
	s_load_dwordx4 s[0:3], s[4:5], 0x18
	s_load_dwordx2 s[4:5], s[4:5], 0x28
	v_mov_b32_e32 v7, 0
	v_lshlrev_b32_e32 v11, 2, v9
	v_mov_b32_e32 v8, 0
	v_mov_b32_e32 v12, 0
	s_mov_b32 s10, 0
	s_inst_prefetch 0x1
	.p2align	6
.LBB89_8:                               ; =>This Inner Loop Header: Depth=1
	v_ashrrev_i32_e32 v10, 31, v9
	v_mov_b32_e32 v17, v12
	v_lshlrev_b64 v[14:15], 2, v[9:10]
	v_add_nc_u32_e32 v9, 32, v9
	s_waitcnt lgkmcnt(0)
	v_add_co_u32 v14, vcc_lo, s0, v14
	v_add_co_ci_u32_e64 v15, null, s1, v15, vcc_lo
	global_load_dword v10, v[14:15], off
	v_lshlrev_b64 v[14:15], 3, v[11:12]
	v_add_nc_u32_e32 v11, 0x80, v11
	v_add_co_u32 v18, vcc_lo, s2, v14
	v_add_co_ci_u32_e64 v19, null, s3, v15, vcc_lo
	s_waitcnt vmcnt(0)
	v_subrev_nc_u32_e32 v10, s8, v10
	v_lshlrev_b32_e32 v16, 2, v10
	v_lshlrev_b64 v[16:17], 3, v[16:17]
	v_add_co_u32 v26, vcc_lo, s4, v16
	v_add_co_ci_u32_e64 v27, null, s5, v17, vcc_lo
	v_cmp_ge_i32_e32 vcc_lo, v9, v13
	s_clause 0x1
	global_load_dwordx4 v[14:17], v[18:19], off offset:16
	global_load_dwordx4 v[18:21], v[18:19], off
	s_clause 0x1
	global_load_dwordx4 v[22:25], v[26:27], off
	global_load_dwordx4 v[26:29], v[26:27], off offset:16
	s_or_b32 s10, vcc_lo, s10
	s_waitcnt vmcnt(1)
	v_fma_f64 v[7:8], v[18:19], v[22:23], v[7:8]
	v_fma_f64 v[7:8], v[20:21], v[24:25], v[7:8]
	s_waitcnt vmcnt(0)
	v_fma_f64 v[7:8], v[14:15], v[26:27], v[7:8]
	v_fma_f64 v[7:8], v[16:17], v[28:29], v[7:8]
	s_andn2_b32 exec_lo, exec_lo, s10
	s_cbranch_execnz .LBB89_8
; %bb.9:
	s_inst_prefetch 0x2
	s_or_b32 exec_lo, exec_lo, s10
.LBB89_10:
	s_or_b32 exec_lo, exec_lo, s9
	v_mbcnt_lo_u32_b32 v11, -1, 0
	v_xor_b32_e32 v9, 16, v11
	v_cmp_gt_i32_e32 vcc_lo, 32, v9
	v_cndmask_b32_e32 v9, v11, v9, vcc_lo
	v_lshlrev_b32_e32 v10, 2, v9
	ds_bpermute_b32 v9, v10, v7
	ds_bpermute_b32 v10, v10, v8
	s_waitcnt lgkmcnt(0)
	v_add_f64 v[7:8], v[7:8], v[9:10]
	v_xor_b32_e32 v9, 8, v11
	v_cmp_gt_i32_e32 vcc_lo, 32, v9
	v_cndmask_b32_e32 v9, v11, v9, vcc_lo
	v_lshlrev_b32_e32 v10, 2, v9
	ds_bpermute_b32 v9, v10, v7
	ds_bpermute_b32 v10, v10, v8
	s_waitcnt lgkmcnt(0)
	v_add_f64 v[7:8], v[7:8], v[9:10]
	;; [unrolled: 8-line block ×4, first 2 shown]
	v_xor_b32_e32 v9, 1, v11
	v_cmp_gt_i32_e32 vcc_lo, 32, v9
	v_cndmask_b32_e32 v9, v11, v9, vcc_lo
	v_cmp_eq_u32_e32 vcc_lo, 31, v0
	v_lshlrev_b32_e32 v10, 2, v9
	ds_bpermute_b32 v9, v10, v7
	ds_bpermute_b32 v10, v10, v8
	s_and_b32 exec_lo, exec_lo, vcc_lo
	s_cbranch_execz .LBB89_15
; %bb.11:
	s_waitcnt lgkmcnt(0)
	v_add_f64 v[7:8], v[7:8], v[9:10]
	v_lshlrev_b64 v[5:6], 3, v[5:6]
	s_mov_b32 s0, exec_lo
	v_mul_f64 v[3:4], v[3:4], v[7:8]
	v_cmpx_eq_f64_e32 0, v[1:2]
	s_xor_b32 s0, exec_lo, s0
	s_cbranch_execz .LBB89_13
; %bb.12:
	v_add_co_u32 v0, vcc_lo, s6, v5
	v_add_co_ci_u32_e64 v1, null, s7, v6, vcc_lo
                                        ; implicit-def: $vgpr5_vgpr6
	global_store_dwordx2 v[0:1], v[3:4], off
                                        ; implicit-def: $vgpr1_vgpr2
                                        ; implicit-def: $vgpr3_vgpr4
.LBB89_13:
	s_andn2_saveexec_b32 s0, s0
	s_cbranch_execz .LBB89_15
; %bb.14:
	v_add_co_u32 v5, vcc_lo, s6, v5
	v_add_co_ci_u32_e64 v6, null, s7, v6, vcc_lo
	global_load_dwordx2 v[7:8], v[5:6], off
	s_waitcnt vmcnt(0)
	v_fma_f64 v[0:1], v[1:2], v[7:8], v[3:4]
	global_store_dwordx2 v[5:6], v[0:1], off
.LBB89_15:
	s_endpgm
	.section	.rodata,"a",@progbits
	.p2align	6, 0x0
	.amdhsa_kernel _ZN9rocsparseL19gebsrmvn_1xn_kernelILj128ELj4ELj32EdEEvi20rocsparse_direction_NS_24const_host_device_scalarIT2_EEPKiS6_PKS3_S8_S4_PS3_21rocsparse_index_base_b
		.amdhsa_group_segment_fixed_size 0
		.amdhsa_private_segment_fixed_size 0
		.amdhsa_kernarg_size 72
		.amdhsa_user_sgpr_count 6
		.amdhsa_user_sgpr_private_segment_buffer 1
		.amdhsa_user_sgpr_dispatch_ptr 0
		.amdhsa_user_sgpr_queue_ptr 0
		.amdhsa_user_sgpr_kernarg_segment_ptr 1
		.amdhsa_user_sgpr_dispatch_id 0
		.amdhsa_user_sgpr_flat_scratch_init 0
		.amdhsa_user_sgpr_private_segment_size 0
		.amdhsa_wavefront_size32 1
		.amdhsa_uses_dynamic_stack 0
		.amdhsa_system_sgpr_private_segment_wavefront_offset 0
		.amdhsa_system_sgpr_workgroup_id_x 1
		.amdhsa_system_sgpr_workgroup_id_y 0
		.amdhsa_system_sgpr_workgroup_id_z 0
		.amdhsa_system_sgpr_workgroup_info 0
		.amdhsa_system_vgpr_workitem_id 0
		.amdhsa_next_free_vgpr 30
		.amdhsa_next_free_sgpr 11
		.amdhsa_reserve_vcc 1
		.amdhsa_reserve_flat_scratch 0
		.amdhsa_float_round_mode_32 0
		.amdhsa_float_round_mode_16_64 0
		.amdhsa_float_denorm_mode_32 3
		.amdhsa_float_denorm_mode_16_64 3
		.amdhsa_dx10_clamp 1
		.amdhsa_ieee_mode 1
		.amdhsa_fp16_overflow 0
		.amdhsa_workgroup_processor_mode 1
		.amdhsa_memory_ordered 1
		.amdhsa_forward_progress 1
		.amdhsa_shared_vgpr_count 0
		.amdhsa_exception_fp_ieee_invalid_op 0
		.amdhsa_exception_fp_denorm_src 0
		.amdhsa_exception_fp_ieee_div_zero 0
		.amdhsa_exception_fp_ieee_overflow 0
		.amdhsa_exception_fp_ieee_underflow 0
		.amdhsa_exception_fp_ieee_inexact 0
		.amdhsa_exception_int_div_zero 0
	.end_amdhsa_kernel
	.section	.text._ZN9rocsparseL19gebsrmvn_1xn_kernelILj128ELj4ELj32EdEEvi20rocsparse_direction_NS_24const_host_device_scalarIT2_EEPKiS6_PKS3_S8_S4_PS3_21rocsparse_index_base_b,"axG",@progbits,_ZN9rocsparseL19gebsrmvn_1xn_kernelILj128ELj4ELj32EdEEvi20rocsparse_direction_NS_24const_host_device_scalarIT2_EEPKiS6_PKS3_S8_S4_PS3_21rocsparse_index_base_b,comdat
.Lfunc_end89:
	.size	_ZN9rocsparseL19gebsrmvn_1xn_kernelILj128ELj4ELj32EdEEvi20rocsparse_direction_NS_24const_host_device_scalarIT2_EEPKiS6_PKS3_S8_S4_PS3_21rocsparse_index_base_b, .Lfunc_end89-_ZN9rocsparseL19gebsrmvn_1xn_kernelILj128ELj4ELj32EdEEvi20rocsparse_direction_NS_24const_host_device_scalarIT2_EEPKiS6_PKS3_S8_S4_PS3_21rocsparse_index_base_b
                                        ; -- End function
	.set _ZN9rocsparseL19gebsrmvn_1xn_kernelILj128ELj4ELj32EdEEvi20rocsparse_direction_NS_24const_host_device_scalarIT2_EEPKiS6_PKS3_S8_S4_PS3_21rocsparse_index_base_b.num_vgpr, 30
	.set _ZN9rocsparseL19gebsrmvn_1xn_kernelILj128ELj4ELj32EdEEvi20rocsparse_direction_NS_24const_host_device_scalarIT2_EEPKiS6_PKS3_S8_S4_PS3_21rocsparse_index_base_b.num_agpr, 0
	.set _ZN9rocsparseL19gebsrmvn_1xn_kernelILj128ELj4ELj32EdEEvi20rocsparse_direction_NS_24const_host_device_scalarIT2_EEPKiS6_PKS3_S8_S4_PS3_21rocsparse_index_base_b.numbered_sgpr, 11
	.set _ZN9rocsparseL19gebsrmvn_1xn_kernelILj128ELj4ELj32EdEEvi20rocsparse_direction_NS_24const_host_device_scalarIT2_EEPKiS6_PKS3_S8_S4_PS3_21rocsparse_index_base_b.num_named_barrier, 0
	.set _ZN9rocsparseL19gebsrmvn_1xn_kernelILj128ELj4ELj32EdEEvi20rocsparse_direction_NS_24const_host_device_scalarIT2_EEPKiS6_PKS3_S8_S4_PS3_21rocsparse_index_base_b.private_seg_size, 0
	.set _ZN9rocsparseL19gebsrmvn_1xn_kernelILj128ELj4ELj32EdEEvi20rocsparse_direction_NS_24const_host_device_scalarIT2_EEPKiS6_PKS3_S8_S4_PS3_21rocsparse_index_base_b.uses_vcc, 1
	.set _ZN9rocsparseL19gebsrmvn_1xn_kernelILj128ELj4ELj32EdEEvi20rocsparse_direction_NS_24const_host_device_scalarIT2_EEPKiS6_PKS3_S8_S4_PS3_21rocsparse_index_base_b.uses_flat_scratch, 0
	.set _ZN9rocsparseL19gebsrmvn_1xn_kernelILj128ELj4ELj32EdEEvi20rocsparse_direction_NS_24const_host_device_scalarIT2_EEPKiS6_PKS3_S8_S4_PS3_21rocsparse_index_base_b.has_dyn_sized_stack, 0
	.set _ZN9rocsparseL19gebsrmvn_1xn_kernelILj128ELj4ELj32EdEEvi20rocsparse_direction_NS_24const_host_device_scalarIT2_EEPKiS6_PKS3_S8_S4_PS3_21rocsparse_index_base_b.has_recursion, 0
	.set _ZN9rocsparseL19gebsrmvn_1xn_kernelILj128ELj4ELj32EdEEvi20rocsparse_direction_NS_24const_host_device_scalarIT2_EEPKiS6_PKS3_S8_S4_PS3_21rocsparse_index_base_b.has_indirect_call, 0
	.section	.AMDGPU.csdata,"",@progbits
; Kernel info:
; codeLenInByte = 896
; TotalNumSgprs: 13
; NumVgprs: 30
; ScratchSize: 0
; MemoryBound: 1
; FloatMode: 240
; IeeeMode: 1
; LDSByteSize: 0 bytes/workgroup (compile time only)
; SGPRBlocks: 0
; VGPRBlocks: 3
; NumSGPRsForWavesPerEU: 13
; NumVGPRsForWavesPerEU: 30
; Occupancy: 16
; WaveLimiterHint : 1
; COMPUTE_PGM_RSRC2:SCRATCH_EN: 0
; COMPUTE_PGM_RSRC2:USER_SGPR: 6
; COMPUTE_PGM_RSRC2:TRAP_HANDLER: 0
; COMPUTE_PGM_RSRC2:TGID_X_EN: 1
; COMPUTE_PGM_RSRC2:TGID_Y_EN: 0
; COMPUTE_PGM_RSRC2:TGID_Z_EN: 0
; COMPUTE_PGM_RSRC2:TIDIG_COMP_CNT: 0
	.section	.text._ZN9rocsparseL19gebsrmvn_1xn_kernelILj128ELj4ELj64EdEEvi20rocsparse_direction_NS_24const_host_device_scalarIT2_EEPKiS6_PKS3_S8_S4_PS3_21rocsparse_index_base_b,"axG",@progbits,_ZN9rocsparseL19gebsrmvn_1xn_kernelILj128ELj4ELj64EdEEvi20rocsparse_direction_NS_24const_host_device_scalarIT2_EEPKiS6_PKS3_S8_S4_PS3_21rocsparse_index_base_b,comdat
	.globl	_ZN9rocsparseL19gebsrmvn_1xn_kernelILj128ELj4ELj64EdEEvi20rocsparse_direction_NS_24const_host_device_scalarIT2_EEPKiS6_PKS3_S8_S4_PS3_21rocsparse_index_base_b ; -- Begin function _ZN9rocsparseL19gebsrmvn_1xn_kernelILj128ELj4ELj64EdEEvi20rocsparse_direction_NS_24const_host_device_scalarIT2_EEPKiS6_PKS3_S8_S4_PS3_21rocsparse_index_base_b
	.p2align	8
	.type	_ZN9rocsparseL19gebsrmvn_1xn_kernelILj128ELj4ELj64EdEEvi20rocsparse_direction_NS_24const_host_device_scalarIT2_EEPKiS6_PKS3_S8_S4_PS3_21rocsparse_index_base_b,@function
_ZN9rocsparseL19gebsrmvn_1xn_kernelILj128ELj4ELj64EdEEvi20rocsparse_direction_NS_24const_host_device_scalarIT2_EEPKiS6_PKS3_S8_S4_PS3_21rocsparse_index_base_b: ; @_ZN9rocsparseL19gebsrmvn_1xn_kernelILj128ELj4ELj64EdEEvi20rocsparse_direction_NS_24const_host_device_scalarIT2_EEPKiS6_PKS3_S8_S4_PS3_21rocsparse_index_base_b
; %bb.0:
	s_clause 0x2
	s_load_dwordx2 s[8:9], s[4:5], 0x40
	s_load_dwordx2 s[2:3], s[4:5], 0x8
	;; [unrolled: 1-line block ×3, first 2 shown]
	s_waitcnt lgkmcnt(0)
	s_bitcmp1_b32 s9, 0
	v_mov_b32_e32 v4, s3
	v_mov_b32_e32 v3, s2
	s_cselect_b32 s7, -1, 0
	s_and_b32 vcc_lo, exec_lo, s7
	s_xor_b32 s7, s7, -1
	s_cbranch_vccnz .LBB90_2
; %bb.1:
	v_mov_b32_e32 v1, s2
	v_mov_b32_e32 v2, s3
	flat_load_dwordx2 v[3:4], v[1:2]
.LBB90_2:
	v_mov_b32_e32 v2, s1
	v_mov_b32_e32 v1, s0
	s_andn2_b32 vcc_lo, exec_lo, s7
	s_cbranch_vccnz .LBB90_4
; %bb.3:
	v_mov_b32_e32 v2, s1
	v_mov_b32_e32 v1, s0
	flat_load_dwordx2 v[1:2], v[1:2]
.LBB90_4:
	s_waitcnt vmcnt(0) lgkmcnt(0)
	v_cmp_neq_f64_e32 vcc_lo, 0, v[3:4]
	v_cmp_neq_f64_e64 s0, 1.0, v[1:2]
	s_or_b32 s0, vcc_lo, s0
	s_and_saveexec_b32 s1, s0
	s_cbranch_execz .LBB90_15
; %bb.5:
	s_load_dword s0, s[4:5], 0x0
	v_lshrrev_b32_e32 v5, 6, v0
	v_lshl_or_b32 v5, s6, 1, v5
	s_waitcnt lgkmcnt(0)
	v_cmp_gt_i32_e32 vcc_lo, s0, v5
	s_and_b32 exec_lo, exec_lo, vcc_lo
	s_cbranch_execz .LBB90_15
; %bb.6:
	s_clause 0x1
	s_load_dwordx2 s[0:1], s[4:5], 0x10
	s_load_dwordx2 s[6:7], s[4:5], 0x38
	v_ashrrev_i32_e32 v6, 31, v5
	v_and_b32_e32 v0, 63, v0
	s_mov_b32 s9, exec_lo
	v_lshlrev_b64 v[7:8], 2, v[5:6]
	v_subrev_nc_u32_e32 v9, s8, v0
	s_waitcnt lgkmcnt(0)
	v_add_co_u32 v7, vcc_lo, s0, v7
	v_add_co_ci_u32_e64 v8, null, s1, v8, vcc_lo
	global_load_dwordx2 v[7:8], v[7:8], off
	s_waitcnt vmcnt(0)
	v_subrev_nc_u32_e32 v13, s8, v8
	v_add_nc_u32_e32 v9, v7, v9
	v_mov_b32_e32 v7, 0
	v_mov_b32_e32 v8, 0
	v_cmpx_lt_i32_e64 v9, v13
	s_cbranch_execz .LBB90_10
; %bb.7:
	s_clause 0x1
	s_load_dwordx4 s[0:3], s[4:5], 0x18
	s_load_dwordx2 s[4:5], s[4:5], 0x28
	v_mov_b32_e32 v7, 0
	v_lshlrev_b32_e32 v11, 2, v9
	v_mov_b32_e32 v8, 0
	v_mov_b32_e32 v12, 0
	s_mov_b32 s10, 0
	s_inst_prefetch 0x1
	.p2align	6
.LBB90_8:                               ; =>This Inner Loop Header: Depth=1
	v_ashrrev_i32_e32 v10, 31, v9
	v_mov_b32_e32 v17, v12
	v_lshlrev_b64 v[14:15], 2, v[9:10]
	v_add_nc_u32_e32 v9, 64, v9
	s_waitcnt lgkmcnt(0)
	v_add_co_u32 v14, vcc_lo, s0, v14
	v_add_co_ci_u32_e64 v15, null, s1, v15, vcc_lo
	global_load_dword v10, v[14:15], off
	v_lshlrev_b64 v[14:15], 3, v[11:12]
	v_add_nc_u32_e32 v11, 0x100, v11
	v_add_co_u32 v18, vcc_lo, s2, v14
	v_add_co_ci_u32_e64 v19, null, s3, v15, vcc_lo
	s_waitcnt vmcnt(0)
	v_subrev_nc_u32_e32 v10, s8, v10
	v_lshlrev_b32_e32 v16, 2, v10
	v_lshlrev_b64 v[16:17], 3, v[16:17]
	v_add_co_u32 v26, vcc_lo, s4, v16
	v_add_co_ci_u32_e64 v27, null, s5, v17, vcc_lo
	v_cmp_ge_i32_e32 vcc_lo, v9, v13
	s_clause 0x1
	global_load_dwordx4 v[14:17], v[18:19], off offset:16
	global_load_dwordx4 v[18:21], v[18:19], off
	s_clause 0x1
	global_load_dwordx4 v[22:25], v[26:27], off
	global_load_dwordx4 v[26:29], v[26:27], off offset:16
	s_or_b32 s10, vcc_lo, s10
	s_waitcnt vmcnt(1)
	v_fma_f64 v[7:8], v[18:19], v[22:23], v[7:8]
	v_fma_f64 v[7:8], v[20:21], v[24:25], v[7:8]
	s_waitcnt vmcnt(0)
	v_fma_f64 v[7:8], v[14:15], v[26:27], v[7:8]
	v_fma_f64 v[7:8], v[16:17], v[28:29], v[7:8]
	s_andn2_b32 exec_lo, exec_lo, s10
	s_cbranch_execnz .LBB90_8
; %bb.9:
	s_inst_prefetch 0x2
	s_or_b32 exec_lo, exec_lo, s10
.LBB90_10:
	s_or_b32 exec_lo, exec_lo, s9
	v_mbcnt_lo_u32_b32 v11, -1, 0
	v_or_b32_e32 v9, 32, v11
	v_cmp_gt_i32_e32 vcc_lo, 32, v9
	v_cndmask_b32_e32 v9, v11, v9, vcc_lo
	v_lshlrev_b32_e32 v10, 2, v9
	ds_bpermute_b32 v9, v10, v7
	ds_bpermute_b32 v10, v10, v8
	s_waitcnt lgkmcnt(0)
	v_add_f64 v[7:8], v[7:8], v[9:10]
	v_xor_b32_e32 v9, 16, v11
	v_cmp_gt_i32_e32 vcc_lo, 32, v9
	v_cndmask_b32_e32 v9, v11, v9, vcc_lo
	v_lshlrev_b32_e32 v10, 2, v9
	ds_bpermute_b32 v9, v10, v7
	ds_bpermute_b32 v10, v10, v8
	s_waitcnt lgkmcnt(0)
	v_add_f64 v[7:8], v[7:8], v[9:10]
	v_xor_b32_e32 v9, 8, v11
	;; [unrolled: 8-line block ×5, first 2 shown]
	v_cmp_gt_i32_e32 vcc_lo, 32, v9
	v_cndmask_b32_e32 v9, v11, v9, vcc_lo
	v_cmp_eq_u32_e32 vcc_lo, 63, v0
	v_lshlrev_b32_e32 v10, 2, v9
	ds_bpermute_b32 v9, v10, v7
	ds_bpermute_b32 v10, v10, v8
	s_and_b32 exec_lo, exec_lo, vcc_lo
	s_cbranch_execz .LBB90_15
; %bb.11:
	s_waitcnt lgkmcnt(0)
	v_add_f64 v[7:8], v[7:8], v[9:10]
	v_lshlrev_b64 v[5:6], 3, v[5:6]
	s_mov_b32 s0, exec_lo
	v_mul_f64 v[3:4], v[3:4], v[7:8]
	v_cmpx_eq_f64_e32 0, v[1:2]
	s_xor_b32 s0, exec_lo, s0
	s_cbranch_execz .LBB90_13
; %bb.12:
	v_add_co_u32 v0, vcc_lo, s6, v5
	v_add_co_ci_u32_e64 v1, null, s7, v6, vcc_lo
                                        ; implicit-def: $vgpr5_vgpr6
	global_store_dwordx2 v[0:1], v[3:4], off
                                        ; implicit-def: $vgpr1_vgpr2
                                        ; implicit-def: $vgpr3_vgpr4
.LBB90_13:
	s_andn2_saveexec_b32 s0, s0
	s_cbranch_execz .LBB90_15
; %bb.14:
	v_add_co_u32 v5, vcc_lo, s6, v5
	v_add_co_ci_u32_e64 v6, null, s7, v6, vcc_lo
	global_load_dwordx2 v[7:8], v[5:6], off
	s_waitcnt vmcnt(0)
	v_fma_f64 v[0:1], v[1:2], v[7:8], v[3:4]
	global_store_dwordx2 v[5:6], v[0:1], off
.LBB90_15:
	s_endpgm
	.section	.rodata,"a",@progbits
	.p2align	6, 0x0
	.amdhsa_kernel _ZN9rocsparseL19gebsrmvn_1xn_kernelILj128ELj4ELj64EdEEvi20rocsparse_direction_NS_24const_host_device_scalarIT2_EEPKiS6_PKS3_S8_S4_PS3_21rocsparse_index_base_b
		.amdhsa_group_segment_fixed_size 0
		.amdhsa_private_segment_fixed_size 0
		.amdhsa_kernarg_size 72
		.amdhsa_user_sgpr_count 6
		.amdhsa_user_sgpr_private_segment_buffer 1
		.amdhsa_user_sgpr_dispatch_ptr 0
		.amdhsa_user_sgpr_queue_ptr 0
		.amdhsa_user_sgpr_kernarg_segment_ptr 1
		.amdhsa_user_sgpr_dispatch_id 0
		.amdhsa_user_sgpr_flat_scratch_init 0
		.amdhsa_user_sgpr_private_segment_size 0
		.amdhsa_wavefront_size32 1
		.amdhsa_uses_dynamic_stack 0
		.amdhsa_system_sgpr_private_segment_wavefront_offset 0
		.amdhsa_system_sgpr_workgroup_id_x 1
		.amdhsa_system_sgpr_workgroup_id_y 0
		.amdhsa_system_sgpr_workgroup_id_z 0
		.amdhsa_system_sgpr_workgroup_info 0
		.amdhsa_system_vgpr_workitem_id 0
		.amdhsa_next_free_vgpr 30
		.amdhsa_next_free_sgpr 11
		.amdhsa_reserve_vcc 1
		.amdhsa_reserve_flat_scratch 0
		.amdhsa_float_round_mode_32 0
		.amdhsa_float_round_mode_16_64 0
		.amdhsa_float_denorm_mode_32 3
		.amdhsa_float_denorm_mode_16_64 3
		.amdhsa_dx10_clamp 1
		.amdhsa_ieee_mode 1
		.amdhsa_fp16_overflow 0
		.amdhsa_workgroup_processor_mode 1
		.amdhsa_memory_ordered 1
		.amdhsa_forward_progress 1
		.amdhsa_shared_vgpr_count 0
		.amdhsa_exception_fp_ieee_invalid_op 0
		.amdhsa_exception_fp_denorm_src 0
		.amdhsa_exception_fp_ieee_div_zero 0
		.amdhsa_exception_fp_ieee_overflow 0
		.amdhsa_exception_fp_ieee_underflow 0
		.amdhsa_exception_fp_ieee_inexact 0
		.amdhsa_exception_int_div_zero 0
	.end_amdhsa_kernel
	.section	.text._ZN9rocsparseL19gebsrmvn_1xn_kernelILj128ELj4ELj64EdEEvi20rocsparse_direction_NS_24const_host_device_scalarIT2_EEPKiS6_PKS3_S8_S4_PS3_21rocsparse_index_base_b,"axG",@progbits,_ZN9rocsparseL19gebsrmvn_1xn_kernelILj128ELj4ELj64EdEEvi20rocsparse_direction_NS_24const_host_device_scalarIT2_EEPKiS6_PKS3_S8_S4_PS3_21rocsparse_index_base_b,comdat
.Lfunc_end90:
	.size	_ZN9rocsparseL19gebsrmvn_1xn_kernelILj128ELj4ELj64EdEEvi20rocsparse_direction_NS_24const_host_device_scalarIT2_EEPKiS6_PKS3_S8_S4_PS3_21rocsparse_index_base_b, .Lfunc_end90-_ZN9rocsparseL19gebsrmvn_1xn_kernelILj128ELj4ELj64EdEEvi20rocsparse_direction_NS_24const_host_device_scalarIT2_EEPKiS6_PKS3_S8_S4_PS3_21rocsparse_index_base_b
                                        ; -- End function
	.set _ZN9rocsparseL19gebsrmvn_1xn_kernelILj128ELj4ELj64EdEEvi20rocsparse_direction_NS_24const_host_device_scalarIT2_EEPKiS6_PKS3_S8_S4_PS3_21rocsparse_index_base_b.num_vgpr, 30
	.set _ZN9rocsparseL19gebsrmvn_1xn_kernelILj128ELj4ELj64EdEEvi20rocsparse_direction_NS_24const_host_device_scalarIT2_EEPKiS6_PKS3_S8_S4_PS3_21rocsparse_index_base_b.num_agpr, 0
	.set _ZN9rocsparseL19gebsrmvn_1xn_kernelILj128ELj4ELj64EdEEvi20rocsparse_direction_NS_24const_host_device_scalarIT2_EEPKiS6_PKS3_S8_S4_PS3_21rocsparse_index_base_b.numbered_sgpr, 11
	.set _ZN9rocsparseL19gebsrmvn_1xn_kernelILj128ELj4ELj64EdEEvi20rocsparse_direction_NS_24const_host_device_scalarIT2_EEPKiS6_PKS3_S8_S4_PS3_21rocsparse_index_base_b.num_named_barrier, 0
	.set _ZN9rocsparseL19gebsrmvn_1xn_kernelILj128ELj4ELj64EdEEvi20rocsparse_direction_NS_24const_host_device_scalarIT2_EEPKiS6_PKS3_S8_S4_PS3_21rocsparse_index_base_b.private_seg_size, 0
	.set _ZN9rocsparseL19gebsrmvn_1xn_kernelILj128ELj4ELj64EdEEvi20rocsparse_direction_NS_24const_host_device_scalarIT2_EEPKiS6_PKS3_S8_S4_PS3_21rocsparse_index_base_b.uses_vcc, 1
	.set _ZN9rocsparseL19gebsrmvn_1xn_kernelILj128ELj4ELj64EdEEvi20rocsparse_direction_NS_24const_host_device_scalarIT2_EEPKiS6_PKS3_S8_S4_PS3_21rocsparse_index_base_b.uses_flat_scratch, 0
	.set _ZN9rocsparseL19gebsrmvn_1xn_kernelILj128ELj4ELj64EdEEvi20rocsparse_direction_NS_24const_host_device_scalarIT2_EEPKiS6_PKS3_S8_S4_PS3_21rocsparse_index_base_b.has_dyn_sized_stack, 0
	.set _ZN9rocsparseL19gebsrmvn_1xn_kernelILj128ELj4ELj64EdEEvi20rocsparse_direction_NS_24const_host_device_scalarIT2_EEPKiS6_PKS3_S8_S4_PS3_21rocsparse_index_base_b.has_recursion, 0
	.set _ZN9rocsparseL19gebsrmvn_1xn_kernelILj128ELj4ELj64EdEEvi20rocsparse_direction_NS_24const_host_device_scalarIT2_EEPKiS6_PKS3_S8_S4_PS3_21rocsparse_index_base_b.has_indirect_call, 0
	.section	.AMDGPU.csdata,"",@progbits
; Kernel info:
; codeLenInByte = 940
; TotalNumSgprs: 13
; NumVgprs: 30
; ScratchSize: 0
; MemoryBound: 1
; FloatMode: 240
; IeeeMode: 1
; LDSByteSize: 0 bytes/workgroup (compile time only)
; SGPRBlocks: 0
; VGPRBlocks: 3
; NumSGPRsForWavesPerEU: 13
; NumVGPRsForWavesPerEU: 30
; Occupancy: 16
; WaveLimiterHint : 1
; COMPUTE_PGM_RSRC2:SCRATCH_EN: 0
; COMPUTE_PGM_RSRC2:USER_SGPR: 6
; COMPUTE_PGM_RSRC2:TRAP_HANDLER: 0
; COMPUTE_PGM_RSRC2:TGID_X_EN: 1
; COMPUTE_PGM_RSRC2:TGID_Y_EN: 0
; COMPUTE_PGM_RSRC2:TGID_Z_EN: 0
; COMPUTE_PGM_RSRC2:TIDIG_COMP_CNT: 0
	.section	.text._ZN9rocsparseL19gebsrmvn_1xn_kernelILj128ELj5ELj4EdEEvi20rocsparse_direction_NS_24const_host_device_scalarIT2_EEPKiS6_PKS3_S8_S4_PS3_21rocsparse_index_base_b,"axG",@progbits,_ZN9rocsparseL19gebsrmvn_1xn_kernelILj128ELj5ELj4EdEEvi20rocsparse_direction_NS_24const_host_device_scalarIT2_EEPKiS6_PKS3_S8_S4_PS3_21rocsparse_index_base_b,comdat
	.globl	_ZN9rocsparseL19gebsrmvn_1xn_kernelILj128ELj5ELj4EdEEvi20rocsparse_direction_NS_24const_host_device_scalarIT2_EEPKiS6_PKS3_S8_S4_PS3_21rocsparse_index_base_b ; -- Begin function _ZN9rocsparseL19gebsrmvn_1xn_kernelILj128ELj5ELj4EdEEvi20rocsparse_direction_NS_24const_host_device_scalarIT2_EEPKiS6_PKS3_S8_S4_PS3_21rocsparse_index_base_b
	.p2align	8
	.type	_ZN9rocsparseL19gebsrmvn_1xn_kernelILj128ELj5ELj4EdEEvi20rocsparse_direction_NS_24const_host_device_scalarIT2_EEPKiS6_PKS3_S8_S4_PS3_21rocsparse_index_base_b,@function
_ZN9rocsparseL19gebsrmvn_1xn_kernelILj128ELj5ELj4EdEEvi20rocsparse_direction_NS_24const_host_device_scalarIT2_EEPKiS6_PKS3_S8_S4_PS3_21rocsparse_index_base_b: ; @_ZN9rocsparseL19gebsrmvn_1xn_kernelILj128ELj5ELj4EdEEvi20rocsparse_direction_NS_24const_host_device_scalarIT2_EEPKiS6_PKS3_S8_S4_PS3_21rocsparse_index_base_b
; %bb.0:
	s_clause 0x2
	s_load_dwordx2 s[12:13], s[4:5], 0x40
	s_load_dwordx2 s[2:3], s[4:5], 0x8
	;; [unrolled: 1-line block ×3, first 2 shown]
	s_waitcnt lgkmcnt(0)
	s_bitcmp1_b32 s13, 0
	v_mov_b32_e32 v4, s3
	v_mov_b32_e32 v3, s2
	s_cselect_b32 s7, -1, 0
	s_and_b32 vcc_lo, exec_lo, s7
	s_xor_b32 s7, s7, -1
	s_cbranch_vccnz .LBB91_2
; %bb.1:
	v_mov_b32_e32 v1, s2
	v_mov_b32_e32 v2, s3
	flat_load_dwordx2 v[3:4], v[1:2]
.LBB91_2:
	v_mov_b32_e32 v2, s1
	v_mov_b32_e32 v1, s0
	s_andn2_b32 vcc_lo, exec_lo, s7
	s_cbranch_vccnz .LBB91_4
; %bb.3:
	v_mov_b32_e32 v2, s1
	v_mov_b32_e32 v1, s0
	flat_load_dwordx2 v[1:2], v[1:2]
.LBB91_4:
	s_waitcnt vmcnt(0) lgkmcnt(0)
	v_cmp_neq_f64_e32 vcc_lo, 0, v[3:4]
	v_cmp_neq_f64_e64 s0, 1.0, v[1:2]
	s_or_b32 s0, vcc_lo, s0
	s_and_saveexec_b32 s1, s0
	s_cbranch_execz .LBB91_15
; %bb.5:
	s_load_dword s0, s[4:5], 0x0
	v_lshrrev_b32_e32 v5, 2, v0
	v_lshl_or_b32 v5, s6, 5, v5
	s_waitcnt lgkmcnt(0)
	v_cmp_gt_i32_e32 vcc_lo, s0, v5
	s_and_b32 exec_lo, exec_lo, vcc_lo
	s_cbranch_execz .LBB91_15
; %bb.6:
	s_clause 0x1
	s_load_dwordx2 s[0:1], s[4:5], 0x10
	s_load_dwordx2 s[2:3], s[4:5], 0x38
	v_ashrrev_i32_e32 v6, 31, v5
	v_and_b32_e32 v0, 3, v0
	v_lshlrev_b64 v[7:8], 2, v[5:6]
	v_subrev_nc_u32_e32 v9, s12, v0
	s_waitcnt lgkmcnt(0)
	v_add_co_u32 v7, vcc_lo, s0, v7
	v_add_co_ci_u32_e64 v8, null, s1, v8, vcc_lo
	s_mov_b32 s1, exec_lo
	global_load_dwordx2 v[7:8], v[7:8], off
	s_waitcnt vmcnt(0)
	v_subrev_nc_u32_e32 v14, s12, v8
	v_add_nc_u32_e32 v9, v7, v9
	v_mov_b32_e32 v7, 0
	v_mov_b32_e32 v8, 0
	v_cmpx_lt_i32_e64 v9, v14
	s_cbranch_execz .LBB91_10
; %bb.7:
	s_clause 0x1
	s_load_dwordx4 s[8:11], s[4:5], 0x18
	s_load_dwordx2 s[4:5], s[4:5], 0x28
	v_mad_u64_u32 v[11:12], null, v9, 5, 4
	v_mov_b32_e32 v7, 0
	v_mov_b32_e32 v8, 0
	;; [unrolled: 1-line block ×3, first 2 shown]
	s_mov_b32 s6, 0
.LBB91_8:                               ; =>This Inner Loop Header: Depth=1
	v_ashrrev_i32_e32 v10, 31, v9
	v_add_nc_u32_e32 v12, -4, v11
	v_lshlrev_b64 v[15:16], 2, v[9:10]
	v_lshlrev_b64 v[17:18], 3, v[12:13]
	v_add_nc_u32_e32 v12, -3, v11
	v_add_nc_u32_e32 v9, 4, v9
	s_waitcnt lgkmcnt(0)
	v_add_co_u32 v15, vcc_lo, s8, v15
	v_add_co_ci_u32_e64 v16, null, s9, v16, vcc_lo
	v_lshlrev_b64 v[19:20], 3, v[12:13]
	v_add_co_u32 v17, vcc_lo, s10, v17
	global_load_dword v10, v[15:16], off
	v_mov_b32_e32 v16, v13
	v_add_co_ci_u32_e64 v18, null, s11, v18, vcc_lo
	v_add_co_u32 v19, vcc_lo, s10, v19
	v_add_co_ci_u32_e64 v20, null, s11, v20, vcc_lo
	s_waitcnt vmcnt(0)
	v_subrev_nc_u32_e32 v10, s12, v10
	v_lshl_add_u32 v15, v10, 2, v10
	v_lshlrev_b64 v[21:22], 3, v[15:16]
	v_add_nc_u32_e32 v12, 1, v15
	v_add_co_u32 v21, s0, s4, v21
	v_add_co_ci_u32_e64 v22, null, s5, v22, s0
	s_clause 0x1
	global_load_dwordx2 v[16:17], v[17:18], off
	global_load_dwordx2 v[18:19], v[19:20], off
	;; [unrolled: 1-line block ×3, first 2 shown]
	v_lshlrev_b64 v[22:23], 3, v[12:13]
	v_add_nc_u32_e32 v12, -2, v11
	v_lshlrev_b64 v[24:25], 3, v[12:13]
	v_add_co_u32 v22, vcc_lo, s4, v22
	v_add_co_ci_u32_e64 v23, null, s5, v23, vcc_lo
	v_add_nc_u32_e32 v12, 2, v15
	v_add_co_u32 v24, vcc_lo, s10, v24
	global_load_dwordx2 v[22:23], v[22:23], off
	v_add_co_ci_u32_e64 v25, null, s11, v25, vcc_lo
	v_lshlrev_b64 v[26:27], 3, v[12:13]
	v_add_nc_u32_e32 v12, -1, v11
	v_add_co_u32 v26, vcc_lo, s4, v26
	v_add_co_ci_u32_e64 v27, null, s5, v27, vcc_lo
	global_load_dwordx2 v[24:25], v[24:25], off
	global_load_dwordx2 v[26:27], v[26:27], off
	v_lshlrev_b64 v[28:29], 3, v[12:13]
	v_add_nc_u32_e32 v12, 3, v15
	v_lshlrev_b64 v[30:31], 3, v[12:13]
	v_add_co_u32 v28, vcc_lo, s10, v28
	v_add_co_ci_u32_e64 v29, null, s11, v29, vcc_lo
	v_mov_b32_e32 v12, v13
	v_add_co_u32 v30, vcc_lo, s4, v30
	v_add_co_ci_u32_e64 v31, null, s5, v31, vcc_lo
	global_load_dwordx2 v[28:29], v[28:29], off
	global_load_dwordx2 v[30:31], v[30:31], off
	v_lshlrev_b64 v[32:33], 3, v[11:12]
	v_add_nc_u32_e32 v12, 4, v15
	v_add_nc_u32_e32 v11, 20, v11
	v_lshlrev_b64 v[34:35], 3, v[12:13]
	v_add_co_u32 v32, vcc_lo, s10, v32
	v_add_co_ci_u32_e64 v33, null, s11, v33, vcc_lo
	v_add_co_u32 v34, vcc_lo, s4, v34
	v_add_co_ci_u32_e64 v35, null, s5, v35, vcc_lo
	global_load_dwordx2 v[32:33], v[32:33], off
	global_load_dwordx2 v[34:35], v[34:35], off
	v_cmp_ge_i32_e32 vcc_lo, v9, v14
	s_or_b32 s6, vcc_lo, s6
	s_waitcnt vmcnt(7)
	v_fma_f64 v[7:8], v[16:17], v[20:21], v[7:8]
	s_waitcnt vmcnt(6)
	v_fma_f64 v[7:8], v[18:19], v[22:23], v[7:8]
	;; [unrolled: 2-line block ×5, first 2 shown]
	s_andn2_b32 exec_lo, exec_lo, s6
	s_cbranch_execnz .LBB91_8
; %bb.9:
	s_or_b32 exec_lo, exec_lo, s6
.LBB91_10:
	s_or_b32 exec_lo, exec_lo, s1
	v_mbcnt_lo_u32_b32 v11, -1, 0
	v_xor_b32_e32 v9, 2, v11
	v_cmp_gt_i32_e32 vcc_lo, 32, v9
	v_cndmask_b32_e32 v9, v11, v9, vcc_lo
	v_lshlrev_b32_e32 v10, 2, v9
	ds_bpermute_b32 v9, v10, v7
	ds_bpermute_b32 v10, v10, v8
	s_waitcnt lgkmcnt(0)
	v_add_f64 v[7:8], v[7:8], v[9:10]
	v_xor_b32_e32 v9, 1, v11
	v_cmp_gt_i32_e32 vcc_lo, 32, v9
	v_cndmask_b32_e32 v9, v11, v9, vcc_lo
	v_cmp_eq_u32_e32 vcc_lo, 3, v0
	v_lshlrev_b32_e32 v10, 2, v9
	ds_bpermute_b32 v9, v10, v7
	ds_bpermute_b32 v10, v10, v8
	s_and_b32 exec_lo, exec_lo, vcc_lo
	s_cbranch_execz .LBB91_15
; %bb.11:
	s_waitcnt lgkmcnt(0)
	v_add_f64 v[7:8], v[7:8], v[9:10]
	v_lshlrev_b64 v[5:6], 3, v[5:6]
	s_mov_b32 s0, exec_lo
	v_mul_f64 v[3:4], v[3:4], v[7:8]
	v_cmpx_eq_f64_e32 0, v[1:2]
	s_xor_b32 s0, exec_lo, s0
	s_cbranch_execz .LBB91_13
; %bb.12:
	v_add_co_u32 v0, vcc_lo, s2, v5
	v_add_co_ci_u32_e64 v1, null, s3, v6, vcc_lo
                                        ; implicit-def: $vgpr5_vgpr6
	global_store_dwordx2 v[0:1], v[3:4], off
                                        ; implicit-def: $vgpr1_vgpr2
                                        ; implicit-def: $vgpr3_vgpr4
.LBB91_13:
	s_andn2_saveexec_b32 s0, s0
	s_cbranch_execz .LBB91_15
; %bb.14:
	v_add_co_u32 v5, vcc_lo, s2, v5
	v_add_co_ci_u32_e64 v6, null, s3, v6, vcc_lo
	global_load_dwordx2 v[7:8], v[5:6], off
	s_waitcnt vmcnt(0)
	v_fma_f64 v[0:1], v[1:2], v[7:8], v[3:4]
	global_store_dwordx2 v[5:6], v[0:1], off
.LBB91_15:
	s_endpgm
	.section	.rodata,"a",@progbits
	.p2align	6, 0x0
	.amdhsa_kernel _ZN9rocsparseL19gebsrmvn_1xn_kernelILj128ELj5ELj4EdEEvi20rocsparse_direction_NS_24const_host_device_scalarIT2_EEPKiS6_PKS3_S8_S4_PS3_21rocsparse_index_base_b
		.amdhsa_group_segment_fixed_size 0
		.amdhsa_private_segment_fixed_size 0
		.amdhsa_kernarg_size 72
		.amdhsa_user_sgpr_count 6
		.amdhsa_user_sgpr_private_segment_buffer 1
		.amdhsa_user_sgpr_dispatch_ptr 0
		.amdhsa_user_sgpr_queue_ptr 0
		.amdhsa_user_sgpr_kernarg_segment_ptr 1
		.amdhsa_user_sgpr_dispatch_id 0
		.amdhsa_user_sgpr_flat_scratch_init 0
		.amdhsa_user_sgpr_private_segment_size 0
		.amdhsa_wavefront_size32 1
		.amdhsa_uses_dynamic_stack 0
		.amdhsa_system_sgpr_private_segment_wavefront_offset 0
		.amdhsa_system_sgpr_workgroup_id_x 1
		.amdhsa_system_sgpr_workgroup_id_y 0
		.amdhsa_system_sgpr_workgroup_id_z 0
		.amdhsa_system_sgpr_workgroup_info 0
		.amdhsa_system_vgpr_workitem_id 0
		.amdhsa_next_free_vgpr 36
		.amdhsa_next_free_sgpr 14
		.amdhsa_reserve_vcc 1
		.amdhsa_reserve_flat_scratch 0
		.amdhsa_float_round_mode_32 0
		.amdhsa_float_round_mode_16_64 0
		.amdhsa_float_denorm_mode_32 3
		.amdhsa_float_denorm_mode_16_64 3
		.amdhsa_dx10_clamp 1
		.amdhsa_ieee_mode 1
		.amdhsa_fp16_overflow 0
		.amdhsa_workgroup_processor_mode 1
		.amdhsa_memory_ordered 1
		.amdhsa_forward_progress 1
		.amdhsa_shared_vgpr_count 0
		.amdhsa_exception_fp_ieee_invalid_op 0
		.amdhsa_exception_fp_denorm_src 0
		.amdhsa_exception_fp_ieee_div_zero 0
		.amdhsa_exception_fp_ieee_overflow 0
		.amdhsa_exception_fp_ieee_underflow 0
		.amdhsa_exception_fp_ieee_inexact 0
		.amdhsa_exception_int_div_zero 0
	.end_amdhsa_kernel
	.section	.text._ZN9rocsparseL19gebsrmvn_1xn_kernelILj128ELj5ELj4EdEEvi20rocsparse_direction_NS_24const_host_device_scalarIT2_EEPKiS6_PKS3_S8_S4_PS3_21rocsparse_index_base_b,"axG",@progbits,_ZN9rocsparseL19gebsrmvn_1xn_kernelILj128ELj5ELj4EdEEvi20rocsparse_direction_NS_24const_host_device_scalarIT2_EEPKiS6_PKS3_S8_S4_PS3_21rocsparse_index_base_b,comdat
.Lfunc_end91:
	.size	_ZN9rocsparseL19gebsrmvn_1xn_kernelILj128ELj5ELj4EdEEvi20rocsparse_direction_NS_24const_host_device_scalarIT2_EEPKiS6_PKS3_S8_S4_PS3_21rocsparse_index_base_b, .Lfunc_end91-_ZN9rocsparseL19gebsrmvn_1xn_kernelILj128ELj5ELj4EdEEvi20rocsparse_direction_NS_24const_host_device_scalarIT2_EEPKiS6_PKS3_S8_S4_PS3_21rocsparse_index_base_b
                                        ; -- End function
	.set _ZN9rocsparseL19gebsrmvn_1xn_kernelILj128ELj5ELj4EdEEvi20rocsparse_direction_NS_24const_host_device_scalarIT2_EEPKiS6_PKS3_S8_S4_PS3_21rocsparse_index_base_b.num_vgpr, 36
	.set _ZN9rocsparseL19gebsrmvn_1xn_kernelILj128ELj5ELj4EdEEvi20rocsparse_direction_NS_24const_host_device_scalarIT2_EEPKiS6_PKS3_S8_S4_PS3_21rocsparse_index_base_b.num_agpr, 0
	.set _ZN9rocsparseL19gebsrmvn_1xn_kernelILj128ELj5ELj4EdEEvi20rocsparse_direction_NS_24const_host_device_scalarIT2_EEPKiS6_PKS3_S8_S4_PS3_21rocsparse_index_base_b.numbered_sgpr, 14
	.set _ZN9rocsparseL19gebsrmvn_1xn_kernelILj128ELj5ELj4EdEEvi20rocsparse_direction_NS_24const_host_device_scalarIT2_EEPKiS6_PKS3_S8_S4_PS3_21rocsparse_index_base_b.num_named_barrier, 0
	.set _ZN9rocsparseL19gebsrmvn_1xn_kernelILj128ELj5ELj4EdEEvi20rocsparse_direction_NS_24const_host_device_scalarIT2_EEPKiS6_PKS3_S8_S4_PS3_21rocsparse_index_base_b.private_seg_size, 0
	.set _ZN9rocsparseL19gebsrmvn_1xn_kernelILj128ELj5ELj4EdEEvi20rocsparse_direction_NS_24const_host_device_scalarIT2_EEPKiS6_PKS3_S8_S4_PS3_21rocsparse_index_base_b.uses_vcc, 1
	.set _ZN9rocsparseL19gebsrmvn_1xn_kernelILj128ELj5ELj4EdEEvi20rocsparse_direction_NS_24const_host_device_scalarIT2_EEPKiS6_PKS3_S8_S4_PS3_21rocsparse_index_base_b.uses_flat_scratch, 0
	.set _ZN9rocsparseL19gebsrmvn_1xn_kernelILj128ELj5ELj4EdEEvi20rocsparse_direction_NS_24const_host_device_scalarIT2_EEPKiS6_PKS3_S8_S4_PS3_21rocsparse_index_base_b.has_dyn_sized_stack, 0
	.set _ZN9rocsparseL19gebsrmvn_1xn_kernelILj128ELj5ELj4EdEEvi20rocsparse_direction_NS_24const_host_device_scalarIT2_EEPKiS6_PKS3_S8_S4_PS3_21rocsparse_index_base_b.has_recursion, 0
	.set _ZN9rocsparseL19gebsrmvn_1xn_kernelILj128ELj5ELj4EdEEvi20rocsparse_direction_NS_24const_host_device_scalarIT2_EEPKiS6_PKS3_S8_S4_PS3_21rocsparse_index_base_b.has_indirect_call, 0
	.section	.AMDGPU.csdata,"",@progbits
; Kernel info:
; codeLenInByte = 1052
; TotalNumSgprs: 16
; NumVgprs: 36
; ScratchSize: 0
; MemoryBound: 0
; FloatMode: 240
; IeeeMode: 1
; LDSByteSize: 0 bytes/workgroup (compile time only)
; SGPRBlocks: 0
; VGPRBlocks: 4
; NumSGPRsForWavesPerEU: 16
; NumVGPRsForWavesPerEU: 36
; Occupancy: 16
; WaveLimiterHint : 1
; COMPUTE_PGM_RSRC2:SCRATCH_EN: 0
; COMPUTE_PGM_RSRC2:USER_SGPR: 6
; COMPUTE_PGM_RSRC2:TRAP_HANDLER: 0
; COMPUTE_PGM_RSRC2:TGID_X_EN: 1
; COMPUTE_PGM_RSRC2:TGID_Y_EN: 0
; COMPUTE_PGM_RSRC2:TGID_Z_EN: 0
; COMPUTE_PGM_RSRC2:TIDIG_COMP_CNT: 0
	.section	.text._ZN9rocsparseL19gebsrmvn_1xn_kernelILj128ELj5ELj8EdEEvi20rocsparse_direction_NS_24const_host_device_scalarIT2_EEPKiS6_PKS3_S8_S4_PS3_21rocsparse_index_base_b,"axG",@progbits,_ZN9rocsparseL19gebsrmvn_1xn_kernelILj128ELj5ELj8EdEEvi20rocsparse_direction_NS_24const_host_device_scalarIT2_EEPKiS6_PKS3_S8_S4_PS3_21rocsparse_index_base_b,comdat
	.globl	_ZN9rocsparseL19gebsrmvn_1xn_kernelILj128ELj5ELj8EdEEvi20rocsparse_direction_NS_24const_host_device_scalarIT2_EEPKiS6_PKS3_S8_S4_PS3_21rocsparse_index_base_b ; -- Begin function _ZN9rocsparseL19gebsrmvn_1xn_kernelILj128ELj5ELj8EdEEvi20rocsparse_direction_NS_24const_host_device_scalarIT2_EEPKiS6_PKS3_S8_S4_PS3_21rocsparse_index_base_b
	.p2align	8
	.type	_ZN9rocsparseL19gebsrmvn_1xn_kernelILj128ELj5ELj8EdEEvi20rocsparse_direction_NS_24const_host_device_scalarIT2_EEPKiS6_PKS3_S8_S4_PS3_21rocsparse_index_base_b,@function
_ZN9rocsparseL19gebsrmvn_1xn_kernelILj128ELj5ELj8EdEEvi20rocsparse_direction_NS_24const_host_device_scalarIT2_EEPKiS6_PKS3_S8_S4_PS3_21rocsparse_index_base_b: ; @_ZN9rocsparseL19gebsrmvn_1xn_kernelILj128ELj5ELj8EdEEvi20rocsparse_direction_NS_24const_host_device_scalarIT2_EEPKiS6_PKS3_S8_S4_PS3_21rocsparse_index_base_b
; %bb.0:
	s_clause 0x2
	s_load_dwordx2 s[12:13], s[4:5], 0x40
	s_load_dwordx2 s[2:3], s[4:5], 0x8
	;; [unrolled: 1-line block ×3, first 2 shown]
	s_waitcnt lgkmcnt(0)
	s_bitcmp1_b32 s13, 0
	v_mov_b32_e32 v4, s3
	v_mov_b32_e32 v3, s2
	s_cselect_b32 s7, -1, 0
	s_and_b32 vcc_lo, exec_lo, s7
	s_xor_b32 s7, s7, -1
	s_cbranch_vccnz .LBB92_2
; %bb.1:
	v_mov_b32_e32 v1, s2
	v_mov_b32_e32 v2, s3
	flat_load_dwordx2 v[3:4], v[1:2]
.LBB92_2:
	v_mov_b32_e32 v2, s1
	v_mov_b32_e32 v1, s0
	s_andn2_b32 vcc_lo, exec_lo, s7
	s_cbranch_vccnz .LBB92_4
; %bb.3:
	v_mov_b32_e32 v2, s1
	v_mov_b32_e32 v1, s0
	flat_load_dwordx2 v[1:2], v[1:2]
.LBB92_4:
	s_waitcnt vmcnt(0) lgkmcnt(0)
	v_cmp_neq_f64_e32 vcc_lo, 0, v[3:4]
	v_cmp_neq_f64_e64 s0, 1.0, v[1:2]
	s_or_b32 s0, vcc_lo, s0
	s_and_saveexec_b32 s1, s0
	s_cbranch_execz .LBB92_15
; %bb.5:
	s_load_dword s0, s[4:5], 0x0
	v_lshrrev_b32_e32 v5, 3, v0
	v_lshl_or_b32 v5, s6, 4, v5
	s_waitcnt lgkmcnt(0)
	v_cmp_gt_i32_e32 vcc_lo, s0, v5
	s_and_b32 exec_lo, exec_lo, vcc_lo
	s_cbranch_execz .LBB92_15
; %bb.6:
	s_clause 0x1
	s_load_dwordx2 s[0:1], s[4:5], 0x10
	s_load_dwordx2 s[2:3], s[4:5], 0x38
	v_ashrrev_i32_e32 v6, 31, v5
	v_and_b32_e32 v0, 7, v0
	v_lshlrev_b64 v[7:8], 2, v[5:6]
	v_subrev_nc_u32_e32 v9, s12, v0
	s_waitcnt lgkmcnt(0)
	v_add_co_u32 v7, vcc_lo, s0, v7
	v_add_co_ci_u32_e64 v8, null, s1, v8, vcc_lo
	s_mov_b32 s1, exec_lo
	global_load_dwordx2 v[7:8], v[7:8], off
	s_waitcnt vmcnt(0)
	v_subrev_nc_u32_e32 v14, s12, v8
	v_add_nc_u32_e32 v9, v7, v9
	v_mov_b32_e32 v7, 0
	v_mov_b32_e32 v8, 0
	v_cmpx_lt_i32_e64 v9, v14
	s_cbranch_execz .LBB92_10
; %bb.7:
	s_clause 0x1
	s_load_dwordx4 s[8:11], s[4:5], 0x18
	s_load_dwordx2 s[4:5], s[4:5], 0x28
	v_mad_u64_u32 v[11:12], null, v9, 5, 4
	v_mov_b32_e32 v7, 0
	v_mov_b32_e32 v8, 0
	;; [unrolled: 1-line block ×3, first 2 shown]
	s_mov_b32 s6, 0
.LBB92_8:                               ; =>This Inner Loop Header: Depth=1
	v_ashrrev_i32_e32 v10, 31, v9
	v_add_nc_u32_e32 v12, -4, v11
	v_lshlrev_b64 v[15:16], 2, v[9:10]
	v_lshlrev_b64 v[17:18], 3, v[12:13]
	v_add_nc_u32_e32 v12, -3, v11
	v_add_nc_u32_e32 v9, 8, v9
	s_waitcnt lgkmcnt(0)
	v_add_co_u32 v15, vcc_lo, s8, v15
	v_add_co_ci_u32_e64 v16, null, s9, v16, vcc_lo
	v_lshlrev_b64 v[19:20], 3, v[12:13]
	v_add_co_u32 v17, vcc_lo, s10, v17
	global_load_dword v10, v[15:16], off
	v_mov_b32_e32 v16, v13
	v_add_co_ci_u32_e64 v18, null, s11, v18, vcc_lo
	v_add_co_u32 v19, vcc_lo, s10, v19
	v_add_co_ci_u32_e64 v20, null, s11, v20, vcc_lo
	s_waitcnt vmcnt(0)
	v_subrev_nc_u32_e32 v10, s12, v10
	v_lshl_add_u32 v15, v10, 2, v10
	v_lshlrev_b64 v[21:22], 3, v[15:16]
	v_add_nc_u32_e32 v12, 1, v15
	v_add_co_u32 v21, s0, s4, v21
	v_add_co_ci_u32_e64 v22, null, s5, v22, s0
	s_clause 0x1
	global_load_dwordx2 v[16:17], v[17:18], off
	global_load_dwordx2 v[18:19], v[19:20], off
	;; [unrolled: 1-line block ×3, first 2 shown]
	v_lshlrev_b64 v[22:23], 3, v[12:13]
	v_add_nc_u32_e32 v12, -2, v11
	v_lshlrev_b64 v[24:25], 3, v[12:13]
	v_add_co_u32 v22, vcc_lo, s4, v22
	v_add_co_ci_u32_e64 v23, null, s5, v23, vcc_lo
	v_add_nc_u32_e32 v12, 2, v15
	v_add_co_u32 v24, vcc_lo, s10, v24
	global_load_dwordx2 v[22:23], v[22:23], off
	v_add_co_ci_u32_e64 v25, null, s11, v25, vcc_lo
	v_lshlrev_b64 v[26:27], 3, v[12:13]
	v_add_nc_u32_e32 v12, -1, v11
	v_add_co_u32 v26, vcc_lo, s4, v26
	v_add_co_ci_u32_e64 v27, null, s5, v27, vcc_lo
	global_load_dwordx2 v[24:25], v[24:25], off
	global_load_dwordx2 v[26:27], v[26:27], off
	v_lshlrev_b64 v[28:29], 3, v[12:13]
	v_add_nc_u32_e32 v12, 3, v15
	v_lshlrev_b64 v[30:31], 3, v[12:13]
	v_add_co_u32 v28, vcc_lo, s10, v28
	v_add_co_ci_u32_e64 v29, null, s11, v29, vcc_lo
	v_mov_b32_e32 v12, v13
	v_add_co_u32 v30, vcc_lo, s4, v30
	v_add_co_ci_u32_e64 v31, null, s5, v31, vcc_lo
	global_load_dwordx2 v[28:29], v[28:29], off
	global_load_dwordx2 v[30:31], v[30:31], off
	v_lshlrev_b64 v[32:33], 3, v[11:12]
	v_add_nc_u32_e32 v12, 4, v15
	v_add_nc_u32_e32 v11, 40, v11
	v_lshlrev_b64 v[34:35], 3, v[12:13]
	v_add_co_u32 v32, vcc_lo, s10, v32
	v_add_co_ci_u32_e64 v33, null, s11, v33, vcc_lo
	v_add_co_u32 v34, vcc_lo, s4, v34
	v_add_co_ci_u32_e64 v35, null, s5, v35, vcc_lo
	global_load_dwordx2 v[32:33], v[32:33], off
	global_load_dwordx2 v[34:35], v[34:35], off
	v_cmp_ge_i32_e32 vcc_lo, v9, v14
	s_or_b32 s6, vcc_lo, s6
	s_waitcnt vmcnt(7)
	v_fma_f64 v[7:8], v[16:17], v[20:21], v[7:8]
	s_waitcnt vmcnt(6)
	v_fma_f64 v[7:8], v[18:19], v[22:23], v[7:8]
	;; [unrolled: 2-line block ×5, first 2 shown]
	s_andn2_b32 exec_lo, exec_lo, s6
	s_cbranch_execnz .LBB92_8
; %bb.9:
	s_or_b32 exec_lo, exec_lo, s6
.LBB92_10:
	s_or_b32 exec_lo, exec_lo, s1
	v_mbcnt_lo_u32_b32 v11, -1, 0
	v_xor_b32_e32 v9, 4, v11
	v_cmp_gt_i32_e32 vcc_lo, 32, v9
	v_cndmask_b32_e32 v9, v11, v9, vcc_lo
	v_lshlrev_b32_e32 v10, 2, v9
	ds_bpermute_b32 v9, v10, v7
	ds_bpermute_b32 v10, v10, v8
	s_waitcnt lgkmcnt(0)
	v_add_f64 v[7:8], v[7:8], v[9:10]
	v_xor_b32_e32 v9, 2, v11
	v_cmp_gt_i32_e32 vcc_lo, 32, v9
	v_cndmask_b32_e32 v9, v11, v9, vcc_lo
	v_lshlrev_b32_e32 v10, 2, v9
	ds_bpermute_b32 v9, v10, v7
	ds_bpermute_b32 v10, v10, v8
	s_waitcnt lgkmcnt(0)
	v_add_f64 v[7:8], v[7:8], v[9:10]
	v_xor_b32_e32 v9, 1, v11
	v_cmp_gt_i32_e32 vcc_lo, 32, v9
	v_cndmask_b32_e32 v9, v11, v9, vcc_lo
	v_cmp_eq_u32_e32 vcc_lo, 7, v0
	v_lshlrev_b32_e32 v10, 2, v9
	ds_bpermute_b32 v9, v10, v7
	ds_bpermute_b32 v10, v10, v8
	s_and_b32 exec_lo, exec_lo, vcc_lo
	s_cbranch_execz .LBB92_15
; %bb.11:
	s_waitcnt lgkmcnt(0)
	v_add_f64 v[7:8], v[7:8], v[9:10]
	v_lshlrev_b64 v[5:6], 3, v[5:6]
	s_mov_b32 s0, exec_lo
	v_mul_f64 v[3:4], v[3:4], v[7:8]
	v_cmpx_eq_f64_e32 0, v[1:2]
	s_xor_b32 s0, exec_lo, s0
	s_cbranch_execz .LBB92_13
; %bb.12:
	v_add_co_u32 v0, vcc_lo, s2, v5
	v_add_co_ci_u32_e64 v1, null, s3, v6, vcc_lo
                                        ; implicit-def: $vgpr5_vgpr6
	global_store_dwordx2 v[0:1], v[3:4], off
                                        ; implicit-def: $vgpr1_vgpr2
                                        ; implicit-def: $vgpr3_vgpr4
.LBB92_13:
	s_andn2_saveexec_b32 s0, s0
	s_cbranch_execz .LBB92_15
; %bb.14:
	v_add_co_u32 v5, vcc_lo, s2, v5
	v_add_co_ci_u32_e64 v6, null, s3, v6, vcc_lo
	global_load_dwordx2 v[7:8], v[5:6], off
	s_waitcnt vmcnt(0)
	v_fma_f64 v[0:1], v[1:2], v[7:8], v[3:4]
	global_store_dwordx2 v[5:6], v[0:1], off
.LBB92_15:
	s_endpgm
	.section	.rodata,"a",@progbits
	.p2align	6, 0x0
	.amdhsa_kernel _ZN9rocsparseL19gebsrmvn_1xn_kernelILj128ELj5ELj8EdEEvi20rocsparse_direction_NS_24const_host_device_scalarIT2_EEPKiS6_PKS3_S8_S4_PS3_21rocsparse_index_base_b
		.amdhsa_group_segment_fixed_size 0
		.amdhsa_private_segment_fixed_size 0
		.amdhsa_kernarg_size 72
		.amdhsa_user_sgpr_count 6
		.amdhsa_user_sgpr_private_segment_buffer 1
		.amdhsa_user_sgpr_dispatch_ptr 0
		.amdhsa_user_sgpr_queue_ptr 0
		.amdhsa_user_sgpr_kernarg_segment_ptr 1
		.amdhsa_user_sgpr_dispatch_id 0
		.amdhsa_user_sgpr_flat_scratch_init 0
		.amdhsa_user_sgpr_private_segment_size 0
		.amdhsa_wavefront_size32 1
		.amdhsa_uses_dynamic_stack 0
		.amdhsa_system_sgpr_private_segment_wavefront_offset 0
		.amdhsa_system_sgpr_workgroup_id_x 1
		.amdhsa_system_sgpr_workgroup_id_y 0
		.amdhsa_system_sgpr_workgroup_id_z 0
		.amdhsa_system_sgpr_workgroup_info 0
		.amdhsa_system_vgpr_workitem_id 0
		.amdhsa_next_free_vgpr 36
		.amdhsa_next_free_sgpr 14
		.amdhsa_reserve_vcc 1
		.amdhsa_reserve_flat_scratch 0
		.amdhsa_float_round_mode_32 0
		.amdhsa_float_round_mode_16_64 0
		.amdhsa_float_denorm_mode_32 3
		.amdhsa_float_denorm_mode_16_64 3
		.amdhsa_dx10_clamp 1
		.amdhsa_ieee_mode 1
		.amdhsa_fp16_overflow 0
		.amdhsa_workgroup_processor_mode 1
		.amdhsa_memory_ordered 1
		.amdhsa_forward_progress 1
		.amdhsa_shared_vgpr_count 0
		.amdhsa_exception_fp_ieee_invalid_op 0
		.amdhsa_exception_fp_denorm_src 0
		.amdhsa_exception_fp_ieee_div_zero 0
		.amdhsa_exception_fp_ieee_overflow 0
		.amdhsa_exception_fp_ieee_underflow 0
		.amdhsa_exception_fp_ieee_inexact 0
		.amdhsa_exception_int_div_zero 0
	.end_amdhsa_kernel
	.section	.text._ZN9rocsparseL19gebsrmvn_1xn_kernelILj128ELj5ELj8EdEEvi20rocsparse_direction_NS_24const_host_device_scalarIT2_EEPKiS6_PKS3_S8_S4_PS3_21rocsparse_index_base_b,"axG",@progbits,_ZN9rocsparseL19gebsrmvn_1xn_kernelILj128ELj5ELj8EdEEvi20rocsparse_direction_NS_24const_host_device_scalarIT2_EEPKiS6_PKS3_S8_S4_PS3_21rocsparse_index_base_b,comdat
.Lfunc_end92:
	.size	_ZN9rocsparseL19gebsrmvn_1xn_kernelILj128ELj5ELj8EdEEvi20rocsparse_direction_NS_24const_host_device_scalarIT2_EEPKiS6_PKS3_S8_S4_PS3_21rocsparse_index_base_b, .Lfunc_end92-_ZN9rocsparseL19gebsrmvn_1xn_kernelILj128ELj5ELj8EdEEvi20rocsparse_direction_NS_24const_host_device_scalarIT2_EEPKiS6_PKS3_S8_S4_PS3_21rocsparse_index_base_b
                                        ; -- End function
	.set _ZN9rocsparseL19gebsrmvn_1xn_kernelILj128ELj5ELj8EdEEvi20rocsparse_direction_NS_24const_host_device_scalarIT2_EEPKiS6_PKS3_S8_S4_PS3_21rocsparse_index_base_b.num_vgpr, 36
	.set _ZN9rocsparseL19gebsrmvn_1xn_kernelILj128ELj5ELj8EdEEvi20rocsparse_direction_NS_24const_host_device_scalarIT2_EEPKiS6_PKS3_S8_S4_PS3_21rocsparse_index_base_b.num_agpr, 0
	.set _ZN9rocsparseL19gebsrmvn_1xn_kernelILj128ELj5ELj8EdEEvi20rocsparse_direction_NS_24const_host_device_scalarIT2_EEPKiS6_PKS3_S8_S4_PS3_21rocsparse_index_base_b.numbered_sgpr, 14
	.set _ZN9rocsparseL19gebsrmvn_1xn_kernelILj128ELj5ELj8EdEEvi20rocsparse_direction_NS_24const_host_device_scalarIT2_EEPKiS6_PKS3_S8_S4_PS3_21rocsparse_index_base_b.num_named_barrier, 0
	.set _ZN9rocsparseL19gebsrmvn_1xn_kernelILj128ELj5ELj8EdEEvi20rocsparse_direction_NS_24const_host_device_scalarIT2_EEPKiS6_PKS3_S8_S4_PS3_21rocsparse_index_base_b.private_seg_size, 0
	.set _ZN9rocsparseL19gebsrmvn_1xn_kernelILj128ELj5ELj8EdEEvi20rocsparse_direction_NS_24const_host_device_scalarIT2_EEPKiS6_PKS3_S8_S4_PS3_21rocsparse_index_base_b.uses_vcc, 1
	.set _ZN9rocsparseL19gebsrmvn_1xn_kernelILj128ELj5ELj8EdEEvi20rocsparse_direction_NS_24const_host_device_scalarIT2_EEPKiS6_PKS3_S8_S4_PS3_21rocsparse_index_base_b.uses_flat_scratch, 0
	.set _ZN9rocsparseL19gebsrmvn_1xn_kernelILj128ELj5ELj8EdEEvi20rocsparse_direction_NS_24const_host_device_scalarIT2_EEPKiS6_PKS3_S8_S4_PS3_21rocsparse_index_base_b.has_dyn_sized_stack, 0
	.set _ZN9rocsparseL19gebsrmvn_1xn_kernelILj128ELj5ELj8EdEEvi20rocsparse_direction_NS_24const_host_device_scalarIT2_EEPKiS6_PKS3_S8_S4_PS3_21rocsparse_index_base_b.has_recursion, 0
	.set _ZN9rocsparseL19gebsrmvn_1xn_kernelILj128ELj5ELj8EdEEvi20rocsparse_direction_NS_24const_host_device_scalarIT2_EEPKiS6_PKS3_S8_S4_PS3_21rocsparse_index_base_b.has_indirect_call, 0
	.section	.AMDGPU.csdata,"",@progbits
; Kernel info:
; codeLenInByte = 1096
; TotalNumSgprs: 16
; NumVgprs: 36
; ScratchSize: 0
; MemoryBound: 0
; FloatMode: 240
; IeeeMode: 1
; LDSByteSize: 0 bytes/workgroup (compile time only)
; SGPRBlocks: 0
; VGPRBlocks: 4
; NumSGPRsForWavesPerEU: 16
; NumVGPRsForWavesPerEU: 36
; Occupancy: 16
; WaveLimiterHint : 1
; COMPUTE_PGM_RSRC2:SCRATCH_EN: 0
; COMPUTE_PGM_RSRC2:USER_SGPR: 6
; COMPUTE_PGM_RSRC2:TRAP_HANDLER: 0
; COMPUTE_PGM_RSRC2:TGID_X_EN: 1
; COMPUTE_PGM_RSRC2:TGID_Y_EN: 0
; COMPUTE_PGM_RSRC2:TGID_Z_EN: 0
; COMPUTE_PGM_RSRC2:TIDIG_COMP_CNT: 0
	.section	.text._ZN9rocsparseL19gebsrmvn_1xn_kernelILj128ELj5ELj16EdEEvi20rocsparse_direction_NS_24const_host_device_scalarIT2_EEPKiS6_PKS3_S8_S4_PS3_21rocsparse_index_base_b,"axG",@progbits,_ZN9rocsparseL19gebsrmvn_1xn_kernelILj128ELj5ELj16EdEEvi20rocsparse_direction_NS_24const_host_device_scalarIT2_EEPKiS6_PKS3_S8_S4_PS3_21rocsparse_index_base_b,comdat
	.globl	_ZN9rocsparseL19gebsrmvn_1xn_kernelILj128ELj5ELj16EdEEvi20rocsparse_direction_NS_24const_host_device_scalarIT2_EEPKiS6_PKS3_S8_S4_PS3_21rocsparse_index_base_b ; -- Begin function _ZN9rocsparseL19gebsrmvn_1xn_kernelILj128ELj5ELj16EdEEvi20rocsparse_direction_NS_24const_host_device_scalarIT2_EEPKiS6_PKS3_S8_S4_PS3_21rocsparse_index_base_b
	.p2align	8
	.type	_ZN9rocsparseL19gebsrmvn_1xn_kernelILj128ELj5ELj16EdEEvi20rocsparse_direction_NS_24const_host_device_scalarIT2_EEPKiS6_PKS3_S8_S4_PS3_21rocsparse_index_base_b,@function
_ZN9rocsparseL19gebsrmvn_1xn_kernelILj128ELj5ELj16EdEEvi20rocsparse_direction_NS_24const_host_device_scalarIT2_EEPKiS6_PKS3_S8_S4_PS3_21rocsparse_index_base_b: ; @_ZN9rocsparseL19gebsrmvn_1xn_kernelILj128ELj5ELj16EdEEvi20rocsparse_direction_NS_24const_host_device_scalarIT2_EEPKiS6_PKS3_S8_S4_PS3_21rocsparse_index_base_b
; %bb.0:
	s_clause 0x2
	s_load_dwordx2 s[12:13], s[4:5], 0x40
	s_load_dwordx2 s[2:3], s[4:5], 0x8
	;; [unrolled: 1-line block ×3, first 2 shown]
	s_waitcnt lgkmcnt(0)
	s_bitcmp1_b32 s13, 0
	v_mov_b32_e32 v4, s3
	v_mov_b32_e32 v3, s2
	s_cselect_b32 s7, -1, 0
	s_and_b32 vcc_lo, exec_lo, s7
	s_xor_b32 s7, s7, -1
	s_cbranch_vccnz .LBB93_2
; %bb.1:
	v_mov_b32_e32 v1, s2
	v_mov_b32_e32 v2, s3
	flat_load_dwordx2 v[3:4], v[1:2]
.LBB93_2:
	v_mov_b32_e32 v2, s1
	v_mov_b32_e32 v1, s0
	s_andn2_b32 vcc_lo, exec_lo, s7
	s_cbranch_vccnz .LBB93_4
; %bb.3:
	v_mov_b32_e32 v2, s1
	v_mov_b32_e32 v1, s0
	flat_load_dwordx2 v[1:2], v[1:2]
.LBB93_4:
	s_waitcnt vmcnt(0) lgkmcnt(0)
	v_cmp_neq_f64_e32 vcc_lo, 0, v[3:4]
	v_cmp_neq_f64_e64 s0, 1.0, v[1:2]
	s_or_b32 s0, vcc_lo, s0
	s_and_saveexec_b32 s1, s0
	s_cbranch_execz .LBB93_15
; %bb.5:
	s_load_dword s0, s[4:5], 0x0
	v_lshrrev_b32_e32 v5, 4, v0
	v_lshl_or_b32 v5, s6, 3, v5
	s_waitcnt lgkmcnt(0)
	v_cmp_gt_i32_e32 vcc_lo, s0, v5
	s_and_b32 exec_lo, exec_lo, vcc_lo
	s_cbranch_execz .LBB93_15
; %bb.6:
	s_clause 0x1
	s_load_dwordx2 s[0:1], s[4:5], 0x10
	s_load_dwordx2 s[2:3], s[4:5], 0x38
	v_ashrrev_i32_e32 v6, 31, v5
	v_and_b32_e32 v0, 15, v0
	v_lshlrev_b64 v[7:8], 2, v[5:6]
	v_subrev_nc_u32_e32 v9, s12, v0
	s_waitcnt lgkmcnt(0)
	v_add_co_u32 v7, vcc_lo, s0, v7
	v_add_co_ci_u32_e64 v8, null, s1, v8, vcc_lo
	s_mov_b32 s1, exec_lo
	global_load_dwordx2 v[7:8], v[7:8], off
	s_waitcnt vmcnt(0)
	v_subrev_nc_u32_e32 v14, s12, v8
	v_add_nc_u32_e32 v9, v7, v9
	v_mov_b32_e32 v7, 0
	v_mov_b32_e32 v8, 0
	v_cmpx_lt_i32_e64 v9, v14
	s_cbranch_execz .LBB93_10
; %bb.7:
	s_clause 0x1
	s_load_dwordx4 s[8:11], s[4:5], 0x18
	s_load_dwordx2 s[4:5], s[4:5], 0x28
	v_mad_u64_u32 v[11:12], null, v9, 5, 4
	v_mov_b32_e32 v7, 0
	v_mov_b32_e32 v8, 0
	;; [unrolled: 1-line block ×3, first 2 shown]
	s_mov_b32 s6, 0
.LBB93_8:                               ; =>This Inner Loop Header: Depth=1
	v_ashrrev_i32_e32 v10, 31, v9
	v_add_nc_u32_e32 v12, -4, v11
	v_lshlrev_b64 v[15:16], 2, v[9:10]
	v_lshlrev_b64 v[17:18], 3, v[12:13]
	v_add_nc_u32_e32 v12, -3, v11
	v_add_nc_u32_e32 v9, 16, v9
	s_waitcnt lgkmcnt(0)
	v_add_co_u32 v15, vcc_lo, s8, v15
	v_add_co_ci_u32_e64 v16, null, s9, v16, vcc_lo
	v_lshlrev_b64 v[19:20], 3, v[12:13]
	v_add_co_u32 v17, vcc_lo, s10, v17
	global_load_dword v10, v[15:16], off
	v_mov_b32_e32 v16, v13
	v_add_co_ci_u32_e64 v18, null, s11, v18, vcc_lo
	v_add_co_u32 v19, vcc_lo, s10, v19
	v_add_co_ci_u32_e64 v20, null, s11, v20, vcc_lo
	s_waitcnt vmcnt(0)
	v_subrev_nc_u32_e32 v10, s12, v10
	v_lshl_add_u32 v15, v10, 2, v10
	v_lshlrev_b64 v[21:22], 3, v[15:16]
	v_add_nc_u32_e32 v12, 1, v15
	v_add_co_u32 v21, s0, s4, v21
	v_add_co_ci_u32_e64 v22, null, s5, v22, s0
	s_clause 0x1
	global_load_dwordx2 v[16:17], v[17:18], off
	global_load_dwordx2 v[18:19], v[19:20], off
	;; [unrolled: 1-line block ×3, first 2 shown]
	v_lshlrev_b64 v[22:23], 3, v[12:13]
	v_add_nc_u32_e32 v12, -2, v11
	v_lshlrev_b64 v[24:25], 3, v[12:13]
	v_add_co_u32 v22, vcc_lo, s4, v22
	v_add_co_ci_u32_e64 v23, null, s5, v23, vcc_lo
	v_add_nc_u32_e32 v12, 2, v15
	v_add_co_u32 v24, vcc_lo, s10, v24
	global_load_dwordx2 v[22:23], v[22:23], off
	v_add_co_ci_u32_e64 v25, null, s11, v25, vcc_lo
	v_lshlrev_b64 v[26:27], 3, v[12:13]
	v_add_nc_u32_e32 v12, -1, v11
	v_add_co_u32 v26, vcc_lo, s4, v26
	v_add_co_ci_u32_e64 v27, null, s5, v27, vcc_lo
	global_load_dwordx2 v[24:25], v[24:25], off
	global_load_dwordx2 v[26:27], v[26:27], off
	v_lshlrev_b64 v[28:29], 3, v[12:13]
	v_add_nc_u32_e32 v12, 3, v15
	v_lshlrev_b64 v[30:31], 3, v[12:13]
	v_add_co_u32 v28, vcc_lo, s10, v28
	v_add_co_ci_u32_e64 v29, null, s11, v29, vcc_lo
	v_mov_b32_e32 v12, v13
	v_add_co_u32 v30, vcc_lo, s4, v30
	v_add_co_ci_u32_e64 v31, null, s5, v31, vcc_lo
	global_load_dwordx2 v[28:29], v[28:29], off
	global_load_dwordx2 v[30:31], v[30:31], off
	v_lshlrev_b64 v[32:33], 3, v[11:12]
	v_add_nc_u32_e32 v12, 4, v15
	v_add_nc_u32_e32 v11, 0x50, v11
	v_lshlrev_b64 v[34:35], 3, v[12:13]
	v_add_co_u32 v32, vcc_lo, s10, v32
	v_add_co_ci_u32_e64 v33, null, s11, v33, vcc_lo
	v_add_co_u32 v34, vcc_lo, s4, v34
	v_add_co_ci_u32_e64 v35, null, s5, v35, vcc_lo
	global_load_dwordx2 v[32:33], v[32:33], off
	global_load_dwordx2 v[34:35], v[34:35], off
	v_cmp_ge_i32_e32 vcc_lo, v9, v14
	s_or_b32 s6, vcc_lo, s6
	s_waitcnt vmcnt(7)
	v_fma_f64 v[7:8], v[16:17], v[20:21], v[7:8]
	s_waitcnt vmcnt(6)
	v_fma_f64 v[7:8], v[18:19], v[22:23], v[7:8]
	;; [unrolled: 2-line block ×5, first 2 shown]
	s_andn2_b32 exec_lo, exec_lo, s6
	s_cbranch_execnz .LBB93_8
; %bb.9:
	s_or_b32 exec_lo, exec_lo, s6
.LBB93_10:
	s_or_b32 exec_lo, exec_lo, s1
	v_mbcnt_lo_u32_b32 v11, -1, 0
	v_xor_b32_e32 v9, 8, v11
	v_cmp_gt_i32_e32 vcc_lo, 32, v9
	v_cndmask_b32_e32 v9, v11, v9, vcc_lo
	v_lshlrev_b32_e32 v10, 2, v9
	ds_bpermute_b32 v9, v10, v7
	ds_bpermute_b32 v10, v10, v8
	s_waitcnt lgkmcnt(0)
	v_add_f64 v[7:8], v[7:8], v[9:10]
	v_xor_b32_e32 v9, 4, v11
	v_cmp_gt_i32_e32 vcc_lo, 32, v9
	v_cndmask_b32_e32 v9, v11, v9, vcc_lo
	v_lshlrev_b32_e32 v10, 2, v9
	ds_bpermute_b32 v9, v10, v7
	ds_bpermute_b32 v10, v10, v8
	s_waitcnt lgkmcnt(0)
	v_add_f64 v[7:8], v[7:8], v[9:10]
	;; [unrolled: 8-line block ×3, first 2 shown]
	v_xor_b32_e32 v9, 1, v11
	v_cmp_gt_i32_e32 vcc_lo, 32, v9
	v_cndmask_b32_e32 v9, v11, v9, vcc_lo
	v_cmp_eq_u32_e32 vcc_lo, 15, v0
	v_lshlrev_b32_e32 v10, 2, v9
	ds_bpermute_b32 v9, v10, v7
	ds_bpermute_b32 v10, v10, v8
	s_and_b32 exec_lo, exec_lo, vcc_lo
	s_cbranch_execz .LBB93_15
; %bb.11:
	s_waitcnt lgkmcnt(0)
	v_add_f64 v[7:8], v[7:8], v[9:10]
	v_lshlrev_b64 v[5:6], 3, v[5:6]
	s_mov_b32 s0, exec_lo
	v_mul_f64 v[3:4], v[3:4], v[7:8]
	v_cmpx_eq_f64_e32 0, v[1:2]
	s_xor_b32 s0, exec_lo, s0
	s_cbranch_execz .LBB93_13
; %bb.12:
	v_add_co_u32 v0, vcc_lo, s2, v5
	v_add_co_ci_u32_e64 v1, null, s3, v6, vcc_lo
                                        ; implicit-def: $vgpr5_vgpr6
	global_store_dwordx2 v[0:1], v[3:4], off
                                        ; implicit-def: $vgpr1_vgpr2
                                        ; implicit-def: $vgpr3_vgpr4
.LBB93_13:
	s_andn2_saveexec_b32 s0, s0
	s_cbranch_execz .LBB93_15
; %bb.14:
	v_add_co_u32 v5, vcc_lo, s2, v5
	v_add_co_ci_u32_e64 v6, null, s3, v6, vcc_lo
	global_load_dwordx2 v[7:8], v[5:6], off
	s_waitcnt vmcnt(0)
	v_fma_f64 v[0:1], v[1:2], v[7:8], v[3:4]
	global_store_dwordx2 v[5:6], v[0:1], off
.LBB93_15:
	s_endpgm
	.section	.rodata,"a",@progbits
	.p2align	6, 0x0
	.amdhsa_kernel _ZN9rocsparseL19gebsrmvn_1xn_kernelILj128ELj5ELj16EdEEvi20rocsparse_direction_NS_24const_host_device_scalarIT2_EEPKiS6_PKS3_S8_S4_PS3_21rocsparse_index_base_b
		.amdhsa_group_segment_fixed_size 0
		.amdhsa_private_segment_fixed_size 0
		.amdhsa_kernarg_size 72
		.amdhsa_user_sgpr_count 6
		.amdhsa_user_sgpr_private_segment_buffer 1
		.amdhsa_user_sgpr_dispatch_ptr 0
		.amdhsa_user_sgpr_queue_ptr 0
		.amdhsa_user_sgpr_kernarg_segment_ptr 1
		.amdhsa_user_sgpr_dispatch_id 0
		.amdhsa_user_sgpr_flat_scratch_init 0
		.amdhsa_user_sgpr_private_segment_size 0
		.amdhsa_wavefront_size32 1
		.amdhsa_uses_dynamic_stack 0
		.amdhsa_system_sgpr_private_segment_wavefront_offset 0
		.amdhsa_system_sgpr_workgroup_id_x 1
		.amdhsa_system_sgpr_workgroup_id_y 0
		.amdhsa_system_sgpr_workgroup_id_z 0
		.amdhsa_system_sgpr_workgroup_info 0
		.amdhsa_system_vgpr_workitem_id 0
		.amdhsa_next_free_vgpr 36
		.amdhsa_next_free_sgpr 14
		.amdhsa_reserve_vcc 1
		.amdhsa_reserve_flat_scratch 0
		.amdhsa_float_round_mode_32 0
		.amdhsa_float_round_mode_16_64 0
		.amdhsa_float_denorm_mode_32 3
		.amdhsa_float_denorm_mode_16_64 3
		.amdhsa_dx10_clamp 1
		.amdhsa_ieee_mode 1
		.amdhsa_fp16_overflow 0
		.amdhsa_workgroup_processor_mode 1
		.amdhsa_memory_ordered 1
		.amdhsa_forward_progress 1
		.amdhsa_shared_vgpr_count 0
		.amdhsa_exception_fp_ieee_invalid_op 0
		.amdhsa_exception_fp_denorm_src 0
		.amdhsa_exception_fp_ieee_div_zero 0
		.amdhsa_exception_fp_ieee_overflow 0
		.amdhsa_exception_fp_ieee_underflow 0
		.amdhsa_exception_fp_ieee_inexact 0
		.amdhsa_exception_int_div_zero 0
	.end_amdhsa_kernel
	.section	.text._ZN9rocsparseL19gebsrmvn_1xn_kernelILj128ELj5ELj16EdEEvi20rocsparse_direction_NS_24const_host_device_scalarIT2_EEPKiS6_PKS3_S8_S4_PS3_21rocsparse_index_base_b,"axG",@progbits,_ZN9rocsparseL19gebsrmvn_1xn_kernelILj128ELj5ELj16EdEEvi20rocsparse_direction_NS_24const_host_device_scalarIT2_EEPKiS6_PKS3_S8_S4_PS3_21rocsparse_index_base_b,comdat
.Lfunc_end93:
	.size	_ZN9rocsparseL19gebsrmvn_1xn_kernelILj128ELj5ELj16EdEEvi20rocsparse_direction_NS_24const_host_device_scalarIT2_EEPKiS6_PKS3_S8_S4_PS3_21rocsparse_index_base_b, .Lfunc_end93-_ZN9rocsparseL19gebsrmvn_1xn_kernelILj128ELj5ELj16EdEEvi20rocsparse_direction_NS_24const_host_device_scalarIT2_EEPKiS6_PKS3_S8_S4_PS3_21rocsparse_index_base_b
                                        ; -- End function
	.set _ZN9rocsparseL19gebsrmvn_1xn_kernelILj128ELj5ELj16EdEEvi20rocsparse_direction_NS_24const_host_device_scalarIT2_EEPKiS6_PKS3_S8_S4_PS3_21rocsparse_index_base_b.num_vgpr, 36
	.set _ZN9rocsparseL19gebsrmvn_1xn_kernelILj128ELj5ELj16EdEEvi20rocsparse_direction_NS_24const_host_device_scalarIT2_EEPKiS6_PKS3_S8_S4_PS3_21rocsparse_index_base_b.num_agpr, 0
	.set _ZN9rocsparseL19gebsrmvn_1xn_kernelILj128ELj5ELj16EdEEvi20rocsparse_direction_NS_24const_host_device_scalarIT2_EEPKiS6_PKS3_S8_S4_PS3_21rocsparse_index_base_b.numbered_sgpr, 14
	.set _ZN9rocsparseL19gebsrmvn_1xn_kernelILj128ELj5ELj16EdEEvi20rocsparse_direction_NS_24const_host_device_scalarIT2_EEPKiS6_PKS3_S8_S4_PS3_21rocsparse_index_base_b.num_named_barrier, 0
	.set _ZN9rocsparseL19gebsrmvn_1xn_kernelILj128ELj5ELj16EdEEvi20rocsparse_direction_NS_24const_host_device_scalarIT2_EEPKiS6_PKS3_S8_S4_PS3_21rocsparse_index_base_b.private_seg_size, 0
	.set _ZN9rocsparseL19gebsrmvn_1xn_kernelILj128ELj5ELj16EdEEvi20rocsparse_direction_NS_24const_host_device_scalarIT2_EEPKiS6_PKS3_S8_S4_PS3_21rocsparse_index_base_b.uses_vcc, 1
	.set _ZN9rocsparseL19gebsrmvn_1xn_kernelILj128ELj5ELj16EdEEvi20rocsparse_direction_NS_24const_host_device_scalarIT2_EEPKiS6_PKS3_S8_S4_PS3_21rocsparse_index_base_b.uses_flat_scratch, 0
	.set _ZN9rocsparseL19gebsrmvn_1xn_kernelILj128ELj5ELj16EdEEvi20rocsparse_direction_NS_24const_host_device_scalarIT2_EEPKiS6_PKS3_S8_S4_PS3_21rocsparse_index_base_b.has_dyn_sized_stack, 0
	.set _ZN9rocsparseL19gebsrmvn_1xn_kernelILj128ELj5ELj16EdEEvi20rocsparse_direction_NS_24const_host_device_scalarIT2_EEPKiS6_PKS3_S8_S4_PS3_21rocsparse_index_base_b.has_recursion, 0
	.set _ZN9rocsparseL19gebsrmvn_1xn_kernelILj128ELj5ELj16EdEEvi20rocsparse_direction_NS_24const_host_device_scalarIT2_EEPKiS6_PKS3_S8_S4_PS3_21rocsparse_index_base_b.has_indirect_call, 0
	.section	.AMDGPU.csdata,"",@progbits
; Kernel info:
; codeLenInByte = 1144
; TotalNumSgprs: 16
; NumVgprs: 36
; ScratchSize: 0
; MemoryBound: 0
; FloatMode: 240
; IeeeMode: 1
; LDSByteSize: 0 bytes/workgroup (compile time only)
; SGPRBlocks: 0
; VGPRBlocks: 4
; NumSGPRsForWavesPerEU: 16
; NumVGPRsForWavesPerEU: 36
; Occupancy: 16
; WaveLimiterHint : 1
; COMPUTE_PGM_RSRC2:SCRATCH_EN: 0
; COMPUTE_PGM_RSRC2:USER_SGPR: 6
; COMPUTE_PGM_RSRC2:TRAP_HANDLER: 0
; COMPUTE_PGM_RSRC2:TGID_X_EN: 1
; COMPUTE_PGM_RSRC2:TGID_Y_EN: 0
; COMPUTE_PGM_RSRC2:TGID_Z_EN: 0
; COMPUTE_PGM_RSRC2:TIDIG_COMP_CNT: 0
	.section	.text._ZN9rocsparseL19gebsrmvn_1xn_kernelILj128ELj5ELj32EdEEvi20rocsparse_direction_NS_24const_host_device_scalarIT2_EEPKiS6_PKS3_S8_S4_PS3_21rocsparse_index_base_b,"axG",@progbits,_ZN9rocsparseL19gebsrmvn_1xn_kernelILj128ELj5ELj32EdEEvi20rocsparse_direction_NS_24const_host_device_scalarIT2_EEPKiS6_PKS3_S8_S4_PS3_21rocsparse_index_base_b,comdat
	.globl	_ZN9rocsparseL19gebsrmvn_1xn_kernelILj128ELj5ELj32EdEEvi20rocsparse_direction_NS_24const_host_device_scalarIT2_EEPKiS6_PKS3_S8_S4_PS3_21rocsparse_index_base_b ; -- Begin function _ZN9rocsparseL19gebsrmvn_1xn_kernelILj128ELj5ELj32EdEEvi20rocsparse_direction_NS_24const_host_device_scalarIT2_EEPKiS6_PKS3_S8_S4_PS3_21rocsparse_index_base_b
	.p2align	8
	.type	_ZN9rocsparseL19gebsrmvn_1xn_kernelILj128ELj5ELj32EdEEvi20rocsparse_direction_NS_24const_host_device_scalarIT2_EEPKiS6_PKS3_S8_S4_PS3_21rocsparse_index_base_b,@function
_ZN9rocsparseL19gebsrmvn_1xn_kernelILj128ELj5ELj32EdEEvi20rocsparse_direction_NS_24const_host_device_scalarIT2_EEPKiS6_PKS3_S8_S4_PS3_21rocsparse_index_base_b: ; @_ZN9rocsparseL19gebsrmvn_1xn_kernelILj128ELj5ELj32EdEEvi20rocsparse_direction_NS_24const_host_device_scalarIT2_EEPKiS6_PKS3_S8_S4_PS3_21rocsparse_index_base_b
; %bb.0:
	s_clause 0x2
	s_load_dwordx2 s[12:13], s[4:5], 0x40
	s_load_dwordx2 s[2:3], s[4:5], 0x8
	;; [unrolled: 1-line block ×3, first 2 shown]
	s_waitcnt lgkmcnt(0)
	s_bitcmp1_b32 s13, 0
	v_mov_b32_e32 v4, s3
	v_mov_b32_e32 v3, s2
	s_cselect_b32 s7, -1, 0
	s_and_b32 vcc_lo, exec_lo, s7
	s_xor_b32 s7, s7, -1
	s_cbranch_vccnz .LBB94_2
; %bb.1:
	v_mov_b32_e32 v1, s2
	v_mov_b32_e32 v2, s3
	flat_load_dwordx2 v[3:4], v[1:2]
.LBB94_2:
	v_mov_b32_e32 v2, s1
	v_mov_b32_e32 v1, s0
	s_andn2_b32 vcc_lo, exec_lo, s7
	s_cbranch_vccnz .LBB94_4
; %bb.3:
	v_mov_b32_e32 v2, s1
	v_mov_b32_e32 v1, s0
	flat_load_dwordx2 v[1:2], v[1:2]
.LBB94_4:
	s_waitcnt vmcnt(0) lgkmcnt(0)
	v_cmp_neq_f64_e32 vcc_lo, 0, v[3:4]
	v_cmp_neq_f64_e64 s0, 1.0, v[1:2]
	s_or_b32 s0, vcc_lo, s0
	s_and_saveexec_b32 s1, s0
	s_cbranch_execz .LBB94_15
; %bb.5:
	s_load_dword s0, s[4:5], 0x0
	v_lshrrev_b32_e32 v5, 5, v0
	v_lshl_or_b32 v5, s6, 2, v5
	s_waitcnt lgkmcnt(0)
	v_cmp_gt_i32_e32 vcc_lo, s0, v5
	s_and_b32 exec_lo, exec_lo, vcc_lo
	s_cbranch_execz .LBB94_15
; %bb.6:
	s_clause 0x1
	s_load_dwordx2 s[0:1], s[4:5], 0x10
	s_load_dwordx2 s[2:3], s[4:5], 0x38
	v_ashrrev_i32_e32 v6, 31, v5
	v_and_b32_e32 v0, 31, v0
	v_lshlrev_b64 v[7:8], 2, v[5:6]
	v_subrev_nc_u32_e32 v9, s12, v0
	s_waitcnt lgkmcnt(0)
	v_add_co_u32 v7, vcc_lo, s0, v7
	v_add_co_ci_u32_e64 v8, null, s1, v8, vcc_lo
	s_mov_b32 s1, exec_lo
	global_load_dwordx2 v[7:8], v[7:8], off
	s_waitcnt vmcnt(0)
	v_subrev_nc_u32_e32 v14, s12, v8
	v_add_nc_u32_e32 v9, v7, v9
	v_mov_b32_e32 v7, 0
	v_mov_b32_e32 v8, 0
	v_cmpx_lt_i32_e64 v9, v14
	s_cbranch_execz .LBB94_10
; %bb.7:
	s_clause 0x1
	s_load_dwordx4 s[8:11], s[4:5], 0x18
	s_load_dwordx2 s[4:5], s[4:5], 0x28
	v_mad_u64_u32 v[11:12], null, v9, 5, 4
	v_mov_b32_e32 v7, 0
	v_mov_b32_e32 v8, 0
	;; [unrolled: 1-line block ×3, first 2 shown]
	s_mov_b32 s6, 0
.LBB94_8:                               ; =>This Inner Loop Header: Depth=1
	v_ashrrev_i32_e32 v10, 31, v9
	v_add_nc_u32_e32 v12, -4, v11
	v_lshlrev_b64 v[15:16], 2, v[9:10]
	v_lshlrev_b64 v[17:18], 3, v[12:13]
	v_add_nc_u32_e32 v12, -3, v11
	v_add_nc_u32_e32 v9, 32, v9
	s_waitcnt lgkmcnt(0)
	v_add_co_u32 v15, vcc_lo, s8, v15
	v_add_co_ci_u32_e64 v16, null, s9, v16, vcc_lo
	v_lshlrev_b64 v[19:20], 3, v[12:13]
	v_add_co_u32 v17, vcc_lo, s10, v17
	global_load_dword v10, v[15:16], off
	v_mov_b32_e32 v16, v13
	v_add_co_ci_u32_e64 v18, null, s11, v18, vcc_lo
	v_add_co_u32 v19, vcc_lo, s10, v19
	v_add_co_ci_u32_e64 v20, null, s11, v20, vcc_lo
	s_waitcnt vmcnt(0)
	v_subrev_nc_u32_e32 v10, s12, v10
	v_lshl_add_u32 v15, v10, 2, v10
	v_lshlrev_b64 v[21:22], 3, v[15:16]
	v_add_nc_u32_e32 v12, 1, v15
	v_add_co_u32 v21, s0, s4, v21
	v_add_co_ci_u32_e64 v22, null, s5, v22, s0
	s_clause 0x1
	global_load_dwordx2 v[16:17], v[17:18], off
	global_load_dwordx2 v[18:19], v[19:20], off
	;; [unrolled: 1-line block ×3, first 2 shown]
	v_lshlrev_b64 v[22:23], 3, v[12:13]
	v_add_nc_u32_e32 v12, -2, v11
	v_lshlrev_b64 v[24:25], 3, v[12:13]
	v_add_co_u32 v22, vcc_lo, s4, v22
	v_add_co_ci_u32_e64 v23, null, s5, v23, vcc_lo
	v_add_nc_u32_e32 v12, 2, v15
	v_add_co_u32 v24, vcc_lo, s10, v24
	global_load_dwordx2 v[22:23], v[22:23], off
	v_add_co_ci_u32_e64 v25, null, s11, v25, vcc_lo
	v_lshlrev_b64 v[26:27], 3, v[12:13]
	v_add_nc_u32_e32 v12, -1, v11
	v_add_co_u32 v26, vcc_lo, s4, v26
	v_add_co_ci_u32_e64 v27, null, s5, v27, vcc_lo
	global_load_dwordx2 v[24:25], v[24:25], off
	global_load_dwordx2 v[26:27], v[26:27], off
	v_lshlrev_b64 v[28:29], 3, v[12:13]
	v_add_nc_u32_e32 v12, 3, v15
	v_lshlrev_b64 v[30:31], 3, v[12:13]
	v_add_co_u32 v28, vcc_lo, s10, v28
	v_add_co_ci_u32_e64 v29, null, s11, v29, vcc_lo
	v_mov_b32_e32 v12, v13
	v_add_co_u32 v30, vcc_lo, s4, v30
	v_add_co_ci_u32_e64 v31, null, s5, v31, vcc_lo
	global_load_dwordx2 v[28:29], v[28:29], off
	global_load_dwordx2 v[30:31], v[30:31], off
	v_lshlrev_b64 v[32:33], 3, v[11:12]
	v_add_nc_u32_e32 v12, 4, v15
	v_add_nc_u32_e32 v11, 0xa0, v11
	v_lshlrev_b64 v[34:35], 3, v[12:13]
	v_add_co_u32 v32, vcc_lo, s10, v32
	v_add_co_ci_u32_e64 v33, null, s11, v33, vcc_lo
	v_add_co_u32 v34, vcc_lo, s4, v34
	v_add_co_ci_u32_e64 v35, null, s5, v35, vcc_lo
	global_load_dwordx2 v[32:33], v[32:33], off
	global_load_dwordx2 v[34:35], v[34:35], off
	v_cmp_ge_i32_e32 vcc_lo, v9, v14
	s_or_b32 s6, vcc_lo, s6
	s_waitcnt vmcnt(7)
	v_fma_f64 v[7:8], v[16:17], v[20:21], v[7:8]
	s_waitcnt vmcnt(6)
	v_fma_f64 v[7:8], v[18:19], v[22:23], v[7:8]
	s_waitcnt vmcnt(4)
	v_fma_f64 v[7:8], v[24:25], v[26:27], v[7:8]
	s_waitcnt vmcnt(2)
	v_fma_f64 v[7:8], v[28:29], v[30:31], v[7:8]
	s_waitcnt vmcnt(0)
	v_fma_f64 v[7:8], v[32:33], v[34:35], v[7:8]
	s_andn2_b32 exec_lo, exec_lo, s6
	s_cbranch_execnz .LBB94_8
; %bb.9:
	s_or_b32 exec_lo, exec_lo, s6
.LBB94_10:
	s_or_b32 exec_lo, exec_lo, s1
	v_mbcnt_lo_u32_b32 v11, -1, 0
	v_xor_b32_e32 v9, 16, v11
	v_cmp_gt_i32_e32 vcc_lo, 32, v9
	v_cndmask_b32_e32 v9, v11, v9, vcc_lo
	v_lshlrev_b32_e32 v10, 2, v9
	ds_bpermute_b32 v9, v10, v7
	ds_bpermute_b32 v10, v10, v8
	s_waitcnt lgkmcnt(0)
	v_add_f64 v[7:8], v[7:8], v[9:10]
	v_xor_b32_e32 v9, 8, v11
	v_cmp_gt_i32_e32 vcc_lo, 32, v9
	v_cndmask_b32_e32 v9, v11, v9, vcc_lo
	v_lshlrev_b32_e32 v10, 2, v9
	ds_bpermute_b32 v9, v10, v7
	ds_bpermute_b32 v10, v10, v8
	s_waitcnt lgkmcnt(0)
	v_add_f64 v[7:8], v[7:8], v[9:10]
	;; [unrolled: 8-line block ×4, first 2 shown]
	v_xor_b32_e32 v9, 1, v11
	v_cmp_gt_i32_e32 vcc_lo, 32, v9
	v_cndmask_b32_e32 v9, v11, v9, vcc_lo
	v_cmp_eq_u32_e32 vcc_lo, 31, v0
	v_lshlrev_b32_e32 v10, 2, v9
	ds_bpermute_b32 v9, v10, v7
	ds_bpermute_b32 v10, v10, v8
	s_and_b32 exec_lo, exec_lo, vcc_lo
	s_cbranch_execz .LBB94_15
; %bb.11:
	s_waitcnt lgkmcnt(0)
	v_add_f64 v[7:8], v[7:8], v[9:10]
	v_lshlrev_b64 v[5:6], 3, v[5:6]
	s_mov_b32 s0, exec_lo
	v_mul_f64 v[3:4], v[3:4], v[7:8]
	v_cmpx_eq_f64_e32 0, v[1:2]
	s_xor_b32 s0, exec_lo, s0
	s_cbranch_execz .LBB94_13
; %bb.12:
	v_add_co_u32 v0, vcc_lo, s2, v5
	v_add_co_ci_u32_e64 v1, null, s3, v6, vcc_lo
                                        ; implicit-def: $vgpr5_vgpr6
	global_store_dwordx2 v[0:1], v[3:4], off
                                        ; implicit-def: $vgpr1_vgpr2
                                        ; implicit-def: $vgpr3_vgpr4
.LBB94_13:
	s_andn2_saveexec_b32 s0, s0
	s_cbranch_execz .LBB94_15
; %bb.14:
	v_add_co_u32 v5, vcc_lo, s2, v5
	v_add_co_ci_u32_e64 v6, null, s3, v6, vcc_lo
	global_load_dwordx2 v[7:8], v[5:6], off
	s_waitcnt vmcnt(0)
	v_fma_f64 v[0:1], v[1:2], v[7:8], v[3:4]
	global_store_dwordx2 v[5:6], v[0:1], off
.LBB94_15:
	s_endpgm
	.section	.rodata,"a",@progbits
	.p2align	6, 0x0
	.amdhsa_kernel _ZN9rocsparseL19gebsrmvn_1xn_kernelILj128ELj5ELj32EdEEvi20rocsparse_direction_NS_24const_host_device_scalarIT2_EEPKiS6_PKS3_S8_S4_PS3_21rocsparse_index_base_b
		.amdhsa_group_segment_fixed_size 0
		.amdhsa_private_segment_fixed_size 0
		.amdhsa_kernarg_size 72
		.amdhsa_user_sgpr_count 6
		.amdhsa_user_sgpr_private_segment_buffer 1
		.amdhsa_user_sgpr_dispatch_ptr 0
		.amdhsa_user_sgpr_queue_ptr 0
		.amdhsa_user_sgpr_kernarg_segment_ptr 1
		.amdhsa_user_sgpr_dispatch_id 0
		.amdhsa_user_sgpr_flat_scratch_init 0
		.amdhsa_user_sgpr_private_segment_size 0
		.amdhsa_wavefront_size32 1
		.amdhsa_uses_dynamic_stack 0
		.amdhsa_system_sgpr_private_segment_wavefront_offset 0
		.amdhsa_system_sgpr_workgroup_id_x 1
		.amdhsa_system_sgpr_workgroup_id_y 0
		.amdhsa_system_sgpr_workgroup_id_z 0
		.amdhsa_system_sgpr_workgroup_info 0
		.amdhsa_system_vgpr_workitem_id 0
		.amdhsa_next_free_vgpr 36
		.amdhsa_next_free_sgpr 14
		.amdhsa_reserve_vcc 1
		.amdhsa_reserve_flat_scratch 0
		.amdhsa_float_round_mode_32 0
		.amdhsa_float_round_mode_16_64 0
		.amdhsa_float_denorm_mode_32 3
		.amdhsa_float_denorm_mode_16_64 3
		.amdhsa_dx10_clamp 1
		.amdhsa_ieee_mode 1
		.amdhsa_fp16_overflow 0
		.amdhsa_workgroup_processor_mode 1
		.amdhsa_memory_ordered 1
		.amdhsa_forward_progress 1
		.amdhsa_shared_vgpr_count 0
		.amdhsa_exception_fp_ieee_invalid_op 0
		.amdhsa_exception_fp_denorm_src 0
		.amdhsa_exception_fp_ieee_div_zero 0
		.amdhsa_exception_fp_ieee_overflow 0
		.amdhsa_exception_fp_ieee_underflow 0
		.amdhsa_exception_fp_ieee_inexact 0
		.amdhsa_exception_int_div_zero 0
	.end_amdhsa_kernel
	.section	.text._ZN9rocsparseL19gebsrmvn_1xn_kernelILj128ELj5ELj32EdEEvi20rocsparse_direction_NS_24const_host_device_scalarIT2_EEPKiS6_PKS3_S8_S4_PS3_21rocsparse_index_base_b,"axG",@progbits,_ZN9rocsparseL19gebsrmvn_1xn_kernelILj128ELj5ELj32EdEEvi20rocsparse_direction_NS_24const_host_device_scalarIT2_EEPKiS6_PKS3_S8_S4_PS3_21rocsparse_index_base_b,comdat
.Lfunc_end94:
	.size	_ZN9rocsparseL19gebsrmvn_1xn_kernelILj128ELj5ELj32EdEEvi20rocsparse_direction_NS_24const_host_device_scalarIT2_EEPKiS6_PKS3_S8_S4_PS3_21rocsparse_index_base_b, .Lfunc_end94-_ZN9rocsparseL19gebsrmvn_1xn_kernelILj128ELj5ELj32EdEEvi20rocsparse_direction_NS_24const_host_device_scalarIT2_EEPKiS6_PKS3_S8_S4_PS3_21rocsparse_index_base_b
                                        ; -- End function
	.set _ZN9rocsparseL19gebsrmvn_1xn_kernelILj128ELj5ELj32EdEEvi20rocsparse_direction_NS_24const_host_device_scalarIT2_EEPKiS6_PKS3_S8_S4_PS3_21rocsparse_index_base_b.num_vgpr, 36
	.set _ZN9rocsparseL19gebsrmvn_1xn_kernelILj128ELj5ELj32EdEEvi20rocsparse_direction_NS_24const_host_device_scalarIT2_EEPKiS6_PKS3_S8_S4_PS3_21rocsparse_index_base_b.num_agpr, 0
	.set _ZN9rocsparseL19gebsrmvn_1xn_kernelILj128ELj5ELj32EdEEvi20rocsparse_direction_NS_24const_host_device_scalarIT2_EEPKiS6_PKS3_S8_S4_PS3_21rocsparse_index_base_b.numbered_sgpr, 14
	.set _ZN9rocsparseL19gebsrmvn_1xn_kernelILj128ELj5ELj32EdEEvi20rocsparse_direction_NS_24const_host_device_scalarIT2_EEPKiS6_PKS3_S8_S4_PS3_21rocsparse_index_base_b.num_named_barrier, 0
	.set _ZN9rocsparseL19gebsrmvn_1xn_kernelILj128ELj5ELj32EdEEvi20rocsparse_direction_NS_24const_host_device_scalarIT2_EEPKiS6_PKS3_S8_S4_PS3_21rocsparse_index_base_b.private_seg_size, 0
	.set _ZN9rocsparseL19gebsrmvn_1xn_kernelILj128ELj5ELj32EdEEvi20rocsparse_direction_NS_24const_host_device_scalarIT2_EEPKiS6_PKS3_S8_S4_PS3_21rocsparse_index_base_b.uses_vcc, 1
	.set _ZN9rocsparseL19gebsrmvn_1xn_kernelILj128ELj5ELj32EdEEvi20rocsparse_direction_NS_24const_host_device_scalarIT2_EEPKiS6_PKS3_S8_S4_PS3_21rocsparse_index_base_b.uses_flat_scratch, 0
	.set _ZN9rocsparseL19gebsrmvn_1xn_kernelILj128ELj5ELj32EdEEvi20rocsparse_direction_NS_24const_host_device_scalarIT2_EEPKiS6_PKS3_S8_S4_PS3_21rocsparse_index_base_b.has_dyn_sized_stack, 0
	.set _ZN9rocsparseL19gebsrmvn_1xn_kernelILj128ELj5ELj32EdEEvi20rocsparse_direction_NS_24const_host_device_scalarIT2_EEPKiS6_PKS3_S8_S4_PS3_21rocsparse_index_base_b.has_recursion, 0
	.set _ZN9rocsparseL19gebsrmvn_1xn_kernelILj128ELj5ELj32EdEEvi20rocsparse_direction_NS_24const_host_device_scalarIT2_EEPKiS6_PKS3_S8_S4_PS3_21rocsparse_index_base_b.has_indirect_call, 0
	.section	.AMDGPU.csdata,"",@progbits
; Kernel info:
; codeLenInByte = 1188
; TotalNumSgprs: 16
; NumVgprs: 36
; ScratchSize: 0
; MemoryBound: 0
; FloatMode: 240
; IeeeMode: 1
; LDSByteSize: 0 bytes/workgroup (compile time only)
; SGPRBlocks: 0
; VGPRBlocks: 4
; NumSGPRsForWavesPerEU: 16
; NumVGPRsForWavesPerEU: 36
; Occupancy: 16
; WaveLimiterHint : 1
; COMPUTE_PGM_RSRC2:SCRATCH_EN: 0
; COMPUTE_PGM_RSRC2:USER_SGPR: 6
; COMPUTE_PGM_RSRC2:TRAP_HANDLER: 0
; COMPUTE_PGM_RSRC2:TGID_X_EN: 1
; COMPUTE_PGM_RSRC2:TGID_Y_EN: 0
; COMPUTE_PGM_RSRC2:TGID_Z_EN: 0
; COMPUTE_PGM_RSRC2:TIDIG_COMP_CNT: 0
	.section	.text._ZN9rocsparseL19gebsrmvn_1xn_kernelILj128ELj5ELj64EdEEvi20rocsparse_direction_NS_24const_host_device_scalarIT2_EEPKiS6_PKS3_S8_S4_PS3_21rocsparse_index_base_b,"axG",@progbits,_ZN9rocsparseL19gebsrmvn_1xn_kernelILj128ELj5ELj64EdEEvi20rocsparse_direction_NS_24const_host_device_scalarIT2_EEPKiS6_PKS3_S8_S4_PS3_21rocsparse_index_base_b,comdat
	.globl	_ZN9rocsparseL19gebsrmvn_1xn_kernelILj128ELj5ELj64EdEEvi20rocsparse_direction_NS_24const_host_device_scalarIT2_EEPKiS6_PKS3_S8_S4_PS3_21rocsparse_index_base_b ; -- Begin function _ZN9rocsparseL19gebsrmvn_1xn_kernelILj128ELj5ELj64EdEEvi20rocsparse_direction_NS_24const_host_device_scalarIT2_EEPKiS6_PKS3_S8_S4_PS3_21rocsparse_index_base_b
	.p2align	8
	.type	_ZN9rocsparseL19gebsrmvn_1xn_kernelILj128ELj5ELj64EdEEvi20rocsparse_direction_NS_24const_host_device_scalarIT2_EEPKiS6_PKS3_S8_S4_PS3_21rocsparse_index_base_b,@function
_ZN9rocsparseL19gebsrmvn_1xn_kernelILj128ELj5ELj64EdEEvi20rocsparse_direction_NS_24const_host_device_scalarIT2_EEPKiS6_PKS3_S8_S4_PS3_21rocsparse_index_base_b: ; @_ZN9rocsparseL19gebsrmvn_1xn_kernelILj128ELj5ELj64EdEEvi20rocsparse_direction_NS_24const_host_device_scalarIT2_EEPKiS6_PKS3_S8_S4_PS3_21rocsparse_index_base_b
; %bb.0:
	s_clause 0x2
	s_load_dwordx2 s[12:13], s[4:5], 0x40
	s_load_dwordx2 s[2:3], s[4:5], 0x8
	;; [unrolled: 1-line block ×3, first 2 shown]
	s_waitcnt lgkmcnt(0)
	s_bitcmp1_b32 s13, 0
	v_mov_b32_e32 v4, s3
	v_mov_b32_e32 v3, s2
	s_cselect_b32 s7, -1, 0
	s_and_b32 vcc_lo, exec_lo, s7
	s_xor_b32 s7, s7, -1
	s_cbranch_vccnz .LBB95_2
; %bb.1:
	v_mov_b32_e32 v1, s2
	v_mov_b32_e32 v2, s3
	flat_load_dwordx2 v[3:4], v[1:2]
.LBB95_2:
	v_mov_b32_e32 v2, s1
	v_mov_b32_e32 v1, s0
	s_andn2_b32 vcc_lo, exec_lo, s7
	s_cbranch_vccnz .LBB95_4
; %bb.3:
	v_mov_b32_e32 v2, s1
	v_mov_b32_e32 v1, s0
	flat_load_dwordx2 v[1:2], v[1:2]
.LBB95_4:
	s_waitcnt vmcnt(0) lgkmcnt(0)
	v_cmp_neq_f64_e32 vcc_lo, 0, v[3:4]
	v_cmp_neq_f64_e64 s0, 1.0, v[1:2]
	s_or_b32 s0, vcc_lo, s0
	s_and_saveexec_b32 s1, s0
	s_cbranch_execz .LBB95_15
; %bb.5:
	s_load_dword s0, s[4:5], 0x0
	v_lshrrev_b32_e32 v5, 6, v0
	v_lshl_or_b32 v5, s6, 1, v5
	s_waitcnt lgkmcnt(0)
	v_cmp_gt_i32_e32 vcc_lo, s0, v5
	s_and_b32 exec_lo, exec_lo, vcc_lo
	s_cbranch_execz .LBB95_15
; %bb.6:
	s_clause 0x1
	s_load_dwordx2 s[0:1], s[4:5], 0x10
	s_load_dwordx2 s[2:3], s[4:5], 0x38
	v_ashrrev_i32_e32 v6, 31, v5
	v_and_b32_e32 v0, 63, v0
	v_lshlrev_b64 v[7:8], 2, v[5:6]
	v_subrev_nc_u32_e32 v9, s12, v0
	s_waitcnt lgkmcnt(0)
	v_add_co_u32 v7, vcc_lo, s0, v7
	v_add_co_ci_u32_e64 v8, null, s1, v8, vcc_lo
	s_mov_b32 s1, exec_lo
	global_load_dwordx2 v[7:8], v[7:8], off
	s_waitcnt vmcnt(0)
	v_subrev_nc_u32_e32 v14, s12, v8
	v_add_nc_u32_e32 v9, v7, v9
	v_mov_b32_e32 v7, 0
	v_mov_b32_e32 v8, 0
	v_cmpx_lt_i32_e64 v9, v14
	s_cbranch_execz .LBB95_10
; %bb.7:
	s_clause 0x1
	s_load_dwordx4 s[8:11], s[4:5], 0x18
	s_load_dwordx2 s[4:5], s[4:5], 0x28
	v_mad_u64_u32 v[11:12], null, v9, 5, 4
	v_mov_b32_e32 v7, 0
	v_mov_b32_e32 v8, 0
	;; [unrolled: 1-line block ×3, first 2 shown]
	s_mov_b32 s6, 0
.LBB95_8:                               ; =>This Inner Loop Header: Depth=1
	v_ashrrev_i32_e32 v10, 31, v9
	v_add_nc_u32_e32 v12, -4, v11
	v_lshlrev_b64 v[15:16], 2, v[9:10]
	v_lshlrev_b64 v[17:18], 3, v[12:13]
	v_add_nc_u32_e32 v12, -3, v11
	v_add_nc_u32_e32 v9, 64, v9
	s_waitcnt lgkmcnt(0)
	v_add_co_u32 v15, vcc_lo, s8, v15
	v_add_co_ci_u32_e64 v16, null, s9, v16, vcc_lo
	v_lshlrev_b64 v[19:20], 3, v[12:13]
	v_add_co_u32 v17, vcc_lo, s10, v17
	global_load_dword v10, v[15:16], off
	v_mov_b32_e32 v16, v13
	v_add_co_ci_u32_e64 v18, null, s11, v18, vcc_lo
	v_add_co_u32 v19, vcc_lo, s10, v19
	v_add_co_ci_u32_e64 v20, null, s11, v20, vcc_lo
	s_waitcnt vmcnt(0)
	v_subrev_nc_u32_e32 v10, s12, v10
	v_lshl_add_u32 v15, v10, 2, v10
	v_lshlrev_b64 v[21:22], 3, v[15:16]
	v_add_nc_u32_e32 v12, 1, v15
	v_add_co_u32 v21, s0, s4, v21
	v_add_co_ci_u32_e64 v22, null, s5, v22, s0
	s_clause 0x1
	global_load_dwordx2 v[16:17], v[17:18], off
	global_load_dwordx2 v[18:19], v[19:20], off
	;; [unrolled: 1-line block ×3, first 2 shown]
	v_lshlrev_b64 v[22:23], 3, v[12:13]
	v_add_nc_u32_e32 v12, -2, v11
	v_lshlrev_b64 v[24:25], 3, v[12:13]
	v_add_co_u32 v22, vcc_lo, s4, v22
	v_add_co_ci_u32_e64 v23, null, s5, v23, vcc_lo
	v_add_nc_u32_e32 v12, 2, v15
	v_add_co_u32 v24, vcc_lo, s10, v24
	global_load_dwordx2 v[22:23], v[22:23], off
	v_add_co_ci_u32_e64 v25, null, s11, v25, vcc_lo
	v_lshlrev_b64 v[26:27], 3, v[12:13]
	v_add_nc_u32_e32 v12, -1, v11
	v_add_co_u32 v26, vcc_lo, s4, v26
	v_add_co_ci_u32_e64 v27, null, s5, v27, vcc_lo
	global_load_dwordx2 v[24:25], v[24:25], off
	global_load_dwordx2 v[26:27], v[26:27], off
	v_lshlrev_b64 v[28:29], 3, v[12:13]
	v_add_nc_u32_e32 v12, 3, v15
	v_lshlrev_b64 v[30:31], 3, v[12:13]
	v_add_co_u32 v28, vcc_lo, s10, v28
	v_add_co_ci_u32_e64 v29, null, s11, v29, vcc_lo
	v_mov_b32_e32 v12, v13
	v_add_co_u32 v30, vcc_lo, s4, v30
	v_add_co_ci_u32_e64 v31, null, s5, v31, vcc_lo
	global_load_dwordx2 v[28:29], v[28:29], off
	global_load_dwordx2 v[30:31], v[30:31], off
	v_lshlrev_b64 v[32:33], 3, v[11:12]
	v_add_nc_u32_e32 v12, 4, v15
	v_add_nc_u32_e32 v11, 0x140, v11
	v_lshlrev_b64 v[34:35], 3, v[12:13]
	v_add_co_u32 v32, vcc_lo, s10, v32
	v_add_co_ci_u32_e64 v33, null, s11, v33, vcc_lo
	v_add_co_u32 v34, vcc_lo, s4, v34
	v_add_co_ci_u32_e64 v35, null, s5, v35, vcc_lo
	global_load_dwordx2 v[32:33], v[32:33], off
	global_load_dwordx2 v[34:35], v[34:35], off
	v_cmp_ge_i32_e32 vcc_lo, v9, v14
	s_or_b32 s6, vcc_lo, s6
	s_waitcnt vmcnt(7)
	v_fma_f64 v[7:8], v[16:17], v[20:21], v[7:8]
	s_waitcnt vmcnt(6)
	v_fma_f64 v[7:8], v[18:19], v[22:23], v[7:8]
	;; [unrolled: 2-line block ×5, first 2 shown]
	s_andn2_b32 exec_lo, exec_lo, s6
	s_cbranch_execnz .LBB95_8
; %bb.9:
	s_or_b32 exec_lo, exec_lo, s6
.LBB95_10:
	s_or_b32 exec_lo, exec_lo, s1
	v_mbcnt_lo_u32_b32 v11, -1, 0
	v_or_b32_e32 v9, 32, v11
	v_cmp_gt_i32_e32 vcc_lo, 32, v9
	v_cndmask_b32_e32 v9, v11, v9, vcc_lo
	v_lshlrev_b32_e32 v10, 2, v9
	ds_bpermute_b32 v9, v10, v7
	ds_bpermute_b32 v10, v10, v8
	s_waitcnt lgkmcnt(0)
	v_add_f64 v[7:8], v[7:8], v[9:10]
	v_xor_b32_e32 v9, 16, v11
	v_cmp_gt_i32_e32 vcc_lo, 32, v9
	v_cndmask_b32_e32 v9, v11, v9, vcc_lo
	v_lshlrev_b32_e32 v10, 2, v9
	ds_bpermute_b32 v9, v10, v7
	ds_bpermute_b32 v10, v10, v8
	s_waitcnt lgkmcnt(0)
	v_add_f64 v[7:8], v[7:8], v[9:10]
	v_xor_b32_e32 v9, 8, v11
	;; [unrolled: 8-line block ×5, first 2 shown]
	v_cmp_gt_i32_e32 vcc_lo, 32, v9
	v_cndmask_b32_e32 v9, v11, v9, vcc_lo
	v_cmp_eq_u32_e32 vcc_lo, 63, v0
	v_lshlrev_b32_e32 v10, 2, v9
	ds_bpermute_b32 v9, v10, v7
	ds_bpermute_b32 v10, v10, v8
	s_and_b32 exec_lo, exec_lo, vcc_lo
	s_cbranch_execz .LBB95_15
; %bb.11:
	s_waitcnt lgkmcnt(0)
	v_add_f64 v[7:8], v[7:8], v[9:10]
	v_lshlrev_b64 v[5:6], 3, v[5:6]
	s_mov_b32 s0, exec_lo
	v_mul_f64 v[3:4], v[3:4], v[7:8]
	v_cmpx_eq_f64_e32 0, v[1:2]
	s_xor_b32 s0, exec_lo, s0
	s_cbranch_execz .LBB95_13
; %bb.12:
	v_add_co_u32 v0, vcc_lo, s2, v5
	v_add_co_ci_u32_e64 v1, null, s3, v6, vcc_lo
                                        ; implicit-def: $vgpr5_vgpr6
	global_store_dwordx2 v[0:1], v[3:4], off
                                        ; implicit-def: $vgpr1_vgpr2
                                        ; implicit-def: $vgpr3_vgpr4
.LBB95_13:
	s_andn2_saveexec_b32 s0, s0
	s_cbranch_execz .LBB95_15
; %bb.14:
	v_add_co_u32 v5, vcc_lo, s2, v5
	v_add_co_ci_u32_e64 v6, null, s3, v6, vcc_lo
	global_load_dwordx2 v[7:8], v[5:6], off
	s_waitcnt vmcnt(0)
	v_fma_f64 v[0:1], v[1:2], v[7:8], v[3:4]
	global_store_dwordx2 v[5:6], v[0:1], off
.LBB95_15:
	s_endpgm
	.section	.rodata,"a",@progbits
	.p2align	6, 0x0
	.amdhsa_kernel _ZN9rocsparseL19gebsrmvn_1xn_kernelILj128ELj5ELj64EdEEvi20rocsparse_direction_NS_24const_host_device_scalarIT2_EEPKiS6_PKS3_S8_S4_PS3_21rocsparse_index_base_b
		.amdhsa_group_segment_fixed_size 0
		.amdhsa_private_segment_fixed_size 0
		.amdhsa_kernarg_size 72
		.amdhsa_user_sgpr_count 6
		.amdhsa_user_sgpr_private_segment_buffer 1
		.amdhsa_user_sgpr_dispatch_ptr 0
		.amdhsa_user_sgpr_queue_ptr 0
		.amdhsa_user_sgpr_kernarg_segment_ptr 1
		.amdhsa_user_sgpr_dispatch_id 0
		.amdhsa_user_sgpr_flat_scratch_init 0
		.amdhsa_user_sgpr_private_segment_size 0
		.amdhsa_wavefront_size32 1
		.amdhsa_uses_dynamic_stack 0
		.amdhsa_system_sgpr_private_segment_wavefront_offset 0
		.amdhsa_system_sgpr_workgroup_id_x 1
		.amdhsa_system_sgpr_workgroup_id_y 0
		.amdhsa_system_sgpr_workgroup_id_z 0
		.amdhsa_system_sgpr_workgroup_info 0
		.amdhsa_system_vgpr_workitem_id 0
		.amdhsa_next_free_vgpr 36
		.amdhsa_next_free_sgpr 14
		.amdhsa_reserve_vcc 1
		.amdhsa_reserve_flat_scratch 0
		.amdhsa_float_round_mode_32 0
		.amdhsa_float_round_mode_16_64 0
		.amdhsa_float_denorm_mode_32 3
		.amdhsa_float_denorm_mode_16_64 3
		.amdhsa_dx10_clamp 1
		.amdhsa_ieee_mode 1
		.amdhsa_fp16_overflow 0
		.amdhsa_workgroup_processor_mode 1
		.amdhsa_memory_ordered 1
		.amdhsa_forward_progress 1
		.amdhsa_shared_vgpr_count 0
		.amdhsa_exception_fp_ieee_invalid_op 0
		.amdhsa_exception_fp_denorm_src 0
		.amdhsa_exception_fp_ieee_div_zero 0
		.amdhsa_exception_fp_ieee_overflow 0
		.amdhsa_exception_fp_ieee_underflow 0
		.amdhsa_exception_fp_ieee_inexact 0
		.amdhsa_exception_int_div_zero 0
	.end_amdhsa_kernel
	.section	.text._ZN9rocsparseL19gebsrmvn_1xn_kernelILj128ELj5ELj64EdEEvi20rocsparse_direction_NS_24const_host_device_scalarIT2_EEPKiS6_PKS3_S8_S4_PS3_21rocsparse_index_base_b,"axG",@progbits,_ZN9rocsparseL19gebsrmvn_1xn_kernelILj128ELj5ELj64EdEEvi20rocsparse_direction_NS_24const_host_device_scalarIT2_EEPKiS6_PKS3_S8_S4_PS3_21rocsparse_index_base_b,comdat
.Lfunc_end95:
	.size	_ZN9rocsparseL19gebsrmvn_1xn_kernelILj128ELj5ELj64EdEEvi20rocsparse_direction_NS_24const_host_device_scalarIT2_EEPKiS6_PKS3_S8_S4_PS3_21rocsparse_index_base_b, .Lfunc_end95-_ZN9rocsparseL19gebsrmvn_1xn_kernelILj128ELj5ELj64EdEEvi20rocsparse_direction_NS_24const_host_device_scalarIT2_EEPKiS6_PKS3_S8_S4_PS3_21rocsparse_index_base_b
                                        ; -- End function
	.set _ZN9rocsparseL19gebsrmvn_1xn_kernelILj128ELj5ELj64EdEEvi20rocsparse_direction_NS_24const_host_device_scalarIT2_EEPKiS6_PKS3_S8_S4_PS3_21rocsparse_index_base_b.num_vgpr, 36
	.set _ZN9rocsparseL19gebsrmvn_1xn_kernelILj128ELj5ELj64EdEEvi20rocsparse_direction_NS_24const_host_device_scalarIT2_EEPKiS6_PKS3_S8_S4_PS3_21rocsparse_index_base_b.num_agpr, 0
	.set _ZN9rocsparseL19gebsrmvn_1xn_kernelILj128ELj5ELj64EdEEvi20rocsparse_direction_NS_24const_host_device_scalarIT2_EEPKiS6_PKS3_S8_S4_PS3_21rocsparse_index_base_b.numbered_sgpr, 14
	.set _ZN9rocsparseL19gebsrmvn_1xn_kernelILj128ELj5ELj64EdEEvi20rocsparse_direction_NS_24const_host_device_scalarIT2_EEPKiS6_PKS3_S8_S4_PS3_21rocsparse_index_base_b.num_named_barrier, 0
	.set _ZN9rocsparseL19gebsrmvn_1xn_kernelILj128ELj5ELj64EdEEvi20rocsparse_direction_NS_24const_host_device_scalarIT2_EEPKiS6_PKS3_S8_S4_PS3_21rocsparse_index_base_b.private_seg_size, 0
	.set _ZN9rocsparseL19gebsrmvn_1xn_kernelILj128ELj5ELj64EdEEvi20rocsparse_direction_NS_24const_host_device_scalarIT2_EEPKiS6_PKS3_S8_S4_PS3_21rocsparse_index_base_b.uses_vcc, 1
	.set _ZN9rocsparseL19gebsrmvn_1xn_kernelILj128ELj5ELj64EdEEvi20rocsparse_direction_NS_24const_host_device_scalarIT2_EEPKiS6_PKS3_S8_S4_PS3_21rocsparse_index_base_b.uses_flat_scratch, 0
	.set _ZN9rocsparseL19gebsrmvn_1xn_kernelILj128ELj5ELj64EdEEvi20rocsparse_direction_NS_24const_host_device_scalarIT2_EEPKiS6_PKS3_S8_S4_PS3_21rocsparse_index_base_b.has_dyn_sized_stack, 0
	.set _ZN9rocsparseL19gebsrmvn_1xn_kernelILj128ELj5ELj64EdEEvi20rocsparse_direction_NS_24const_host_device_scalarIT2_EEPKiS6_PKS3_S8_S4_PS3_21rocsparse_index_base_b.has_recursion, 0
	.set _ZN9rocsparseL19gebsrmvn_1xn_kernelILj128ELj5ELj64EdEEvi20rocsparse_direction_NS_24const_host_device_scalarIT2_EEPKiS6_PKS3_S8_S4_PS3_21rocsparse_index_base_b.has_indirect_call, 0
	.section	.AMDGPU.csdata,"",@progbits
; Kernel info:
; codeLenInByte = 1232
; TotalNumSgprs: 16
; NumVgprs: 36
; ScratchSize: 0
; MemoryBound: 0
; FloatMode: 240
; IeeeMode: 1
; LDSByteSize: 0 bytes/workgroup (compile time only)
; SGPRBlocks: 0
; VGPRBlocks: 4
; NumSGPRsForWavesPerEU: 16
; NumVGPRsForWavesPerEU: 36
; Occupancy: 16
; WaveLimiterHint : 1
; COMPUTE_PGM_RSRC2:SCRATCH_EN: 0
; COMPUTE_PGM_RSRC2:USER_SGPR: 6
; COMPUTE_PGM_RSRC2:TRAP_HANDLER: 0
; COMPUTE_PGM_RSRC2:TGID_X_EN: 1
; COMPUTE_PGM_RSRC2:TGID_Y_EN: 0
; COMPUTE_PGM_RSRC2:TGID_Z_EN: 0
; COMPUTE_PGM_RSRC2:TIDIG_COMP_CNT: 0
	.section	.text._ZN9rocsparseL19gebsrmvn_1xn_kernelILj128ELj6ELj4EdEEvi20rocsparse_direction_NS_24const_host_device_scalarIT2_EEPKiS6_PKS3_S8_S4_PS3_21rocsparse_index_base_b,"axG",@progbits,_ZN9rocsparseL19gebsrmvn_1xn_kernelILj128ELj6ELj4EdEEvi20rocsparse_direction_NS_24const_host_device_scalarIT2_EEPKiS6_PKS3_S8_S4_PS3_21rocsparse_index_base_b,comdat
	.globl	_ZN9rocsparseL19gebsrmvn_1xn_kernelILj128ELj6ELj4EdEEvi20rocsparse_direction_NS_24const_host_device_scalarIT2_EEPKiS6_PKS3_S8_S4_PS3_21rocsparse_index_base_b ; -- Begin function _ZN9rocsparseL19gebsrmvn_1xn_kernelILj128ELj6ELj4EdEEvi20rocsparse_direction_NS_24const_host_device_scalarIT2_EEPKiS6_PKS3_S8_S4_PS3_21rocsparse_index_base_b
	.p2align	8
	.type	_ZN9rocsparseL19gebsrmvn_1xn_kernelILj128ELj6ELj4EdEEvi20rocsparse_direction_NS_24const_host_device_scalarIT2_EEPKiS6_PKS3_S8_S4_PS3_21rocsparse_index_base_b,@function
_ZN9rocsparseL19gebsrmvn_1xn_kernelILj128ELj6ELj4EdEEvi20rocsparse_direction_NS_24const_host_device_scalarIT2_EEPKiS6_PKS3_S8_S4_PS3_21rocsparse_index_base_b: ; @_ZN9rocsparseL19gebsrmvn_1xn_kernelILj128ELj6ELj4EdEEvi20rocsparse_direction_NS_24const_host_device_scalarIT2_EEPKiS6_PKS3_S8_S4_PS3_21rocsparse_index_base_b
; %bb.0:
	s_clause 0x2
	s_load_dwordx2 s[8:9], s[4:5], 0x40
	s_load_dwordx2 s[2:3], s[4:5], 0x8
	;; [unrolled: 1-line block ×3, first 2 shown]
	s_waitcnt lgkmcnt(0)
	s_bitcmp1_b32 s9, 0
	v_mov_b32_e32 v4, s3
	v_mov_b32_e32 v3, s2
	s_cselect_b32 s7, -1, 0
	s_and_b32 vcc_lo, exec_lo, s7
	s_xor_b32 s7, s7, -1
	s_cbranch_vccnz .LBB96_2
; %bb.1:
	v_mov_b32_e32 v1, s2
	v_mov_b32_e32 v2, s3
	flat_load_dwordx2 v[3:4], v[1:2]
.LBB96_2:
	v_mov_b32_e32 v2, s1
	v_mov_b32_e32 v1, s0
	s_andn2_b32 vcc_lo, exec_lo, s7
	s_cbranch_vccnz .LBB96_4
; %bb.3:
	v_mov_b32_e32 v2, s1
	v_mov_b32_e32 v1, s0
	flat_load_dwordx2 v[1:2], v[1:2]
.LBB96_4:
	s_waitcnt vmcnt(0) lgkmcnt(0)
	v_cmp_neq_f64_e32 vcc_lo, 0, v[3:4]
	v_cmp_neq_f64_e64 s0, 1.0, v[1:2]
	s_or_b32 s0, vcc_lo, s0
	s_and_saveexec_b32 s1, s0
	s_cbranch_execz .LBB96_15
; %bb.5:
	s_load_dword s0, s[4:5], 0x0
	v_lshrrev_b32_e32 v5, 2, v0
	v_lshl_or_b32 v5, s6, 5, v5
	s_waitcnt lgkmcnt(0)
	v_cmp_gt_i32_e32 vcc_lo, s0, v5
	s_and_b32 exec_lo, exec_lo, vcc_lo
	s_cbranch_execz .LBB96_15
; %bb.6:
	s_clause 0x1
	s_load_dwordx2 s[0:1], s[4:5], 0x10
	s_load_dwordx2 s[6:7], s[4:5], 0x38
	v_ashrrev_i32_e32 v6, 31, v5
	v_and_b32_e32 v0, 3, v0
	s_mov_b32 s9, exec_lo
	v_lshlrev_b64 v[7:8], 2, v[5:6]
	v_subrev_nc_u32_e32 v9, s8, v0
	s_waitcnt lgkmcnt(0)
	v_add_co_u32 v7, vcc_lo, s0, v7
	v_add_co_ci_u32_e64 v8, null, s1, v8, vcc_lo
	global_load_dwordx2 v[7:8], v[7:8], off
	s_waitcnt vmcnt(0)
	v_subrev_nc_u32_e32 v14, s8, v8
	v_add_nc_u32_e32 v9, v7, v9
	v_mov_b32_e32 v7, 0
	v_mov_b32_e32 v8, 0
	v_cmpx_lt_i32_e64 v9, v14
	s_cbranch_execz .LBB96_10
; %bb.7:
	s_clause 0x1
	s_load_dwordx4 s[0:3], s[4:5], 0x18
	s_load_dwordx2 s[4:5], s[4:5], 0x28
	v_mad_u64_u32 v[11:12], null, v9, 6, 5
	v_mov_b32_e32 v7, 0
	v_mov_b32_e32 v8, 0
	;; [unrolled: 1-line block ×3, first 2 shown]
	s_mov_b32 s10, 0
.LBB96_8:                               ; =>This Inner Loop Header: Depth=1
	v_ashrrev_i32_e32 v10, 31, v9
	v_add_nc_u32_e32 v12, -5, v11
	v_mov_b32_e32 v28, v13
	v_lshlrev_b64 v[15:16], 2, v[9:10]
	v_add_nc_u32_e32 v9, 4, v9
	s_waitcnt lgkmcnt(0)
	v_add_co_u32 v15, vcc_lo, s0, v15
	v_add_co_ci_u32_e64 v16, null, s1, v16, vcc_lo
	global_load_dword v10, v[15:16], off
	v_lshlrev_b64 v[15:16], 3, v[12:13]
	v_add_nc_u32_e32 v12, -3, v11
	v_lshlrev_b64 v[23:24], 3, v[12:13]
	v_add_co_u32 v15, vcc_lo, s2, v15
	v_add_co_ci_u32_e64 v16, null, s3, v16, vcc_lo
	s_waitcnt vmcnt(0)
	v_subrev_nc_u32_e32 v10, s8, v10
	v_mul_lo_u32 v27, v10, 6
	v_lshlrev_b64 v[17:18], 3, v[27:28]
	v_add_nc_u32_e32 v12, 2, v27
	v_lshlrev_b64 v[25:26], 3, v[12:13]
	v_add_co_u32 v19, vcc_lo, s4, v17
	v_add_co_ci_u32_e64 v20, null, s5, v18, vcc_lo
	v_add_co_u32 v23, vcc_lo, s2, v23
	global_load_dwordx4 v[15:18], v[15:16], off
	global_load_dwordx4 v[19:22], v[19:20], off
	v_add_co_ci_u32_e64 v24, null, s3, v24, vcc_lo
	v_add_co_u32 v25, vcc_lo, s4, v25
	v_add_co_ci_u32_e64 v26, null, s5, v26, vcc_lo
	global_load_dwordx2 v[31:32], v[23:24], off
	global_load_dwordx4 v[23:26], v[25:26], off
	v_add_nc_u32_e32 v12, -2, v11
	v_lshlrev_b64 v[28:29], 3, v[12:13]
	v_add_nc_u32_e32 v12, -1, v11
	v_add_co_u32 v28, vcc_lo, s2, v28
	v_add_co_ci_u32_e64 v29, null, s3, v29, vcc_lo
	global_load_dwordx2 v[33:34], v[28:29], off
	v_lshlrev_b64 v[28:29], 3, v[12:13]
	v_add_nc_u32_e32 v12, 4, v27
	v_lshlrev_b64 v[35:36], 3, v[12:13]
	v_add_co_u32 v27, vcc_lo, s2, v28
	v_add_co_ci_u32_e64 v28, null, s3, v29, vcc_lo
	v_mov_b32_e32 v12, v13
	v_add_co_u32 v29, vcc_lo, s4, v35
	v_add_co_ci_u32_e64 v30, null, s5, v36, vcc_lo
	global_load_dwordx2 v[35:36], v[27:28], off
	global_load_dwordx4 v[27:30], v[29:30], off
	v_lshlrev_b64 v[37:38], 3, v[11:12]
	v_add_nc_u32_e32 v11, 24, v11
	v_add_co_u32 v37, vcc_lo, s2, v37
	v_add_co_ci_u32_e64 v38, null, s3, v38, vcc_lo
	v_cmp_ge_i32_e32 vcc_lo, v9, v14
	global_load_dwordx2 v[37:38], v[37:38], off
	s_or_b32 s10, vcc_lo, s10
	s_waitcnt vmcnt(6)
	v_fma_f64 v[7:8], v[15:16], v[19:20], v[7:8]
	v_fma_f64 v[7:8], v[17:18], v[21:22], v[7:8]
	s_waitcnt vmcnt(4)
	v_fma_f64 v[7:8], v[31:32], v[23:24], v[7:8]
	s_waitcnt vmcnt(3)
	;; [unrolled: 2-line block ×4, first 2 shown]
	v_fma_f64 v[7:8], v[37:38], v[29:30], v[7:8]
	s_andn2_b32 exec_lo, exec_lo, s10
	s_cbranch_execnz .LBB96_8
; %bb.9:
	s_or_b32 exec_lo, exec_lo, s10
.LBB96_10:
	s_or_b32 exec_lo, exec_lo, s9
	v_mbcnt_lo_u32_b32 v11, -1, 0
	v_xor_b32_e32 v9, 2, v11
	v_cmp_gt_i32_e32 vcc_lo, 32, v9
	v_cndmask_b32_e32 v9, v11, v9, vcc_lo
	v_lshlrev_b32_e32 v10, 2, v9
	ds_bpermute_b32 v9, v10, v7
	ds_bpermute_b32 v10, v10, v8
	s_waitcnt lgkmcnt(0)
	v_add_f64 v[7:8], v[7:8], v[9:10]
	v_xor_b32_e32 v9, 1, v11
	v_cmp_gt_i32_e32 vcc_lo, 32, v9
	v_cndmask_b32_e32 v9, v11, v9, vcc_lo
	v_cmp_eq_u32_e32 vcc_lo, 3, v0
	v_lshlrev_b32_e32 v10, 2, v9
	ds_bpermute_b32 v9, v10, v7
	ds_bpermute_b32 v10, v10, v8
	s_and_b32 exec_lo, exec_lo, vcc_lo
	s_cbranch_execz .LBB96_15
; %bb.11:
	s_waitcnt lgkmcnt(0)
	v_add_f64 v[7:8], v[7:8], v[9:10]
	v_lshlrev_b64 v[5:6], 3, v[5:6]
	s_mov_b32 s0, exec_lo
	v_mul_f64 v[3:4], v[3:4], v[7:8]
	v_cmpx_eq_f64_e32 0, v[1:2]
	s_xor_b32 s0, exec_lo, s0
	s_cbranch_execz .LBB96_13
; %bb.12:
	v_add_co_u32 v0, vcc_lo, s6, v5
	v_add_co_ci_u32_e64 v1, null, s7, v6, vcc_lo
                                        ; implicit-def: $vgpr5_vgpr6
	global_store_dwordx2 v[0:1], v[3:4], off
                                        ; implicit-def: $vgpr1_vgpr2
                                        ; implicit-def: $vgpr3_vgpr4
.LBB96_13:
	s_andn2_saveexec_b32 s0, s0
	s_cbranch_execz .LBB96_15
; %bb.14:
	v_add_co_u32 v5, vcc_lo, s6, v5
	v_add_co_ci_u32_e64 v6, null, s7, v6, vcc_lo
	global_load_dwordx2 v[7:8], v[5:6], off
	s_waitcnt vmcnt(0)
	v_fma_f64 v[0:1], v[1:2], v[7:8], v[3:4]
	global_store_dwordx2 v[5:6], v[0:1], off
.LBB96_15:
	s_endpgm
	.section	.rodata,"a",@progbits
	.p2align	6, 0x0
	.amdhsa_kernel _ZN9rocsparseL19gebsrmvn_1xn_kernelILj128ELj6ELj4EdEEvi20rocsparse_direction_NS_24const_host_device_scalarIT2_EEPKiS6_PKS3_S8_S4_PS3_21rocsparse_index_base_b
		.amdhsa_group_segment_fixed_size 0
		.amdhsa_private_segment_fixed_size 0
		.amdhsa_kernarg_size 72
		.amdhsa_user_sgpr_count 6
		.amdhsa_user_sgpr_private_segment_buffer 1
		.amdhsa_user_sgpr_dispatch_ptr 0
		.amdhsa_user_sgpr_queue_ptr 0
		.amdhsa_user_sgpr_kernarg_segment_ptr 1
		.amdhsa_user_sgpr_dispatch_id 0
		.amdhsa_user_sgpr_flat_scratch_init 0
		.amdhsa_user_sgpr_private_segment_size 0
		.amdhsa_wavefront_size32 1
		.amdhsa_uses_dynamic_stack 0
		.amdhsa_system_sgpr_private_segment_wavefront_offset 0
		.amdhsa_system_sgpr_workgroup_id_x 1
		.amdhsa_system_sgpr_workgroup_id_y 0
		.amdhsa_system_sgpr_workgroup_id_z 0
		.amdhsa_system_sgpr_workgroup_info 0
		.amdhsa_system_vgpr_workitem_id 0
		.amdhsa_next_free_vgpr 39
		.amdhsa_next_free_sgpr 11
		.amdhsa_reserve_vcc 1
		.amdhsa_reserve_flat_scratch 0
		.amdhsa_float_round_mode_32 0
		.amdhsa_float_round_mode_16_64 0
		.amdhsa_float_denorm_mode_32 3
		.amdhsa_float_denorm_mode_16_64 3
		.amdhsa_dx10_clamp 1
		.amdhsa_ieee_mode 1
		.amdhsa_fp16_overflow 0
		.amdhsa_workgroup_processor_mode 1
		.amdhsa_memory_ordered 1
		.amdhsa_forward_progress 1
		.amdhsa_shared_vgpr_count 0
		.amdhsa_exception_fp_ieee_invalid_op 0
		.amdhsa_exception_fp_denorm_src 0
		.amdhsa_exception_fp_ieee_div_zero 0
		.amdhsa_exception_fp_ieee_overflow 0
		.amdhsa_exception_fp_ieee_underflow 0
		.amdhsa_exception_fp_ieee_inexact 0
		.amdhsa_exception_int_div_zero 0
	.end_amdhsa_kernel
	.section	.text._ZN9rocsparseL19gebsrmvn_1xn_kernelILj128ELj6ELj4EdEEvi20rocsparse_direction_NS_24const_host_device_scalarIT2_EEPKiS6_PKS3_S8_S4_PS3_21rocsparse_index_base_b,"axG",@progbits,_ZN9rocsparseL19gebsrmvn_1xn_kernelILj128ELj6ELj4EdEEvi20rocsparse_direction_NS_24const_host_device_scalarIT2_EEPKiS6_PKS3_S8_S4_PS3_21rocsparse_index_base_b,comdat
.Lfunc_end96:
	.size	_ZN9rocsparseL19gebsrmvn_1xn_kernelILj128ELj6ELj4EdEEvi20rocsparse_direction_NS_24const_host_device_scalarIT2_EEPKiS6_PKS3_S8_S4_PS3_21rocsparse_index_base_b, .Lfunc_end96-_ZN9rocsparseL19gebsrmvn_1xn_kernelILj128ELj6ELj4EdEEvi20rocsparse_direction_NS_24const_host_device_scalarIT2_EEPKiS6_PKS3_S8_S4_PS3_21rocsparse_index_base_b
                                        ; -- End function
	.set _ZN9rocsparseL19gebsrmvn_1xn_kernelILj128ELj6ELj4EdEEvi20rocsparse_direction_NS_24const_host_device_scalarIT2_EEPKiS6_PKS3_S8_S4_PS3_21rocsparse_index_base_b.num_vgpr, 39
	.set _ZN9rocsparseL19gebsrmvn_1xn_kernelILj128ELj6ELj4EdEEvi20rocsparse_direction_NS_24const_host_device_scalarIT2_EEPKiS6_PKS3_S8_S4_PS3_21rocsparse_index_base_b.num_agpr, 0
	.set _ZN9rocsparseL19gebsrmvn_1xn_kernelILj128ELj6ELj4EdEEvi20rocsparse_direction_NS_24const_host_device_scalarIT2_EEPKiS6_PKS3_S8_S4_PS3_21rocsparse_index_base_b.numbered_sgpr, 11
	.set _ZN9rocsparseL19gebsrmvn_1xn_kernelILj128ELj6ELj4EdEEvi20rocsparse_direction_NS_24const_host_device_scalarIT2_EEPKiS6_PKS3_S8_S4_PS3_21rocsparse_index_base_b.num_named_barrier, 0
	.set _ZN9rocsparseL19gebsrmvn_1xn_kernelILj128ELj6ELj4EdEEvi20rocsparse_direction_NS_24const_host_device_scalarIT2_EEPKiS6_PKS3_S8_S4_PS3_21rocsparse_index_base_b.private_seg_size, 0
	.set _ZN9rocsparseL19gebsrmvn_1xn_kernelILj128ELj6ELj4EdEEvi20rocsparse_direction_NS_24const_host_device_scalarIT2_EEPKiS6_PKS3_S8_S4_PS3_21rocsparse_index_base_b.uses_vcc, 1
	.set _ZN9rocsparseL19gebsrmvn_1xn_kernelILj128ELj6ELj4EdEEvi20rocsparse_direction_NS_24const_host_device_scalarIT2_EEPKiS6_PKS3_S8_S4_PS3_21rocsparse_index_base_b.uses_flat_scratch, 0
	.set _ZN9rocsparseL19gebsrmvn_1xn_kernelILj128ELj6ELj4EdEEvi20rocsparse_direction_NS_24const_host_device_scalarIT2_EEPKiS6_PKS3_S8_S4_PS3_21rocsparse_index_base_b.has_dyn_sized_stack, 0
	.set _ZN9rocsparseL19gebsrmvn_1xn_kernelILj128ELj6ELj4EdEEvi20rocsparse_direction_NS_24const_host_device_scalarIT2_EEPKiS6_PKS3_S8_S4_PS3_21rocsparse_index_base_b.has_recursion, 0
	.set _ZN9rocsparseL19gebsrmvn_1xn_kernelILj128ELj6ELj4EdEEvi20rocsparse_direction_NS_24const_host_device_scalarIT2_EEPKiS6_PKS3_S8_S4_PS3_21rocsparse_index_base_b.has_indirect_call, 0
	.section	.AMDGPU.csdata,"",@progbits
; Kernel info:
; codeLenInByte = 984
; TotalNumSgprs: 13
; NumVgprs: 39
; ScratchSize: 0
; MemoryBound: 0
; FloatMode: 240
; IeeeMode: 1
; LDSByteSize: 0 bytes/workgroup (compile time only)
; SGPRBlocks: 0
; VGPRBlocks: 4
; NumSGPRsForWavesPerEU: 13
; NumVGPRsForWavesPerEU: 39
; Occupancy: 16
; WaveLimiterHint : 1
; COMPUTE_PGM_RSRC2:SCRATCH_EN: 0
; COMPUTE_PGM_RSRC2:USER_SGPR: 6
; COMPUTE_PGM_RSRC2:TRAP_HANDLER: 0
; COMPUTE_PGM_RSRC2:TGID_X_EN: 1
; COMPUTE_PGM_RSRC2:TGID_Y_EN: 0
; COMPUTE_PGM_RSRC2:TGID_Z_EN: 0
; COMPUTE_PGM_RSRC2:TIDIG_COMP_CNT: 0
	.section	.text._ZN9rocsparseL19gebsrmvn_1xn_kernelILj128ELj6ELj8EdEEvi20rocsparse_direction_NS_24const_host_device_scalarIT2_EEPKiS6_PKS3_S8_S4_PS3_21rocsparse_index_base_b,"axG",@progbits,_ZN9rocsparseL19gebsrmvn_1xn_kernelILj128ELj6ELj8EdEEvi20rocsparse_direction_NS_24const_host_device_scalarIT2_EEPKiS6_PKS3_S8_S4_PS3_21rocsparse_index_base_b,comdat
	.globl	_ZN9rocsparseL19gebsrmvn_1xn_kernelILj128ELj6ELj8EdEEvi20rocsparse_direction_NS_24const_host_device_scalarIT2_EEPKiS6_PKS3_S8_S4_PS3_21rocsparse_index_base_b ; -- Begin function _ZN9rocsparseL19gebsrmvn_1xn_kernelILj128ELj6ELj8EdEEvi20rocsparse_direction_NS_24const_host_device_scalarIT2_EEPKiS6_PKS3_S8_S4_PS3_21rocsparse_index_base_b
	.p2align	8
	.type	_ZN9rocsparseL19gebsrmvn_1xn_kernelILj128ELj6ELj8EdEEvi20rocsparse_direction_NS_24const_host_device_scalarIT2_EEPKiS6_PKS3_S8_S4_PS3_21rocsparse_index_base_b,@function
_ZN9rocsparseL19gebsrmvn_1xn_kernelILj128ELj6ELj8EdEEvi20rocsparse_direction_NS_24const_host_device_scalarIT2_EEPKiS6_PKS3_S8_S4_PS3_21rocsparse_index_base_b: ; @_ZN9rocsparseL19gebsrmvn_1xn_kernelILj128ELj6ELj8EdEEvi20rocsparse_direction_NS_24const_host_device_scalarIT2_EEPKiS6_PKS3_S8_S4_PS3_21rocsparse_index_base_b
; %bb.0:
	s_clause 0x2
	s_load_dwordx2 s[8:9], s[4:5], 0x40
	s_load_dwordx2 s[2:3], s[4:5], 0x8
	;; [unrolled: 1-line block ×3, first 2 shown]
	s_waitcnt lgkmcnt(0)
	s_bitcmp1_b32 s9, 0
	v_mov_b32_e32 v4, s3
	v_mov_b32_e32 v3, s2
	s_cselect_b32 s7, -1, 0
	s_and_b32 vcc_lo, exec_lo, s7
	s_xor_b32 s7, s7, -1
	s_cbranch_vccnz .LBB97_2
; %bb.1:
	v_mov_b32_e32 v1, s2
	v_mov_b32_e32 v2, s3
	flat_load_dwordx2 v[3:4], v[1:2]
.LBB97_2:
	v_mov_b32_e32 v2, s1
	v_mov_b32_e32 v1, s0
	s_andn2_b32 vcc_lo, exec_lo, s7
	s_cbranch_vccnz .LBB97_4
; %bb.3:
	v_mov_b32_e32 v2, s1
	v_mov_b32_e32 v1, s0
	flat_load_dwordx2 v[1:2], v[1:2]
.LBB97_4:
	s_waitcnt vmcnt(0) lgkmcnt(0)
	v_cmp_neq_f64_e32 vcc_lo, 0, v[3:4]
	v_cmp_neq_f64_e64 s0, 1.0, v[1:2]
	s_or_b32 s0, vcc_lo, s0
	s_and_saveexec_b32 s1, s0
	s_cbranch_execz .LBB97_15
; %bb.5:
	s_load_dword s0, s[4:5], 0x0
	v_lshrrev_b32_e32 v5, 3, v0
	v_lshl_or_b32 v5, s6, 4, v5
	s_waitcnt lgkmcnt(0)
	v_cmp_gt_i32_e32 vcc_lo, s0, v5
	s_and_b32 exec_lo, exec_lo, vcc_lo
	s_cbranch_execz .LBB97_15
; %bb.6:
	s_clause 0x1
	s_load_dwordx2 s[0:1], s[4:5], 0x10
	s_load_dwordx2 s[6:7], s[4:5], 0x38
	v_ashrrev_i32_e32 v6, 31, v5
	v_and_b32_e32 v0, 7, v0
	s_mov_b32 s9, exec_lo
	v_lshlrev_b64 v[7:8], 2, v[5:6]
	v_subrev_nc_u32_e32 v9, s8, v0
	s_waitcnt lgkmcnt(0)
	v_add_co_u32 v7, vcc_lo, s0, v7
	v_add_co_ci_u32_e64 v8, null, s1, v8, vcc_lo
	global_load_dwordx2 v[7:8], v[7:8], off
	s_waitcnt vmcnt(0)
	v_subrev_nc_u32_e32 v14, s8, v8
	v_add_nc_u32_e32 v9, v7, v9
	v_mov_b32_e32 v7, 0
	v_mov_b32_e32 v8, 0
	v_cmpx_lt_i32_e64 v9, v14
	s_cbranch_execz .LBB97_10
; %bb.7:
	s_clause 0x1
	s_load_dwordx4 s[0:3], s[4:5], 0x18
	s_load_dwordx2 s[4:5], s[4:5], 0x28
	v_mad_u64_u32 v[11:12], null, v9, 6, 5
	v_mov_b32_e32 v7, 0
	v_mov_b32_e32 v8, 0
	;; [unrolled: 1-line block ×3, first 2 shown]
	s_mov_b32 s10, 0
.LBB97_8:                               ; =>This Inner Loop Header: Depth=1
	v_ashrrev_i32_e32 v10, 31, v9
	v_add_nc_u32_e32 v12, -5, v11
	v_mov_b32_e32 v28, v13
	v_lshlrev_b64 v[15:16], 2, v[9:10]
	v_add_nc_u32_e32 v9, 8, v9
	s_waitcnt lgkmcnt(0)
	v_add_co_u32 v15, vcc_lo, s0, v15
	v_add_co_ci_u32_e64 v16, null, s1, v16, vcc_lo
	global_load_dword v10, v[15:16], off
	v_lshlrev_b64 v[15:16], 3, v[12:13]
	v_add_nc_u32_e32 v12, -3, v11
	v_lshlrev_b64 v[23:24], 3, v[12:13]
	v_add_co_u32 v15, vcc_lo, s2, v15
	v_add_co_ci_u32_e64 v16, null, s3, v16, vcc_lo
	s_waitcnt vmcnt(0)
	v_subrev_nc_u32_e32 v10, s8, v10
	v_mul_lo_u32 v27, v10, 6
	v_lshlrev_b64 v[17:18], 3, v[27:28]
	v_add_nc_u32_e32 v12, 2, v27
	v_lshlrev_b64 v[25:26], 3, v[12:13]
	v_add_co_u32 v19, vcc_lo, s4, v17
	v_add_co_ci_u32_e64 v20, null, s5, v18, vcc_lo
	v_add_co_u32 v23, vcc_lo, s2, v23
	global_load_dwordx4 v[15:18], v[15:16], off
	global_load_dwordx4 v[19:22], v[19:20], off
	v_add_co_ci_u32_e64 v24, null, s3, v24, vcc_lo
	v_add_co_u32 v25, vcc_lo, s4, v25
	v_add_co_ci_u32_e64 v26, null, s5, v26, vcc_lo
	global_load_dwordx2 v[31:32], v[23:24], off
	global_load_dwordx4 v[23:26], v[25:26], off
	v_add_nc_u32_e32 v12, -2, v11
	v_lshlrev_b64 v[28:29], 3, v[12:13]
	v_add_nc_u32_e32 v12, -1, v11
	v_add_co_u32 v28, vcc_lo, s2, v28
	v_add_co_ci_u32_e64 v29, null, s3, v29, vcc_lo
	global_load_dwordx2 v[33:34], v[28:29], off
	v_lshlrev_b64 v[28:29], 3, v[12:13]
	v_add_nc_u32_e32 v12, 4, v27
	v_lshlrev_b64 v[35:36], 3, v[12:13]
	v_add_co_u32 v27, vcc_lo, s2, v28
	v_add_co_ci_u32_e64 v28, null, s3, v29, vcc_lo
	v_mov_b32_e32 v12, v13
	v_add_co_u32 v29, vcc_lo, s4, v35
	v_add_co_ci_u32_e64 v30, null, s5, v36, vcc_lo
	global_load_dwordx2 v[35:36], v[27:28], off
	global_load_dwordx4 v[27:30], v[29:30], off
	v_lshlrev_b64 v[37:38], 3, v[11:12]
	v_add_nc_u32_e32 v11, 48, v11
	v_add_co_u32 v37, vcc_lo, s2, v37
	v_add_co_ci_u32_e64 v38, null, s3, v38, vcc_lo
	v_cmp_ge_i32_e32 vcc_lo, v9, v14
	global_load_dwordx2 v[37:38], v[37:38], off
	s_or_b32 s10, vcc_lo, s10
	s_waitcnt vmcnt(6)
	v_fma_f64 v[7:8], v[15:16], v[19:20], v[7:8]
	v_fma_f64 v[7:8], v[17:18], v[21:22], v[7:8]
	s_waitcnt vmcnt(4)
	v_fma_f64 v[7:8], v[31:32], v[23:24], v[7:8]
	s_waitcnt vmcnt(3)
	;; [unrolled: 2-line block ×4, first 2 shown]
	v_fma_f64 v[7:8], v[37:38], v[29:30], v[7:8]
	s_andn2_b32 exec_lo, exec_lo, s10
	s_cbranch_execnz .LBB97_8
; %bb.9:
	s_or_b32 exec_lo, exec_lo, s10
.LBB97_10:
	s_or_b32 exec_lo, exec_lo, s9
	v_mbcnt_lo_u32_b32 v11, -1, 0
	v_xor_b32_e32 v9, 4, v11
	v_cmp_gt_i32_e32 vcc_lo, 32, v9
	v_cndmask_b32_e32 v9, v11, v9, vcc_lo
	v_lshlrev_b32_e32 v10, 2, v9
	ds_bpermute_b32 v9, v10, v7
	ds_bpermute_b32 v10, v10, v8
	s_waitcnt lgkmcnt(0)
	v_add_f64 v[7:8], v[7:8], v[9:10]
	v_xor_b32_e32 v9, 2, v11
	v_cmp_gt_i32_e32 vcc_lo, 32, v9
	v_cndmask_b32_e32 v9, v11, v9, vcc_lo
	v_lshlrev_b32_e32 v10, 2, v9
	ds_bpermute_b32 v9, v10, v7
	ds_bpermute_b32 v10, v10, v8
	s_waitcnt lgkmcnt(0)
	v_add_f64 v[7:8], v[7:8], v[9:10]
	v_xor_b32_e32 v9, 1, v11
	v_cmp_gt_i32_e32 vcc_lo, 32, v9
	v_cndmask_b32_e32 v9, v11, v9, vcc_lo
	v_cmp_eq_u32_e32 vcc_lo, 7, v0
	v_lshlrev_b32_e32 v10, 2, v9
	ds_bpermute_b32 v9, v10, v7
	ds_bpermute_b32 v10, v10, v8
	s_and_b32 exec_lo, exec_lo, vcc_lo
	s_cbranch_execz .LBB97_15
; %bb.11:
	s_waitcnt lgkmcnt(0)
	v_add_f64 v[7:8], v[7:8], v[9:10]
	v_lshlrev_b64 v[5:6], 3, v[5:6]
	s_mov_b32 s0, exec_lo
	v_mul_f64 v[3:4], v[3:4], v[7:8]
	v_cmpx_eq_f64_e32 0, v[1:2]
	s_xor_b32 s0, exec_lo, s0
	s_cbranch_execz .LBB97_13
; %bb.12:
	v_add_co_u32 v0, vcc_lo, s6, v5
	v_add_co_ci_u32_e64 v1, null, s7, v6, vcc_lo
                                        ; implicit-def: $vgpr5_vgpr6
	global_store_dwordx2 v[0:1], v[3:4], off
                                        ; implicit-def: $vgpr1_vgpr2
                                        ; implicit-def: $vgpr3_vgpr4
.LBB97_13:
	s_andn2_saveexec_b32 s0, s0
	s_cbranch_execz .LBB97_15
; %bb.14:
	v_add_co_u32 v5, vcc_lo, s6, v5
	v_add_co_ci_u32_e64 v6, null, s7, v6, vcc_lo
	global_load_dwordx2 v[7:8], v[5:6], off
	s_waitcnt vmcnt(0)
	v_fma_f64 v[0:1], v[1:2], v[7:8], v[3:4]
	global_store_dwordx2 v[5:6], v[0:1], off
.LBB97_15:
	s_endpgm
	.section	.rodata,"a",@progbits
	.p2align	6, 0x0
	.amdhsa_kernel _ZN9rocsparseL19gebsrmvn_1xn_kernelILj128ELj6ELj8EdEEvi20rocsparse_direction_NS_24const_host_device_scalarIT2_EEPKiS6_PKS3_S8_S4_PS3_21rocsparse_index_base_b
		.amdhsa_group_segment_fixed_size 0
		.amdhsa_private_segment_fixed_size 0
		.amdhsa_kernarg_size 72
		.amdhsa_user_sgpr_count 6
		.amdhsa_user_sgpr_private_segment_buffer 1
		.amdhsa_user_sgpr_dispatch_ptr 0
		.amdhsa_user_sgpr_queue_ptr 0
		.amdhsa_user_sgpr_kernarg_segment_ptr 1
		.amdhsa_user_sgpr_dispatch_id 0
		.amdhsa_user_sgpr_flat_scratch_init 0
		.amdhsa_user_sgpr_private_segment_size 0
		.amdhsa_wavefront_size32 1
		.amdhsa_uses_dynamic_stack 0
		.amdhsa_system_sgpr_private_segment_wavefront_offset 0
		.amdhsa_system_sgpr_workgroup_id_x 1
		.amdhsa_system_sgpr_workgroup_id_y 0
		.amdhsa_system_sgpr_workgroup_id_z 0
		.amdhsa_system_sgpr_workgroup_info 0
		.amdhsa_system_vgpr_workitem_id 0
		.amdhsa_next_free_vgpr 39
		.amdhsa_next_free_sgpr 11
		.amdhsa_reserve_vcc 1
		.amdhsa_reserve_flat_scratch 0
		.amdhsa_float_round_mode_32 0
		.amdhsa_float_round_mode_16_64 0
		.amdhsa_float_denorm_mode_32 3
		.amdhsa_float_denorm_mode_16_64 3
		.amdhsa_dx10_clamp 1
		.amdhsa_ieee_mode 1
		.amdhsa_fp16_overflow 0
		.amdhsa_workgroup_processor_mode 1
		.amdhsa_memory_ordered 1
		.amdhsa_forward_progress 1
		.amdhsa_shared_vgpr_count 0
		.amdhsa_exception_fp_ieee_invalid_op 0
		.amdhsa_exception_fp_denorm_src 0
		.amdhsa_exception_fp_ieee_div_zero 0
		.amdhsa_exception_fp_ieee_overflow 0
		.amdhsa_exception_fp_ieee_underflow 0
		.amdhsa_exception_fp_ieee_inexact 0
		.amdhsa_exception_int_div_zero 0
	.end_amdhsa_kernel
	.section	.text._ZN9rocsparseL19gebsrmvn_1xn_kernelILj128ELj6ELj8EdEEvi20rocsparse_direction_NS_24const_host_device_scalarIT2_EEPKiS6_PKS3_S8_S4_PS3_21rocsparse_index_base_b,"axG",@progbits,_ZN9rocsparseL19gebsrmvn_1xn_kernelILj128ELj6ELj8EdEEvi20rocsparse_direction_NS_24const_host_device_scalarIT2_EEPKiS6_PKS3_S8_S4_PS3_21rocsparse_index_base_b,comdat
.Lfunc_end97:
	.size	_ZN9rocsparseL19gebsrmvn_1xn_kernelILj128ELj6ELj8EdEEvi20rocsparse_direction_NS_24const_host_device_scalarIT2_EEPKiS6_PKS3_S8_S4_PS3_21rocsparse_index_base_b, .Lfunc_end97-_ZN9rocsparseL19gebsrmvn_1xn_kernelILj128ELj6ELj8EdEEvi20rocsparse_direction_NS_24const_host_device_scalarIT2_EEPKiS6_PKS3_S8_S4_PS3_21rocsparse_index_base_b
                                        ; -- End function
	.set _ZN9rocsparseL19gebsrmvn_1xn_kernelILj128ELj6ELj8EdEEvi20rocsparse_direction_NS_24const_host_device_scalarIT2_EEPKiS6_PKS3_S8_S4_PS3_21rocsparse_index_base_b.num_vgpr, 39
	.set _ZN9rocsparseL19gebsrmvn_1xn_kernelILj128ELj6ELj8EdEEvi20rocsparse_direction_NS_24const_host_device_scalarIT2_EEPKiS6_PKS3_S8_S4_PS3_21rocsparse_index_base_b.num_agpr, 0
	.set _ZN9rocsparseL19gebsrmvn_1xn_kernelILj128ELj6ELj8EdEEvi20rocsparse_direction_NS_24const_host_device_scalarIT2_EEPKiS6_PKS3_S8_S4_PS3_21rocsparse_index_base_b.numbered_sgpr, 11
	.set _ZN9rocsparseL19gebsrmvn_1xn_kernelILj128ELj6ELj8EdEEvi20rocsparse_direction_NS_24const_host_device_scalarIT2_EEPKiS6_PKS3_S8_S4_PS3_21rocsparse_index_base_b.num_named_barrier, 0
	.set _ZN9rocsparseL19gebsrmvn_1xn_kernelILj128ELj6ELj8EdEEvi20rocsparse_direction_NS_24const_host_device_scalarIT2_EEPKiS6_PKS3_S8_S4_PS3_21rocsparse_index_base_b.private_seg_size, 0
	.set _ZN9rocsparseL19gebsrmvn_1xn_kernelILj128ELj6ELj8EdEEvi20rocsparse_direction_NS_24const_host_device_scalarIT2_EEPKiS6_PKS3_S8_S4_PS3_21rocsparse_index_base_b.uses_vcc, 1
	.set _ZN9rocsparseL19gebsrmvn_1xn_kernelILj128ELj6ELj8EdEEvi20rocsparse_direction_NS_24const_host_device_scalarIT2_EEPKiS6_PKS3_S8_S4_PS3_21rocsparse_index_base_b.uses_flat_scratch, 0
	.set _ZN9rocsparseL19gebsrmvn_1xn_kernelILj128ELj6ELj8EdEEvi20rocsparse_direction_NS_24const_host_device_scalarIT2_EEPKiS6_PKS3_S8_S4_PS3_21rocsparse_index_base_b.has_dyn_sized_stack, 0
	.set _ZN9rocsparseL19gebsrmvn_1xn_kernelILj128ELj6ELj8EdEEvi20rocsparse_direction_NS_24const_host_device_scalarIT2_EEPKiS6_PKS3_S8_S4_PS3_21rocsparse_index_base_b.has_recursion, 0
	.set _ZN9rocsparseL19gebsrmvn_1xn_kernelILj128ELj6ELj8EdEEvi20rocsparse_direction_NS_24const_host_device_scalarIT2_EEPKiS6_PKS3_S8_S4_PS3_21rocsparse_index_base_b.has_indirect_call, 0
	.section	.AMDGPU.csdata,"",@progbits
; Kernel info:
; codeLenInByte = 1028
; TotalNumSgprs: 13
; NumVgprs: 39
; ScratchSize: 0
; MemoryBound: 0
; FloatMode: 240
; IeeeMode: 1
; LDSByteSize: 0 bytes/workgroup (compile time only)
; SGPRBlocks: 0
; VGPRBlocks: 4
; NumSGPRsForWavesPerEU: 13
; NumVGPRsForWavesPerEU: 39
; Occupancy: 16
; WaveLimiterHint : 1
; COMPUTE_PGM_RSRC2:SCRATCH_EN: 0
; COMPUTE_PGM_RSRC2:USER_SGPR: 6
; COMPUTE_PGM_RSRC2:TRAP_HANDLER: 0
; COMPUTE_PGM_RSRC2:TGID_X_EN: 1
; COMPUTE_PGM_RSRC2:TGID_Y_EN: 0
; COMPUTE_PGM_RSRC2:TGID_Z_EN: 0
; COMPUTE_PGM_RSRC2:TIDIG_COMP_CNT: 0
	.section	.text._ZN9rocsparseL19gebsrmvn_1xn_kernelILj128ELj6ELj16EdEEvi20rocsparse_direction_NS_24const_host_device_scalarIT2_EEPKiS6_PKS3_S8_S4_PS3_21rocsparse_index_base_b,"axG",@progbits,_ZN9rocsparseL19gebsrmvn_1xn_kernelILj128ELj6ELj16EdEEvi20rocsparse_direction_NS_24const_host_device_scalarIT2_EEPKiS6_PKS3_S8_S4_PS3_21rocsparse_index_base_b,comdat
	.globl	_ZN9rocsparseL19gebsrmvn_1xn_kernelILj128ELj6ELj16EdEEvi20rocsparse_direction_NS_24const_host_device_scalarIT2_EEPKiS6_PKS3_S8_S4_PS3_21rocsparse_index_base_b ; -- Begin function _ZN9rocsparseL19gebsrmvn_1xn_kernelILj128ELj6ELj16EdEEvi20rocsparse_direction_NS_24const_host_device_scalarIT2_EEPKiS6_PKS3_S8_S4_PS3_21rocsparse_index_base_b
	.p2align	8
	.type	_ZN9rocsparseL19gebsrmvn_1xn_kernelILj128ELj6ELj16EdEEvi20rocsparse_direction_NS_24const_host_device_scalarIT2_EEPKiS6_PKS3_S8_S4_PS3_21rocsparse_index_base_b,@function
_ZN9rocsparseL19gebsrmvn_1xn_kernelILj128ELj6ELj16EdEEvi20rocsparse_direction_NS_24const_host_device_scalarIT2_EEPKiS6_PKS3_S8_S4_PS3_21rocsparse_index_base_b: ; @_ZN9rocsparseL19gebsrmvn_1xn_kernelILj128ELj6ELj16EdEEvi20rocsparse_direction_NS_24const_host_device_scalarIT2_EEPKiS6_PKS3_S8_S4_PS3_21rocsparse_index_base_b
; %bb.0:
	s_clause 0x2
	s_load_dwordx2 s[8:9], s[4:5], 0x40
	s_load_dwordx2 s[2:3], s[4:5], 0x8
	;; [unrolled: 1-line block ×3, first 2 shown]
	s_waitcnt lgkmcnt(0)
	s_bitcmp1_b32 s9, 0
	v_mov_b32_e32 v4, s3
	v_mov_b32_e32 v3, s2
	s_cselect_b32 s7, -1, 0
	s_and_b32 vcc_lo, exec_lo, s7
	s_xor_b32 s7, s7, -1
	s_cbranch_vccnz .LBB98_2
; %bb.1:
	v_mov_b32_e32 v1, s2
	v_mov_b32_e32 v2, s3
	flat_load_dwordx2 v[3:4], v[1:2]
.LBB98_2:
	v_mov_b32_e32 v2, s1
	v_mov_b32_e32 v1, s0
	s_andn2_b32 vcc_lo, exec_lo, s7
	s_cbranch_vccnz .LBB98_4
; %bb.3:
	v_mov_b32_e32 v2, s1
	v_mov_b32_e32 v1, s0
	flat_load_dwordx2 v[1:2], v[1:2]
.LBB98_4:
	s_waitcnt vmcnt(0) lgkmcnt(0)
	v_cmp_neq_f64_e32 vcc_lo, 0, v[3:4]
	v_cmp_neq_f64_e64 s0, 1.0, v[1:2]
	s_or_b32 s0, vcc_lo, s0
	s_and_saveexec_b32 s1, s0
	s_cbranch_execz .LBB98_15
; %bb.5:
	s_load_dword s0, s[4:5], 0x0
	v_lshrrev_b32_e32 v5, 4, v0
	v_lshl_or_b32 v5, s6, 3, v5
	s_waitcnt lgkmcnt(0)
	v_cmp_gt_i32_e32 vcc_lo, s0, v5
	s_and_b32 exec_lo, exec_lo, vcc_lo
	s_cbranch_execz .LBB98_15
; %bb.6:
	s_clause 0x1
	s_load_dwordx2 s[0:1], s[4:5], 0x10
	s_load_dwordx2 s[6:7], s[4:5], 0x38
	v_ashrrev_i32_e32 v6, 31, v5
	v_and_b32_e32 v0, 15, v0
	s_mov_b32 s9, exec_lo
	v_lshlrev_b64 v[7:8], 2, v[5:6]
	v_subrev_nc_u32_e32 v9, s8, v0
	s_waitcnt lgkmcnt(0)
	v_add_co_u32 v7, vcc_lo, s0, v7
	v_add_co_ci_u32_e64 v8, null, s1, v8, vcc_lo
	global_load_dwordx2 v[7:8], v[7:8], off
	s_waitcnt vmcnt(0)
	v_subrev_nc_u32_e32 v14, s8, v8
	v_add_nc_u32_e32 v9, v7, v9
	v_mov_b32_e32 v7, 0
	v_mov_b32_e32 v8, 0
	v_cmpx_lt_i32_e64 v9, v14
	s_cbranch_execz .LBB98_10
; %bb.7:
	s_clause 0x1
	s_load_dwordx4 s[0:3], s[4:5], 0x18
	s_load_dwordx2 s[4:5], s[4:5], 0x28
	v_mad_u64_u32 v[11:12], null, v9, 6, 5
	v_mov_b32_e32 v7, 0
	v_mov_b32_e32 v8, 0
	;; [unrolled: 1-line block ×3, first 2 shown]
	s_mov_b32 s10, 0
.LBB98_8:                               ; =>This Inner Loop Header: Depth=1
	v_ashrrev_i32_e32 v10, 31, v9
	v_add_nc_u32_e32 v12, -5, v11
	v_mov_b32_e32 v28, v13
	v_lshlrev_b64 v[15:16], 2, v[9:10]
	v_add_nc_u32_e32 v9, 16, v9
	s_waitcnt lgkmcnt(0)
	v_add_co_u32 v15, vcc_lo, s0, v15
	v_add_co_ci_u32_e64 v16, null, s1, v16, vcc_lo
	global_load_dword v10, v[15:16], off
	v_lshlrev_b64 v[15:16], 3, v[12:13]
	v_add_nc_u32_e32 v12, -3, v11
	v_lshlrev_b64 v[23:24], 3, v[12:13]
	v_add_co_u32 v15, vcc_lo, s2, v15
	v_add_co_ci_u32_e64 v16, null, s3, v16, vcc_lo
	s_waitcnt vmcnt(0)
	v_subrev_nc_u32_e32 v10, s8, v10
	v_mul_lo_u32 v27, v10, 6
	v_lshlrev_b64 v[17:18], 3, v[27:28]
	v_add_nc_u32_e32 v12, 2, v27
	v_lshlrev_b64 v[25:26], 3, v[12:13]
	v_add_co_u32 v19, vcc_lo, s4, v17
	v_add_co_ci_u32_e64 v20, null, s5, v18, vcc_lo
	v_add_co_u32 v23, vcc_lo, s2, v23
	global_load_dwordx4 v[15:18], v[15:16], off
	global_load_dwordx4 v[19:22], v[19:20], off
	v_add_co_ci_u32_e64 v24, null, s3, v24, vcc_lo
	v_add_co_u32 v25, vcc_lo, s4, v25
	v_add_co_ci_u32_e64 v26, null, s5, v26, vcc_lo
	global_load_dwordx2 v[31:32], v[23:24], off
	global_load_dwordx4 v[23:26], v[25:26], off
	v_add_nc_u32_e32 v12, -2, v11
	v_lshlrev_b64 v[28:29], 3, v[12:13]
	v_add_nc_u32_e32 v12, -1, v11
	v_add_co_u32 v28, vcc_lo, s2, v28
	v_add_co_ci_u32_e64 v29, null, s3, v29, vcc_lo
	global_load_dwordx2 v[33:34], v[28:29], off
	v_lshlrev_b64 v[28:29], 3, v[12:13]
	v_add_nc_u32_e32 v12, 4, v27
	v_lshlrev_b64 v[35:36], 3, v[12:13]
	v_add_co_u32 v27, vcc_lo, s2, v28
	v_add_co_ci_u32_e64 v28, null, s3, v29, vcc_lo
	v_mov_b32_e32 v12, v13
	v_add_co_u32 v29, vcc_lo, s4, v35
	v_add_co_ci_u32_e64 v30, null, s5, v36, vcc_lo
	global_load_dwordx2 v[35:36], v[27:28], off
	global_load_dwordx4 v[27:30], v[29:30], off
	v_lshlrev_b64 v[37:38], 3, v[11:12]
	v_add_nc_u32_e32 v11, 0x60, v11
	v_add_co_u32 v37, vcc_lo, s2, v37
	v_add_co_ci_u32_e64 v38, null, s3, v38, vcc_lo
	v_cmp_ge_i32_e32 vcc_lo, v9, v14
	global_load_dwordx2 v[37:38], v[37:38], off
	s_or_b32 s10, vcc_lo, s10
	s_waitcnt vmcnt(6)
	v_fma_f64 v[7:8], v[15:16], v[19:20], v[7:8]
	v_fma_f64 v[7:8], v[17:18], v[21:22], v[7:8]
	s_waitcnt vmcnt(4)
	v_fma_f64 v[7:8], v[31:32], v[23:24], v[7:8]
	s_waitcnt vmcnt(3)
	;; [unrolled: 2-line block ×4, first 2 shown]
	v_fma_f64 v[7:8], v[37:38], v[29:30], v[7:8]
	s_andn2_b32 exec_lo, exec_lo, s10
	s_cbranch_execnz .LBB98_8
; %bb.9:
	s_or_b32 exec_lo, exec_lo, s10
.LBB98_10:
	s_or_b32 exec_lo, exec_lo, s9
	v_mbcnt_lo_u32_b32 v11, -1, 0
	v_xor_b32_e32 v9, 8, v11
	v_cmp_gt_i32_e32 vcc_lo, 32, v9
	v_cndmask_b32_e32 v9, v11, v9, vcc_lo
	v_lshlrev_b32_e32 v10, 2, v9
	ds_bpermute_b32 v9, v10, v7
	ds_bpermute_b32 v10, v10, v8
	s_waitcnt lgkmcnt(0)
	v_add_f64 v[7:8], v[7:8], v[9:10]
	v_xor_b32_e32 v9, 4, v11
	v_cmp_gt_i32_e32 vcc_lo, 32, v9
	v_cndmask_b32_e32 v9, v11, v9, vcc_lo
	v_lshlrev_b32_e32 v10, 2, v9
	ds_bpermute_b32 v9, v10, v7
	ds_bpermute_b32 v10, v10, v8
	s_waitcnt lgkmcnt(0)
	v_add_f64 v[7:8], v[7:8], v[9:10]
	;; [unrolled: 8-line block ×3, first 2 shown]
	v_xor_b32_e32 v9, 1, v11
	v_cmp_gt_i32_e32 vcc_lo, 32, v9
	v_cndmask_b32_e32 v9, v11, v9, vcc_lo
	v_cmp_eq_u32_e32 vcc_lo, 15, v0
	v_lshlrev_b32_e32 v10, 2, v9
	ds_bpermute_b32 v9, v10, v7
	ds_bpermute_b32 v10, v10, v8
	s_and_b32 exec_lo, exec_lo, vcc_lo
	s_cbranch_execz .LBB98_15
; %bb.11:
	s_waitcnt lgkmcnt(0)
	v_add_f64 v[7:8], v[7:8], v[9:10]
	v_lshlrev_b64 v[5:6], 3, v[5:6]
	s_mov_b32 s0, exec_lo
	v_mul_f64 v[3:4], v[3:4], v[7:8]
	v_cmpx_eq_f64_e32 0, v[1:2]
	s_xor_b32 s0, exec_lo, s0
	s_cbranch_execz .LBB98_13
; %bb.12:
	v_add_co_u32 v0, vcc_lo, s6, v5
	v_add_co_ci_u32_e64 v1, null, s7, v6, vcc_lo
                                        ; implicit-def: $vgpr5_vgpr6
	global_store_dwordx2 v[0:1], v[3:4], off
                                        ; implicit-def: $vgpr1_vgpr2
                                        ; implicit-def: $vgpr3_vgpr4
.LBB98_13:
	s_andn2_saveexec_b32 s0, s0
	s_cbranch_execz .LBB98_15
; %bb.14:
	v_add_co_u32 v5, vcc_lo, s6, v5
	v_add_co_ci_u32_e64 v6, null, s7, v6, vcc_lo
	global_load_dwordx2 v[7:8], v[5:6], off
	s_waitcnt vmcnt(0)
	v_fma_f64 v[0:1], v[1:2], v[7:8], v[3:4]
	global_store_dwordx2 v[5:6], v[0:1], off
.LBB98_15:
	s_endpgm
	.section	.rodata,"a",@progbits
	.p2align	6, 0x0
	.amdhsa_kernel _ZN9rocsparseL19gebsrmvn_1xn_kernelILj128ELj6ELj16EdEEvi20rocsparse_direction_NS_24const_host_device_scalarIT2_EEPKiS6_PKS3_S8_S4_PS3_21rocsparse_index_base_b
		.amdhsa_group_segment_fixed_size 0
		.amdhsa_private_segment_fixed_size 0
		.amdhsa_kernarg_size 72
		.amdhsa_user_sgpr_count 6
		.amdhsa_user_sgpr_private_segment_buffer 1
		.amdhsa_user_sgpr_dispatch_ptr 0
		.amdhsa_user_sgpr_queue_ptr 0
		.amdhsa_user_sgpr_kernarg_segment_ptr 1
		.amdhsa_user_sgpr_dispatch_id 0
		.amdhsa_user_sgpr_flat_scratch_init 0
		.amdhsa_user_sgpr_private_segment_size 0
		.amdhsa_wavefront_size32 1
		.amdhsa_uses_dynamic_stack 0
		.amdhsa_system_sgpr_private_segment_wavefront_offset 0
		.amdhsa_system_sgpr_workgroup_id_x 1
		.amdhsa_system_sgpr_workgroup_id_y 0
		.amdhsa_system_sgpr_workgroup_id_z 0
		.amdhsa_system_sgpr_workgroup_info 0
		.amdhsa_system_vgpr_workitem_id 0
		.amdhsa_next_free_vgpr 39
		.amdhsa_next_free_sgpr 11
		.amdhsa_reserve_vcc 1
		.amdhsa_reserve_flat_scratch 0
		.amdhsa_float_round_mode_32 0
		.amdhsa_float_round_mode_16_64 0
		.amdhsa_float_denorm_mode_32 3
		.amdhsa_float_denorm_mode_16_64 3
		.amdhsa_dx10_clamp 1
		.amdhsa_ieee_mode 1
		.amdhsa_fp16_overflow 0
		.amdhsa_workgroup_processor_mode 1
		.amdhsa_memory_ordered 1
		.amdhsa_forward_progress 1
		.amdhsa_shared_vgpr_count 0
		.amdhsa_exception_fp_ieee_invalid_op 0
		.amdhsa_exception_fp_denorm_src 0
		.amdhsa_exception_fp_ieee_div_zero 0
		.amdhsa_exception_fp_ieee_overflow 0
		.amdhsa_exception_fp_ieee_underflow 0
		.amdhsa_exception_fp_ieee_inexact 0
		.amdhsa_exception_int_div_zero 0
	.end_amdhsa_kernel
	.section	.text._ZN9rocsparseL19gebsrmvn_1xn_kernelILj128ELj6ELj16EdEEvi20rocsparse_direction_NS_24const_host_device_scalarIT2_EEPKiS6_PKS3_S8_S4_PS3_21rocsparse_index_base_b,"axG",@progbits,_ZN9rocsparseL19gebsrmvn_1xn_kernelILj128ELj6ELj16EdEEvi20rocsparse_direction_NS_24const_host_device_scalarIT2_EEPKiS6_PKS3_S8_S4_PS3_21rocsparse_index_base_b,comdat
.Lfunc_end98:
	.size	_ZN9rocsparseL19gebsrmvn_1xn_kernelILj128ELj6ELj16EdEEvi20rocsparse_direction_NS_24const_host_device_scalarIT2_EEPKiS6_PKS3_S8_S4_PS3_21rocsparse_index_base_b, .Lfunc_end98-_ZN9rocsparseL19gebsrmvn_1xn_kernelILj128ELj6ELj16EdEEvi20rocsparse_direction_NS_24const_host_device_scalarIT2_EEPKiS6_PKS3_S8_S4_PS3_21rocsparse_index_base_b
                                        ; -- End function
	.set _ZN9rocsparseL19gebsrmvn_1xn_kernelILj128ELj6ELj16EdEEvi20rocsparse_direction_NS_24const_host_device_scalarIT2_EEPKiS6_PKS3_S8_S4_PS3_21rocsparse_index_base_b.num_vgpr, 39
	.set _ZN9rocsparseL19gebsrmvn_1xn_kernelILj128ELj6ELj16EdEEvi20rocsparse_direction_NS_24const_host_device_scalarIT2_EEPKiS6_PKS3_S8_S4_PS3_21rocsparse_index_base_b.num_agpr, 0
	.set _ZN9rocsparseL19gebsrmvn_1xn_kernelILj128ELj6ELj16EdEEvi20rocsparse_direction_NS_24const_host_device_scalarIT2_EEPKiS6_PKS3_S8_S4_PS3_21rocsparse_index_base_b.numbered_sgpr, 11
	.set _ZN9rocsparseL19gebsrmvn_1xn_kernelILj128ELj6ELj16EdEEvi20rocsparse_direction_NS_24const_host_device_scalarIT2_EEPKiS6_PKS3_S8_S4_PS3_21rocsparse_index_base_b.num_named_barrier, 0
	.set _ZN9rocsparseL19gebsrmvn_1xn_kernelILj128ELj6ELj16EdEEvi20rocsparse_direction_NS_24const_host_device_scalarIT2_EEPKiS6_PKS3_S8_S4_PS3_21rocsparse_index_base_b.private_seg_size, 0
	.set _ZN9rocsparseL19gebsrmvn_1xn_kernelILj128ELj6ELj16EdEEvi20rocsparse_direction_NS_24const_host_device_scalarIT2_EEPKiS6_PKS3_S8_S4_PS3_21rocsparse_index_base_b.uses_vcc, 1
	.set _ZN9rocsparseL19gebsrmvn_1xn_kernelILj128ELj6ELj16EdEEvi20rocsparse_direction_NS_24const_host_device_scalarIT2_EEPKiS6_PKS3_S8_S4_PS3_21rocsparse_index_base_b.uses_flat_scratch, 0
	.set _ZN9rocsparseL19gebsrmvn_1xn_kernelILj128ELj6ELj16EdEEvi20rocsparse_direction_NS_24const_host_device_scalarIT2_EEPKiS6_PKS3_S8_S4_PS3_21rocsparse_index_base_b.has_dyn_sized_stack, 0
	.set _ZN9rocsparseL19gebsrmvn_1xn_kernelILj128ELj6ELj16EdEEvi20rocsparse_direction_NS_24const_host_device_scalarIT2_EEPKiS6_PKS3_S8_S4_PS3_21rocsparse_index_base_b.has_recursion, 0
	.set _ZN9rocsparseL19gebsrmvn_1xn_kernelILj128ELj6ELj16EdEEvi20rocsparse_direction_NS_24const_host_device_scalarIT2_EEPKiS6_PKS3_S8_S4_PS3_21rocsparse_index_base_b.has_indirect_call, 0
	.section	.AMDGPU.csdata,"",@progbits
; Kernel info:
; codeLenInByte = 1076
; TotalNumSgprs: 13
; NumVgprs: 39
; ScratchSize: 0
; MemoryBound: 0
; FloatMode: 240
; IeeeMode: 1
; LDSByteSize: 0 bytes/workgroup (compile time only)
; SGPRBlocks: 0
; VGPRBlocks: 4
; NumSGPRsForWavesPerEU: 13
; NumVGPRsForWavesPerEU: 39
; Occupancy: 16
; WaveLimiterHint : 1
; COMPUTE_PGM_RSRC2:SCRATCH_EN: 0
; COMPUTE_PGM_RSRC2:USER_SGPR: 6
; COMPUTE_PGM_RSRC2:TRAP_HANDLER: 0
; COMPUTE_PGM_RSRC2:TGID_X_EN: 1
; COMPUTE_PGM_RSRC2:TGID_Y_EN: 0
; COMPUTE_PGM_RSRC2:TGID_Z_EN: 0
; COMPUTE_PGM_RSRC2:TIDIG_COMP_CNT: 0
	.section	.text._ZN9rocsparseL19gebsrmvn_1xn_kernelILj128ELj6ELj32EdEEvi20rocsparse_direction_NS_24const_host_device_scalarIT2_EEPKiS6_PKS3_S8_S4_PS3_21rocsparse_index_base_b,"axG",@progbits,_ZN9rocsparseL19gebsrmvn_1xn_kernelILj128ELj6ELj32EdEEvi20rocsparse_direction_NS_24const_host_device_scalarIT2_EEPKiS6_PKS3_S8_S4_PS3_21rocsparse_index_base_b,comdat
	.globl	_ZN9rocsparseL19gebsrmvn_1xn_kernelILj128ELj6ELj32EdEEvi20rocsparse_direction_NS_24const_host_device_scalarIT2_EEPKiS6_PKS3_S8_S4_PS3_21rocsparse_index_base_b ; -- Begin function _ZN9rocsparseL19gebsrmvn_1xn_kernelILj128ELj6ELj32EdEEvi20rocsparse_direction_NS_24const_host_device_scalarIT2_EEPKiS6_PKS3_S8_S4_PS3_21rocsparse_index_base_b
	.p2align	8
	.type	_ZN9rocsparseL19gebsrmvn_1xn_kernelILj128ELj6ELj32EdEEvi20rocsparse_direction_NS_24const_host_device_scalarIT2_EEPKiS6_PKS3_S8_S4_PS3_21rocsparse_index_base_b,@function
_ZN9rocsparseL19gebsrmvn_1xn_kernelILj128ELj6ELj32EdEEvi20rocsparse_direction_NS_24const_host_device_scalarIT2_EEPKiS6_PKS3_S8_S4_PS3_21rocsparse_index_base_b: ; @_ZN9rocsparseL19gebsrmvn_1xn_kernelILj128ELj6ELj32EdEEvi20rocsparse_direction_NS_24const_host_device_scalarIT2_EEPKiS6_PKS3_S8_S4_PS3_21rocsparse_index_base_b
; %bb.0:
	s_clause 0x2
	s_load_dwordx2 s[8:9], s[4:5], 0x40
	s_load_dwordx2 s[2:3], s[4:5], 0x8
	;; [unrolled: 1-line block ×3, first 2 shown]
	s_waitcnt lgkmcnt(0)
	s_bitcmp1_b32 s9, 0
	v_mov_b32_e32 v4, s3
	v_mov_b32_e32 v3, s2
	s_cselect_b32 s7, -1, 0
	s_and_b32 vcc_lo, exec_lo, s7
	s_xor_b32 s7, s7, -1
	s_cbranch_vccnz .LBB99_2
; %bb.1:
	v_mov_b32_e32 v1, s2
	v_mov_b32_e32 v2, s3
	flat_load_dwordx2 v[3:4], v[1:2]
.LBB99_2:
	v_mov_b32_e32 v2, s1
	v_mov_b32_e32 v1, s0
	s_andn2_b32 vcc_lo, exec_lo, s7
	s_cbranch_vccnz .LBB99_4
; %bb.3:
	v_mov_b32_e32 v2, s1
	v_mov_b32_e32 v1, s0
	flat_load_dwordx2 v[1:2], v[1:2]
.LBB99_4:
	s_waitcnt vmcnt(0) lgkmcnt(0)
	v_cmp_neq_f64_e32 vcc_lo, 0, v[3:4]
	v_cmp_neq_f64_e64 s0, 1.0, v[1:2]
	s_or_b32 s0, vcc_lo, s0
	s_and_saveexec_b32 s1, s0
	s_cbranch_execz .LBB99_15
; %bb.5:
	s_load_dword s0, s[4:5], 0x0
	v_lshrrev_b32_e32 v5, 5, v0
	v_lshl_or_b32 v5, s6, 2, v5
	s_waitcnt lgkmcnt(0)
	v_cmp_gt_i32_e32 vcc_lo, s0, v5
	s_and_b32 exec_lo, exec_lo, vcc_lo
	s_cbranch_execz .LBB99_15
; %bb.6:
	s_clause 0x1
	s_load_dwordx2 s[0:1], s[4:5], 0x10
	s_load_dwordx2 s[6:7], s[4:5], 0x38
	v_ashrrev_i32_e32 v6, 31, v5
	v_and_b32_e32 v0, 31, v0
	s_mov_b32 s9, exec_lo
	v_lshlrev_b64 v[7:8], 2, v[5:6]
	v_subrev_nc_u32_e32 v9, s8, v0
	s_waitcnt lgkmcnt(0)
	v_add_co_u32 v7, vcc_lo, s0, v7
	v_add_co_ci_u32_e64 v8, null, s1, v8, vcc_lo
	global_load_dwordx2 v[7:8], v[7:8], off
	s_waitcnt vmcnt(0)
	v_subrev_nc_u32_e32 v14, s8, v8
	v_add_nc_u32_e32 v9, v7, v9
	v_mov_b32_e32 v7, 0
	v_mov_b32_e32 v8, 0
	v_cmpx_lt_i32_e64 v9, v14
	s_cbranch_execz .LBB99_10
; %bb.7:
	s_clause 0x1
	s_load_dwordx4 s[0:3], s[4:5], 0x18
	s_load_dwordx2 s[4:5], s[4:5], 0x28
	v_mad_u64_u32 v[11:12], null, v9, 6, 5
	v_mov_b32_e32 v7, 0
	v_mov_b32_e32 v8, 0
	;; [unrolled: 1-line block ×3, first 2 shown]
	s_mov_b32 s10, 0
.LBB99_8:                               ; =>This Inner Loop Header: Depth=1
	v_ashrrev_i32_e32 v10, 31, v9
	v_add_nc_u32_e32 v12, -5, v11
	v_mov_b32_e32 v28, v13
	v_lshlrev_b64 v[15:16], 2, v[9:10]
	v_add_nc_u32_e32 v9, 32, v9
	s_waitcnt lgkmcnt(0)
	v_add_co_u32 v15, vcc_lo, s0, v15
	v_add_co_ci_u32_e64 v16, null, s1, v16, vcc_lo
	global_load_dword v10, v[15:16], off
	v_lshlrev_b64 v[15:16], 3, v[12:13]
	v_add_nc_u32_e32 v12, -3, v11
	v_lshlrev_b64 v[23:24], 3, v[12:13]
	v_add_co_u32 v15, vcc_lo, s2, v15
	v_add_co_ci_u32_e64 v16, null, s3, v16, vcc_lo
	s_waitcnt vmcnt(0)
	v_subrev_nc_u32_e32 v10, s8, v10
	v_mul_lo_u32 v27, v10, 6
	v_lshlrev_b64 v[17:18], 3, v[27:28]
	v_add_nc_u32_e32 v12, 2, v27
	v_lshlrev_b64 v[25:26], 3, v[12:13]
	v_add_co_u32 v19, vcc_lo, s4, v17
	v_add_co_ci_u32_e64 v20, null, s5, v18, vcc_lo
	v_add_co_u32 v23, vcc_lo, s2, v23
	global_load_dwordx4 v[15:18], v[15:16], off
	global_load_dwordx4 v[19:22], v[19:20], off
	v_add_co_ci_u32_e64 v24, null, s3, v24, vcc_lo
	v_add_co_u32 v25, vcc_lo, s4, v25
	v_add_co_ci_u32_e64 v26, null, s5, v26, vcc_lo
	global_load_dwordx2 v[31:32], v[23:24], off
	global_load_dwordx4 v[23:26], v[25:26], off
	v_add_nc_u32_e32 v12, -2, v11
	v_lshlrev_b64 v[28:29], 3, v[12:13]
	v_add_nc_u32_e32 v12, -1, v11
	v_add_co_u32 v28, vcc_lo, s2, v28
	v_add_co_ci_u32_e64 v29, null, s3, v29, vcc_lo
	global_load_dwordx2 v[33:34], v[28:29], off
	v_lshlrev_b64 v[28:29], 3, v[12:13]
	v_add_nc_u32_e32 v12, 4, v27
	v_lshlrev_b64 v[35:36], 3, v[12:13]
	v_add_co_u32 v27, vcc_lo, s2, v28
	v_add_co_ci_u32_e64 v28, null, s3, v29, vcc_lo
	v_mov_b32_e32 v12, v13
	v_add_co_u32 v29, vcc_lo, s4, v35
	v_add_co_ci_u32_e64 v30, null, s5, v36, vcc_lo
	global_load_dwordx2 v[35:36], v[27:28], off
	global_load_dwordx4 v[27:30], v[29:30], off
	v_lshlrev_b64 v[37:38], 3, v[11:12]
	v_add_nc_u32_e32 v11, 0xc0, v11
	v_add_co_u32 v37, vcc_lo, s2, v37
	v_add_co_ci_u32_e64 v38, null, s3, v38, vcc_lo
	v_cmp_ge_i32_e32 vcc_lo, v9, v14
	global_load_dwordx2 v[37:38], v[37:38], off
	s_or_b32 s10, vcc_lo, s10
	s_waitcnt vmcnt(6)
	v_fma_f64 v[7:8], v[15:16], v[19:20], v[7:8]
	v_fma_f64 v[7:8], v[17:18], v[21:22], v[7:8]
	s_waitcnt vmcnt(4)
	v_fma_f64 v[7:8], v[31:32], v[23:24], v[7:8]
	s_waitcnt vmcnt(3)
	;; [unrolled: 2-line block ×4, first 2 shown]
	v_fma_f64 v[7:8], v[37:38], v[29:30], v[7:8]
	s_andn2_b32 exec_lo, exec_lo, s10
	s_cbranch_execnz .LBB99_8
; %bb.9:
	s_or_b32 exec_lo, exec_lo, s10
.LBB99_10:
	s_or_b32 exec_lo, exec_lo, s9
	v_mbcnt_lo_u32_b32 v11, -1, 0
	v_xor_b32_e32 v9, 16, v11
	v_cmp_gt_i32_e32 vcc_lo, 32, v9
	v_cndmask_b32_e32 v9, v11, v9, vcc_lo
	v_lshlrev_b32_e32 v10, 2, v9
	ds_bpermute_b32 v9, v10, v7
	ds_bpermute_b32 v10, v10, v8
	s_waitcnt lgkmcnt(0)
	v_add_f64 v[7:8], v[7:8], v[9:10]
	v_xor_b32_e32 v9, 8, v11
	v_cmp_gt_i32_e32 vcc_lo, 32, v9
	v_cndmask_b32_e32 v9, v11, v9, vcc_lo
	v_lshlrev_b32_e32 v10, 2, v9
	ds_bpermute_b32 v9, v10, v7
	ds_bpermute_b32 v10, v10, v8
	s_waitcnt lgkmcnt(0)
	v_add_f64 v[7:8], v[7:8], v[9:10]
	;; [unrolled: 8-line block ×4, first 2 shown]
	v_xor_b32_e32 v9, 1, v11
	v_cmp_gt_i32_e32 vcc_lo, 32, v9
	v_cndmask_b32_e32 v9, v11, v9, vcc_lo
	v_cmp_eq_u32_e32 vcc_lo, 31, v0
	v_lshlrev_b32_e32 v10, 2, v9
	ds_bpermute_b32 v9, v10, v7
	ds_bpermute_b32 v10, v10, v8
	s_and_b32 exec_lo, exec_lo, vcc_lo
	s_cbranch_execz .LBB99_15
; %bb.11:
	s_waitcnt lgkmcnt(0)
	v_add_f64 v[7:8], v[7:8], v[9:10]
	v_lshlrev_b64 v[5:6], 3, v[5:6]
	s_mov_b32 s0, exec_lo
	v_mul_f64 v[3:4], v[3:4], v[7:8]
	v_cmpx_eq_f64_e32 0, v[1:2]
	s_xor_b32 s0, exec_lo, s0
	s_cbranch_execz .LBB99_13
; %bb.12:
	v_add_co_u32 v0, vcc_lo, s6, v5
	v_add_co_ci_u32_e64 v1, null, s7, v6, vcc_lo
                                        ; implicit-def: $vgpr5_vgpr6
	global_store_dwordx2 v[0:1], v[3:4], off
                                        ; implicit-def: $vgpr1_vgpr2
                                        ; implicit-def: $vgpr3_vgpr4
.LBB99_13:
	s_andn2_saveexec_b32 s0, s0
	s_cbranch_execz .LBB99_15
; %bb.14:
	v_add_co_u32 v5, vcc_lo, s6, v5
	v_add_co_ci_u32_e64 v6, null, s7, v6, vcc_lo
	global_load_dwordx2 v[7:8], v[5:6], off
	s_waitcnt vmcnt(0)
	v_fma_f64 v[0:1], v[1:2], v[7:8], v[3:4]
	global_store_dwordx2 v[5:6], v[0:1], off
.LBB99_15:
	s_endpgm
	.section	.rodata,"a",@progbits
	.p2align	6, 0x0
	.amdhsa_kernel _ZN9rocsparseL19gebsrmvn_1xn_kernelILj128ELj6ELj32EdEEvi20rocsparse_direction_NS_24const_host_device_scalarIT2_EEPKiS6_PKS3_S8_S4_PS3_21rocsparse_index_base_b
		.amdhsa_group_segment_fixed_size 0
		.amdhsa_private_segment_fixed_size 0
		.amdhsa_kernarg_size 72
		.amdhsa_user_sgpr_count 6
		.amdhsa_user_sgpr_private_segment_buffer 1
		.amdhsa_user_sgpr_dispatch_ptr 0
		.amdhsa_user_sgpr_queue_ptr 0
		.amdhsa_user_sgpr_kernarg_segment_ptr 1
		.amdhsa_user_sgpr_dispatch_id 0
		.amdhsa_user_sgpr_flat_scratch_init 0
		.amdhsa_user_sgpr_private_segment_size 0
		.amdhsa_wavefront_size32 1
		.amdhsa_uses_dynamic_stack 0
		.amdhsa_system_sgpr_private_segment_wavefront_offset 0
		.amdhsa_system_sgpr_workgroup_id_x 1
		.amdhsa_system_sgpr_workgroup_id_y 0
		.amdhsa_system_sgpr_workgroup_id_z 0
		.amdhsa_system_sgpr_workgroup_info 0
		.amdhsa_system_vgpr_workitem_id 0
		.amdhsa_next_free_vgpr 39
		.amdhsa_next_free_sgpr 11
		.amdhsa_reserve_vcc 1
		.amdhsa_reserve_flat_scratch 0
		.amdhsa_float_round_mode_32 0
		.amdhsa_float_round_mode_16_64 0
		.amdhsa_float_denorm_mode_32 3
		.amdhsa_float_denorm_mode_16_64 3
		.amdhsa_dx10_clamp 1
		.amdhsa_ieee_mode 1
		.amdhsa_fp16_overflow 0
		.amdhsa_workgroup_processor_mode 1
		.amdhsa_memory_ordered 1
		.amdhsa_forward_progress 1
		.amdhsa_shared_vgpr_count 0
		.amdhsa_exception_fp_ieee_invalid_op 0
		.amdhsa_exception_fp_denorm_src 0
		.amdhsa_exception_fp_ieee_div_zero 0
		.amdhsa_exception_fp_ieee_overflow 0
		.amdhsa_exception_fp_ieee_underflow 0
		.amdhsa_exception_fp_ieee_inexact 0
		.amdhsa_exception_int_div_zero 0
	.end_amdhsa_kernel
	.section	.text._ZN9rocsparseL19gebsrmvn_1xn_kernelILj128ELj6ELj32EdEEvi20rocsparse_direction_NS_24const_host_device_scalarIT2_EEPKiS6_PKS3_S8_S4_PS3_21rocsparse_index_base_b,"axG",@progbits,_ZN9rocsparseL19gebsrmvn_1xn_kernelILj128ELj6ELj32EdEEvi20rocsparse_direction_NS_24const_host_device_scalarIT2_EEPKiS6_PKS3_S8_S4_PS3_21rocsparse_index_base_b,comdat
.Lfunc_end99:
	.size	_ZN9rocsparseL19gebsrmvn_1xn_kernelILj128ELj6ELj32EdEEvi20rocsparse_direction_NS_24const_host_device_scalarIT2_EEPKiS6_PKS3_S8_S4_PS3_21rocsparse_index_base_b, .Lfunc_end99-_ZN9rocsparseL19gebsrmvn_1xn_kernelILj128ELj6ELj32EdEEvi20rocsparse_direction_NS_24const_host_device_scalarIT2_EEPKiS6_PKS3_S8_S4_PS3_21rocsparse_index_base_b
                                        ; -- End function
	.set _ZN9rocsparseL19gebsrmvn_1xn_kernelILj128ELj6ELj32EdEEvi20rocsparse_direction_NS_24const_host_device_scalarIT2_EEPKiS6_PKS3_S8_S4_PS3_21rocsparse_index_base_b.num_vgpr, 39
	.set _ZN9rocsparseL19gebsrmvn_1xn_kernelILj128ELj6ELj32EdEEvi20rocsparse_direction_NS_24const_host_device_scalarIT2_EEPKiS6_PKS3_S8_S4_PS3_21rocsparse_index_base_b.num_agpr, 0
	.set _ZN9rocsparseL19gebsrmvn_1xn_kernelILj128ELj6ELj32EdEEvi20rocsparse_direction_NS_24const_host_device_scalarIT2_EEPKiS6_PKS3_S8_S4_PS3_21rocsparse_index_base_b.numbered_sgpr, 11
	.set _ZN9rocsparseL19gebsrmvn_1xn_kernelILj128ELj6ELj32EdEEvi20rocsparse_direction_NS_24const_host_device_scalarIT2_EEPKiS6_PKS3_S8_S4_PS3_21rocsparse_index_base_b.num_named_barrier, 0
	.set _ZN9rocsparseL19gebsrmvn_1xn_kernelILj128ELj6ELj32EdEEvi20rocsparse_direction_NS_24const_host_device_scalarIT2_EEPKiS6_PKS3_S8_S4_PS3_21rocsparse_index_base_b.private_seg_size, 0
	.set _ZN9rocsparseL19gebsrmvn_1xn_kernelILj128ELj6ELj32EdEEvi20rocsparse_direction_NS_24const_host_device_scalarIT2_EEPKiS6_PKS3_S8_S4_PS3_21rocsparse_index_base_b.uses_vcc, 1
	.set _ZN9rocsparseL19gebsrmvn_1xn_kernelILj128ELj6ELj32EdEEvi20rocsparse_direction_NS_24const_host_device_scalarIT2_EEPKiS6_PKS3_S8_S4_PS3_21rocsparse_index_base_b.uses_flat_scratch, 0
	.set _ZN9rocsparseL19gebsrmvn_1xn_kernelILj128ELj6ELj32EdEEvi20rocsparse_direction_NS_24const_host_device_scalarIT2_EEPKiS6_PKS3_S8_S4_PS3_21rocsparse_index_base_b.has_dyn_sized_stack, 0
	.set _ZN9rocsparseL19gebsrmvn_1xn_kernelILj128ELj6ELj32EdEEvi20rocsparse_direction_NS_24const_host_device_scalarIT2_EEPKiS6_PKS3_S8_S4_PS3_21rocsparse_index_base_b.has_recursion, 0
	.set _ZN9rocsparseL19gebsrmvn_1xn_kernelILj128ELj6ELj32EdEEvi20rocsparse_direction_NS_24const_host_device_scalarIT2_EEPKiS6_PKS3_S8_S4_PS3_21rocsparse_index_base_b.has_indirect_call, 0
	.section	.AMDGPU.csdata,"",@progbits
; Kernel info:
; codeLenInByte = 1120
; TotalNumSgprs: 13
; NumVgprs: 39
; ScratchSize: 0
; MemoryBound: 0
; FloatMode: 240
; IeeeMode: 1
; LDSByteSize: 0 bytes/workgroup (compile time only)
; SGPRBlocks: 0
; VGPRBlocks: 4
; NumSGPRsForWavesPerEU: 13
; NumVGPRsForWavesPerEU: 39
; Occupancy: 16
; WaveLimiterHint : 1
; COMPUTE_PGM_RSRC2:SCRATCH_EN: 0
; COMPUTE_PGM_RSRC2:USER_SGPR: 6
; COMPUTE_PGM_RSRC2:TRAP_HANDLER: 0
; COMPUTE_PGM_RSRC2:TGID_X_EN: 1
; COMPUTE_PGM_RSRC2:TGID_Y_EN: 0
; COMPUTE_PGM_RSRC2:TGID_Z_EN: 0
; COMPUTE_PGM_RSRC2:TIDIG_COMP_CNT: 0
	.section	.text._ZN9rocsparseL19gebsrmvn_1xn_kernelILj128ELj6ELj64EdEEvi20rocsparse_direction_NS_24const_host_device_scalarIT2_EEPKiS6_PKS3_S8_S4_PS3_21rocsparse_index_base_b,"axG",@progbits,_ZN9rocsparseL19gebsrmvn_1xn_kernelILj128ELj6ELj64EdEEvi20rocsparse_direction_NS_24const_host_device_scalarIT2_EEPKiS6_PKS3_S8_S4_PS3_21rocsparse_index_base_b,comdat
	.globl	_ZN9rocsparseL19gebsrmvn_1xn_kernelILj128ELj6ELj64EdEEvi20rocsparse_direction_NS_24const_host_device_scalarIT2_EEPKiS6_PKS3_S8_S4_PS3_21rocsparse_index_base_b ; -- Begin function _ZN9rocsparseL19gebsrmvn_1xn_kernelILj128ELj6ELj64EdEEvi20rocsparse_direction_NS_24const_host_device_scalarIT2_EEPKiS6_PKS3_S8_S4_PS3_21rocsparse_index_base_b
	.p2align	8
	.type	_ZN9rocsparseL19gebsrmvn_1xn_kernelILj128ELj6ELj64EdEEvi20rocsparse_direction_NS_24const_host_device_scalarIT2_EEPKiS6_PKS3_S8_S4_PS3_21rocsparse_index_base_b,@function
_ZN9rocsparseL19gebsrmvn_1xn_kernelILj128ELj6ELj64EdEEvi20rocsparse_direction_NS_24const_host_device_scalarIT2_EEPKiS6_PKS3_S8_S4_PS3_21rocsparse_index_base_b: ; @_ZN9rocsparseL19gebsrmvn_1xn_kernelILj128ELj6ELj64EdEEvi20rocsparse_direction_NS_24const_host_device_scalarIT2_EEPKiS6_PKS3_S8_S4_PS3_21rocsparse_index_base_b
; %bb.0:
	s_clause 0x2
	s_load_dwordx2 s[8:9], s[4:5], 0x40
	s_load_dwordx2 s[2:3], s[4:5], 0x8
	;; [unrolled: 1-line block ×3, first 2 shown]
	s_waitcnt lgkmcnt(0)
	s_bitcmp1_b32 s9, 0
	v_mov_b32_e32 v4, s3
	v_mov_b32_e32 v3, s2
	s_cselect_b32 s7, -1, 0
	s_and_b32 vcc_lo, exec_lo, s7
	s_xor_b32 s7, s7, -1
	s_cbranch_vccnz .LBB100_2
; %bb.1:
	v_mov_b32_e32 v1, s2
	v_mov_b32_e32 v2, s3
	flat_load_dwordx2 v[3:4], v[1:2]
.LBB100_2:
	v_mov_b32_e32 v2, s1
	v_mov_b32_e32 v1, s0
	s_andn2_b32 vcc_lo, exec_lo, s7
	s_cbranch_vccnz .LBB100_4
; %bb.3:
	v_mov_b32_e32 v2, s1
	v_mov_b32_e32 v1, s0
	flat_load_dwordx2 v[1:2], v[1:2]
.LBB100_4:
	s_waitcnt vmcnt(0) lgkmcnt(0)
	v_cmp_neq_f64_e32 vcc_lo, 0, v[3:4]
	v_cmp_neq_f64_e64 s0, 1.0, v[1:2]
	s_or_b32 s0, vcc_lo, s0
	s_and_saveexec_b32 s1, s0
	s_cbranch_execz .LBB100_15
; %bb.5:
	s_load_dword s0, s[4:5], 0x0
	v_lshrrev_b32_e32 v5, 6, v0
	v_lshl_or_b32 v5, s6, 1, v5
	s_waitcnt lgkmcnt(0)
	v_cmp_gt_i32_e32 vcc_lo, s0, v5
	s_and_b32 exec_lo, exec_lo, vcc_lo
	s_cbranch_execz .LBB100_15
; %bb.6:
	s_clause 0x1
	s_load_dwordx2 s[0:1], s[4:5], 0x10
	s_load_dwordx2 s[6:7], s[4:5], 0x38
	v_ashrrev_i32_e32 v6, 31, v5
	v_and_b32_e32 v0, 63, v0
	s_mov_b32 s9, exec_lo
	v_lshlrev_b64 v[7:8], 2, v[5:6]
	v_subrev_nc_u32_e32 v9, s8, v0
	s_waitcnt lgkmcnt(0)
	v_add_co_u32 v7, vcc_lo, s0, v7
	v_add_co_ci_u32_e64 v8, null, s1, v8, vcc_lo
	global_load_dwordx2 v[7:8], v[7:8], off
	s_waitcnt vmcnt(0)
	v_subrev_nc_u32_e32 v14, s8, v8
	v_add_nc_u32_e32 v9, v7, v9
	v_mov_b32_e32 v7, 0
	v_mov_b32_e32 v8, 0
	v_cmpx_lt_i32_e64 v9, v14
	s_cbranch_execz .LBB100_10
; %bb.7:
	s_clause 0x1
	s_load_dwordx4 s[0:3], s[4:5], 0x18
	s_load_dwordx2 s[4:5], s[4:5], 0x28
	v_mad_u64_u32 v[11:12], null, v9, 6, 5
	v_mov_b32_e32 v7, 0
	v_mov_b32_e32 v8, 0
	;; [unrolled: 1-line block ×3, first 2 shown]
	s_mov_b32 s10, 0
.LBB100_8:                              ; =>This Inner Loop Header: Depth=1
	v_ashrrev_i32_e32 v10, 31, v9
	v_add_nc_u32_e32 v12, -5, v11
	v_mov_b32_e32 v28, v13
	v_lshlrev_b64 v[15:16], 2, v[9:10]
	v_add_nc_u32_e32 v9, 64, v9
	s_waitcnt lgkmcnt(0)
	v_add_co_u32 v15, vcc_lo, s0, v15
	v_add_co_ci_u32_e64 v16, null, s1, v16, vcc_lo
	global_load_dword v10, v[15:16], off
	v_lshlrev_b64 v[15:16], 3, v[12:13]
	v_add_nc_u32_e32 v12, -3, v11
	v_lshlrev_b64 v[23:24], 3, v[12:13]
	v_add_co_u32 v15, vcc_lo, s2, v15
	v_add_co_ci_u32_e64 v16, null, s3, v16, vcc_lo
	s_waitcnt vmcnt(0)
	v_subrev_nc_u32_e32 v10, s8, v10
	v_mul_lo_u32 v27, v10, 6
	v_lshlrev_b64 v[17:18], 3, v[27:28]
	v_add_nc_u32_e32 v12, 2, v27
	v_lshlrev_b64 v[25:26], 3, v[12:13]
	v_add_co_u32 v19, vcc_lo, s4, v17
	v_add_co_ci_u32_e64 v20, null, s5, v18, vcc_lo
	v_add_co_u32 v23, vcc_lo, s2, v23
	global_load_dwordx4 v[15:18], v[15:16], off
	global_load_dwordx4 v[19:22], v[19:20], off
	v_add_co_ci_u32_e64 v24, null, s3, v24, vcc_lo
	v_add_co_u32 v25, vcc_lo, s4, v25
	v_add_co_ci_u32_e64 v26, null, s5, v26, vcc_lo
	global_load_dwordx2 v[31:32], v[23:24], off
	global_load_dwordx4 v[23:26], v[25:26], off
	v_add_nc_u32_e32 v12, -2, v11
	v_lshlrev_b64 v[28:29], 3, v[12:13]
	v_add_nc_u32_e32 v12, -1, v11
	v_add_co_u32 v28, vcc_lo, s2, v28
	v_add_co_ci_u32_e64 v29, null, s3, v29, vcc_lo
	global_load_dwordx2 v[33:34], v[28:29], off
	v_lshlrev_b64 v[28:29], 3, v[12:13]
	v_add_nc_u32_e32 v12, 4, v27
	v_lshlrev_b64 v[35:36], 3, v[12:13]
	v_add_co_u32 v27, vcc_lo, s2, v28
	v_add_co_ci_u32_e64 v28, null, s3, v29, vcc_lo
	v_mov_b32_e32 v12, v13
	v_add_co_u32 v29, vcc_lo, s4, v35
	v_add_co_ci_u32_e64 v30, null, s5, v36, vcc_lo
	global_load_dwordx2 v[35:36], v[27:28], off
	global_load_dwordx4 v[27:30], v[29:30], off
	v_lshlrev_b64 v[37:38], 3, v[11:12]
	v_add_nc_u32_e32 v11, 0x180, v11
	v_add_co_u32 v37, vcc_lo, s2, v37
	v_add_co_ci_u32_e64 v38, null, s3, v38, vcc_lo
	v_cmp_ge_i32_e32 vcc_lo, v9, v14
	global_load_dwordx2 v[37:38], v[37:38], off
	s_or_b32 s10, vcc_lo, s10
	s_waitcnt vmcnt(6)
	v_fma_f64 v[7:8], v[15:16], v[19:20], v[7:8]
	v_fma_f64 v[7:8], v[17:18], v[21:22], v[7:8]
	s_waitcnt vmcnt(4)
	v_fma_f64 v[7:8], v[31:32], v[23:24], v[7:8]
	s_waitcnt vmcnt(3)
	;; [unrolled: 2-line block ×4, first 2 shown]
	v_fma_f64 v[7:8], v[37:38], v[29:30], v[7:8]
	s_andn2_b32 exec_lo, exec_lo, s10
	s_cbranch_execnz .LBB100_8
; %bb.9:
	s_or_b32 exec_lo, exec_lo, s10
.LBB100_10:
	s_or_b32 exec_lo, exec_lo, s9
	v_mbcnt_lo_u32_b32 v11, -1, 0
	v_or_b32_e32 v9, 32, v11
	v_cmp_gt_i32_e32 vcc_lo, 32, v9
	v_cndmask_b32_e32 v9, v11, v9, vcc_lo
	v_lshlrev_b32_e32 v10, 2, v9
	ds_bpermute_b32 v9, v10, v7
	ds_bpermute_b32 v10, v10, v8
	s_waitcnt lgkmcnt(0)
	v_add_f64 v[7:8], v[7:8], v[9:10]
	v_xor_b32_e32 v9, 16, v11
	v_cmp_gt_i32_e32 vcc_lo, 32, v9
	v_cndmask_b32_e32 v9, v11, v9, vcc_lo
	v_lshlrev_b32_e32 v10, 2, v9
	ds_bpermute_b32 v9, v10, v7
	ds_bpermute_b32 v10, v10, v8
	s_waitcnt lgkmcnt(0)
	v_add_f64 v[7:8], v[7:8], v[9:10]
	v_xor_b32_e32 v9, 8, v11
	;; [unrolled: 8-line block ×5, first 2 shown]
	v_cmp_gt_i32_e32 vcc_lo, 32, v9
	v_cndmask_b32_e32 v9, v11, v9, vcc_lo
	v_cmp_eq_u32_e32 vcc_lo, 63, v0
	v_lshlrev_b32_e32 v10, 2, v9
	ds_bpermute_b32 v9, v10, v7
	ds_bpermute_b32 v10, v10, v8
	s_and_b32 exec_lo, exec_lo, vcc_lo
	s_cbranch_execz .LBB100_15
; %bb.11:
	s_waitcnt lgkmcnt(0)
	v_add_f64 v[7:8], v[7:8], v[9:10]
	v_lshlrev_b64 v[5:6], 3, v[5:6]
	s_mov_b32 s0, exec_lo
	v_mul_f64 v[3:4], v[3:4], v[7:8]
	v_cmpx_eq_f64_e32 0, v[1:2]
	s_xor_b32 s0, exec_lo, s0
	s_cbranch_execz .LBB100_13
; %bb.12:
	v_add_co_u32 v0, vcc_lo, s6, v5
	v_add_co_ci_u32_e64 v1, null, s7, v6, vcc_lo
                                        ; implicit-def: $vgpr5_vgpr6
	global_store_dwordx2 v[0:1], v[3:4], off
                                        ; implicit-def: $vgpr1_vgpr2
                                        ; implicit-def: $vgpr3_vgpr4
.LBB100_13:
	s_andn2_saveexec_b32 s0, s0
	s_cbranch_execz .LBB100_15
; %bb.14:
	v_add_co_u32 v5, vcc_lo, s6, v5
	v_add_co_ci_u32_e64 v6, null, s7, v6, vcc_lo
	global_load_dwordx2 v[7:8], v[5:6], off
	s_waitcnt vmcnt(0)
	v_fma_f64 v[0:1], v[1:2], v[7:8], v[3:4]
	global_store_dwordx2 v[5:6], v[0:1], off
.LBB100_15:
	s_endpgm
	.section	.rodata,"a",@progbits
	.p2align	6, 0x0
	.amdhsa_kernel _ZN9rocsparseL19gebsrmvn_1xn_kernelILj128ELj6ELj64EdEEvi20rocsparse_direction_NS_24const_host_device_scalarIT2_EEPKiS6_PKS3_S8_S4_PS3_21rocsparse_index_base_b
		.amdhsa_group_segment_fixed_size 0
		.amdhsa_private_segment_fixed_size 0
		.amdhsa_kernarg_size 72
		.amdhsa_user_sgpr_count 6
		.amdhsa_user_sgpr_private_segment_buffer 1
		.amdhsa_user_sgpr_dispatch_ptr 0
		.amdhsa_user_sgpr_queue_ptr 0
		.amdhsa_user_sgpr_kernarg_segment_ptr 1
		.amdhsa_user_sgpr_dispatch_id 0
		.amdhsa_user_sgpr_flat_scratch_init 0
		.amdhsa_user_sgpr_private_segment_size 0
		.amdhsa_wavefront_size32 1
		.amdhsa_uses_dynamic_stack 0
		.amdhsa_system_sgpr_private_segment_wavefront_offset 0
		.amdhsa_system_sgpr_workgroup_id_x 1
		.amdhsa_system_sgpr_workgroup_id_y 0
		.amdhsa_system_sgpr_workgroup_id_z 0
		.amdhsa_system_sgpr_workgroup_info 0
		.amdhsa_system_vgpr_workitem_id 0
		.amdhsa_next_free_vgpr 39
		.amdhsa_next_free_sgpr 11
		.amdhsa_reserve_vcc 1
		.amdhsa_reserve_flat_scratch 0
		.amdhsa_float_round_mode_32 0
		.amdhsa_float_round_mode_16_64 0
		.amdhsa_float_denorm_mode_32 3
		.amdhsa_float_denorm_mode_16_64 3
		.amdhsa_dx10_clamp 1
		.amdhsa_ieee_mode 1
		.amdhsa_fp16_overflow 0
		.amdhsa_workgroup_processor_mode 1
		.amdhsa_memory_ordered 1
		.amdhsa_forward_progress 1
		.amdhsa_shared_vgpr_count 0
		.amdhsa_exception_fp_ieee_invalid_op 0
		.amdhsa_exception_fp_denorm_src 0
		.amdhsa_exception_fp_ieee_div_zero 0
		.amdhsa_exception_fp_ieee_overflow 0
		.amdhsa_exception_fp_ieee_underflow 0
		.amdhsa_exception_fp_ieee_inexact 0
		.amdhsa_exception_int_div_zero 0
	.end_amdhsa_kernel
	.section	.text._ZN9rocsparseL19gebsrmvn_1xn_kernelILj128ELj6ELj64EdEEvi20rocsparse_direction_NS_24const_host_device_scalarIT2_EEPKiS6_PKS3_S8_S4_PS3_21rocsparse_index_base_b,"axG",@progbits,_ZN9rocsparseL19gebsrmvn_1xn_kernelILj128ELj6ELj64EdEEvi20rocsparse_direction_NS_24const_host_device_scalarIT2_EEPKiS6_PKS3_S8_S4_PS3_21rocsparse_index_base_b,comdat
.Lfunc_end100:
	.size	_ZN9rocsparseL19gebsrmvn_1xn_kernelILj128ELj6ELj64EdEEvi20rocsparse_direction_NS_24const_host_device_scalarIT2_EEPKiS6_PKS3_S8_S4_PS3_21rocsparse_index_base_b, .Lfunc_end100-_ZN9rocsparseL19gebsrmvn_1xn_kernelILj128ELj6ELj64EdEEvi20rocsparse_direction_NS_24const_host_device_scalarIT2_EEPKiS6_PKS3_S8_S4_PS3_21rocsparse_index_base_b
                                        ; -- End function
	.set _ZN9rocsparseL19gebsrmvn_1xn_kernelILj128ELj6ELj64EdEEvi20rocsparse_direction_NS_24const_host_device_scalarIT2_EEPKiS6_PKS3_S8_S4_PS3_21rocsparse_index_base_b.num_vgpr, 39
	.set _ZN9rocsparseL19gebsrmvn_1xn_kernelILj128ELj6ELj64EdEEvi20rocsparse_direction_NS_24const_host_device_scalarIT2_EEPKiS6_PKS3_S8_S4_PS3_21rocsparse_index_base_b.num_agpr, 0
	.set _ZN9rocsparseL19gebsrmvn_1xn_kernelILj128ELj6ELj64EdEEvi20rocsparse_direction_NS_24const_host_device_scalarIT2_EEPKiS6_PKS3_S8_S4_PS3_21rocsparse_index_base_b.numbered_sgpr, 11
	.set _ZN9rocsparseL19gebsrmvn_1xn_kernelILj128ELj6ELj64EdEEvi20rocsparse_direction_NS_24const_host_device_scalarIT2_EEPKiS6_PKS3_S8_S4_PS3_21rocsparse_index_base_b.num_named_barrier, 0
	.set _ZN9rocsparseL19gebsrmvn_1xn_kernelILj128ELj6ELj64EdEEvi20rocsparse_direction_NS_24const_host_device_scalarIT2_EEPKiS6_PKS3_S8_S4_PS3_21rocsparse_index_base_b.private_seg_size, 0
	.set _ZN9rocsparseL19gebsrmvn_1xn_kernelILj128ELj6ELj64EdEEvi20rocsparse_direction_NS_24const_host_device_scalarIT2_EEPKiS6_PKS3_S8_S4_PS3_21rocsparse_index_base_b.uses_vcc, 1
	.set _ZN9rocsparseL19gebsrmvn_1xn_kernelILj128ELj6ELj64EdEEvi20rocsparse_direction_NS_24const_host_device_scalarIT2_EEPKiS6_PKS3_S8_S4_PS3_21rocsparse_index_base_b.uses_flat_scratch, 0
	.set _ZN9rocsparseL19gebsrmvn_1xn_kernelILj128ELj6ELj64EdEEvi20rocsparse_direction_NS_24const_host_device_scalarIT2_EEPKiS6_PKS3_S8_S4_PS3_21rocsparse_index_base_b.has_dyn_sized_stack, 0
	.set _ZN9rocsparseL19gebsrmvn_1xn_kernelILj128ELj6ELj64EdEEvi20rocsparse_direction_NS_24const_host_device_scalarIT2_EEPKiS6_PKS3_S8_S4_PS3_21rocsparse_index_base_b.has_recursion, 0
	.set _ZN9rocsparseL19gebsrmvn_1xn_kernelILj128ELj6ELj64EdEEvi20rocsparse_direction_NS_24const_host_device_scalarIT2_EEPKiS6_PKS3_S8_S4_PS3_21rocsparse_index_base_b.has_indirect_call, 0
	.section	.AMDGPU.csdata,"",@progbits
; Kernel info:
; codeLenInByte = 1164
; TotalNumSgprs: 13
; NumVgprs: 39
; ScratchSize: 0
; MemoryBound: 0
; FloatMode: 240
; IeeeMode: 1
; LDSByteSize: 0 bytes/workgroup (compile time only)
; SGPRBlocks: 0
; VGPRBlocks: 4
; NumSGPRsForWavesPerEU: 13
; NumVGPRsForWavesPerEU: 39
; Occupancy: 16
; WaveLimiterHint : 1
; COMPUTE_PGM_RSRC2:SCRATCH_EN: 0
; COMPUTE_PGM_RSRC2:USER_SGPR: 6
; COMPUTE_PGM_RSRC2:TRAP_HANDLER: 0
; COMPUTE_PGM_RSRC2:TGID_X_EN: 1
; COMPUTE_PGM_RSRC2:TGID_Y_EN: 0
; COMPUTE_PGM_RSRC2:TGID_Z_EN: 0
; COMPUTE_PGM_RSRC2:TIDIG_COMP_CNT: 0
	.section	.text._ZN9rocsparseL19gebsrmvn_1xn_kernelILj128ELj7ELj4EdEEvi20rocsparse_direction_NS_24const_host_device_scalarIT2_EEPKiS6_PKS3_S8_S4_PS3_21rocsparse_index_base_b,"axG",@progbits,_ZN9rocsparseL19gebsrmvn_1xn_kernelILj128ELj7ELj4EdEEvi20rocsparse_direction_NS_24const_host_device_scalarIT2_EEPKiS6_PKS3_S8_S4_PS3_21rocsparse_index_base_b,comdat
	.globl	_ZN9rocsparseL19gebsrmvn_1xn_kernelILj128ELj7ELj4EdEEvi20rocsparse_direction_NS_24const_host_device_scalarIT2_EEPKiS6_PKS3_S8_S4_PS3_21rocsparse_index_base_b ; -- Begin function _ZN9rocsparseL19gebsrmvn_1xn_kernelILj128ELj7ELj4EdEEvi20rocsparse_direction_NS_24const_host_device_scalarIT2_EEPKiS6_PKS3_S8_S4_PS3_21rocsparse_index_base_b
	.p2align	8
	.type	_ZN9rocsparseL19gebsrmvn_1xn_kernelILj128ELj7ELj4EdEEvi20rocsparse_direction_NS_24const_host_device_scalarIT2_EEPKiS6_PKS3_S8_S4_PS3_21rocsparse_index_base_b,@function
_ZN9rocsparseL19gebsrmvn_1xn_kernelILj128ELj7ELj4EdEEvi20rocsparse_direction_NS_24const_host_device_scalarIT2_EEPKiS6_PKS3_S8_S4_PS3_21rocsparse_index_base_b: ; @_ZN9rocsparseL19gebsrmvn_1xn_kernelILj128ELj7ELj4EdEEvi20rocsparse_direction_NS_24const_host_device_scalarIT2_EEPKiS6_PKS3_S8_S4_PS3_21rocsparse_index_base_b
; %bb.0:
	s_clause 0x2
	s_load_dwordx2 s[12:13], s[4:5], 0x40
	s_load_dwordx2 s[2:3], s[4:5], 0x8
	;; [unrolled: 1-line block ×3, first 2 shown]
	s_waitcnt lgkmcnt(0)
	s_bitcmp1_b32 s13, 0
	v_mov_b32_e32 v4, s3
	v_mov_b32_e32 v3, s2
	s_cselect_b32 s7, -1, 0
	s_and_b32 vcc_lo, exec_lo, s7
	s_xor_b32 s7, s7, -1
	s_cbranch_vccnz .LBB101_2
; %bb.1:
	v_mov_b32_e32 v1, s2
	v_mov_b32_e32 v2, s3
	flat_load_dwordx2 v[3:4], v[1:2]
.LBB101_2:
	v_mov_b32_e32 v2, s1
	v_mov_b32_e32 v1, s0
	s_andn2_b32 vcc_lo, exec_lo, s7
	s_cbranch_vccnz .LBB101_4
; %bb.3:
	v_mov_b32_e32 v2, s1
	v_mov_b32_e32 v1, s0
	flat_load_dwordx2 v[1:2], v[1:2]
.LBB101_4:
	s_waitcnt vmcnt(0) lgkmcnt(0)
	v_cmp_neq_f64_e32 vcc_lo, 0, v[3:4]
	v_cmp_neq_f64_e64 s0, 1.0, v[1:2]
	s_or_b32 s0, vcc_lo, s0
	s_and_saveexec_b32 s1, s0
	s_cbranch_execz .LBB101_15
; %bb.5:
	s_load_dword s0, s[4:5], 0x0
	v_lshrrev_b32_e32 v5, 2, v0
	v_lshl_or_b32 v5, s6, 5, v5
	s_waitcnt lgkmcnt(0)
	v_cmp_gt_i32_e32 vcc_lo, s0, v5
	s_and_b32 exec_lo, exec_lo, vcc_lo
	s_cbranch_execz .LBB101_15
; %bb.6:
	s_clause 0x1
	s_load_dwordx2 s[0:1], s[4:5], 0x10
	s_load_dwordx2 s[2:3], s[4:5], 0x38
	v_ashrrev_i32_e32 v6, 31, v5
	v_and_b32_e32 v0, 3, v0
	v_lshlrev_b64 v[7:8], 2, v[5:6]
	v_subrev_nc_u32_e32 v9, s12, v0
	s_waitcnt lgkmcnt(0)
	v_add_co_u32 v7, vcc_lo, s0, v7
	v_add_co_ci_u32_e64 v8, null, s1, v8, vcc_lo
	s_mov_b32 s1, exec_lo
	global_load_dwordx2 v[7:8], v[7:8], off
	s_waitcnt vmcnt(0)
	v_subrev_nc_u32_e32 v14, s12, v8
	v_add_nc_u32_e32 v9, v7, v9
	v_mov_b32_e32 v7, 0
	v_mov_b32_e32 v8, 0
	v_cmpx_lt_i32_e64 v9, v14
	s_cbranch_execz .LBB101_10
; %bb.7:
	s_clause 0x1
	s_load_dwordx4 s[8:11], s[4:5], 0x18
	s_load_dwordx2 s[4:5], s[4:5], 0x28
	v_mad_u64_u32 v[11:12], null, v9, 7, 6
	v_mov_b32_e32 v7, 0
	v_mov_b32_e32 v8, 0
	;; [unrolled: 1-line block ×3, first 2 shown]
	s_mov_b32 s6, 0
.LBB101_8:                              ; =>This Inner Loop Header: Depth=1
	v_ashrrev_i32_e32 v10, 31, v9
	v_add_nc_u32_e32 v12, -6, v11
	v_lshlrev_b64 v[15:16], 2, v[9:10]
	v_lshlrev_b64 v[17:18], 3, v[12:13]
	v_add_nc_u32_e32 v12, -5, v11
	v_add_nc_u32_e32 v9, 4, v9
	s_waitcnt lgkmcnt(0)
	v_add_co_u32 v15, vcc_lo, s8, v15
	v_add_co_ci_u32_e64 v16, null, s9, v16, vcc_lo
	v_lshlrev_b64 v[19:20], 3, v[12:13]
	v_add_co_u32 v17, vcc_lo, s10, v17
	global_load_dword v10, v[15:16], off
	v_mov_b32_e32 v16, v13
	v_add_co_ci_u32_e64 v18, null, s11, v18, vcc_lo
	v_add_co_u32 v19, vcc_lo, s10, v19
	v_add_co_ci_u32_e64 v20, null, s11, v20, vcc_lo
	s_waitcnt vmcnt(0)
	v_subrev_nc_u32_e32 v10, s12, v10
	v_mul_lo_u32 v15, v10, 7
	v_lshlrev_b64 v[21:22], 3, v[15:16]
	v_add_nc_u32_e32 v12, 1, v15
	v_add_co_u32 v21, s0, s4, v21
	v_add_co_ci_u32_e64 v22, null, s5, v22, s0
	s_clause 0x1
	global_load_dwordx2 v[16:17], v[17:18], off
	global_load_dwordx2 v[18:19], v[19:20], off
	;; [unrolled: 1-line block ×3, first 2 shown]
	v_lshlrev_b64 v[22:23], 3, v[12:13]
	v_add_nc_u32_e32 v12, -4, v11
	v_lshlrev_b64 v[24:25], 3, v[12:13]
	v_add_co_u32 v22, vcc_lo, s4, v22
	v_add_co_ci_u32_e64 v23, null, s5, v23, vcc_lo
	v_add_nc_u32_e32 v12, 2, v15
	v_add_co_u32 v24, vcc_lo, s10, v24
	global_load_dwordx2 v[22:23], v[22:23], off
	v_add_co_ci_u32_e64 v25, null, s11, v25, vcc_lo
	v_lshlrev_b64 v[26:27], 3, v[12:13]
	v_add_nc_u32_e32 v12, -3, v11
	v_add_co_u32 v26, vcc_lo, s4, v26
	v_add_co_ci_u32_e64 v27, null, s5, v27, vcc_lo
	global_load_dwordx2 v[24:25], v[24:25], off
	global_load_dwordx2 v[26:27], v[26:27], off
	v_lshlrev_b64 v[28:29], 3, v[12:13]
	v_add_nc_u32_e32 v12, 3, v15
	v_lshlrev_b64 v[30:31], 3, v[12:13]
	v_add_co_u32 v28, vcc_lo, s10, v28
	v_add_co_ci_u32_e64 v29, null, s11, v29, vcc_lo
	v_add_nc_u32_e32 v12, -2, v11
	v_add_co_u32 v30, vcc_lo, s4, v30
	v_add_co_ci_u32_e64 v31, null, s5, v31, vcc_lo
	global_load_dwordx2 v[28:29], v[28:29], off
	global_load_dwordx2 v[30:31], v[30:31], off
	v_lshlrev_b64 v[32:33], 3, v[12:13]
	v_add_nc_u32_e32 v12, 4, v15
	v_lshlrev_b64 v[34:35], 3, v[12:13]
	v_add_co_u32 v32, vcc_lo, s10, v32
	v_add_co_ci_u32_e64 v33, null, s11, v33, vcc_lo
	;; [unrolled: 10-line block ×3, first 2 shown]
	v_mov_b32_e32 v12, v13
	v_add_co_u32 v38, vcc_lo, s4, v38
	v_add_co_ci_u32_e64 v39, null, s5, v39, vcc_lo
	global_load_dwordx2 v[36:37], v[36:37], off
	global_load_dwordx2 v[38:39], v[38:39], off
	v_lshlrev_b64 v[40:41], 3, v[11:12]
	v_add_nc_u32_e32 v12, 6, v15
	v_add_nc_u32_e32 v11, 28, v11
	v_lshlrev_b64 v[42:43], 3, v[12:13]
	v_add_co_u32 v40, vcc_lo, s10, v40
	v_add_co_ci_u32_e64 v41, null, s11, v41, vcc_lo
	v_add_co_u32 v42, vcc_lo, s4, v42
	v_add_co_ci_u32_e64 v43, null, s5, v43, vcc_lo
	global_load_dwordx2 v[40:41], v[40:41], off
	global_load_dwordx2 v[42:43], v[42:43], off
	v_cmp_ge_i32_e32 vcc_lo, v9, v14
	s_or_b32 s6, vcc_lo, s6
	s_waitcnt vmcnt(11)
	v_fma_f64 v[7:8], v[16:17], v[20:21], v[7:8]
	s_waitcnt vmcnt(10)
	v_fma_f64 v[7:8], v[18:19], v[22:23], v[7:8]
	s_waitcnt vmcnt(8)
	v_fma_f64 v[7:8], v[24:25], v[26:27], v[7:8]
	s_waitcnt vmcnt(6)
	v_fma_f64 v[7:8], v[28:29], v[30:31], v[7:8]
	s_waitcnt vmcnt(4)
	v_fma_f64 v[7:8], v[32:33], v[34:35], v[7:8]
	s_waitcnt vmcnt(2)
	v_fma_f64 v[7:8], v[36:37], v[38:39], v[7:8]
	s_waitcnt vmcnt(0)
	v_fma_f64 v[7:8], v[40:41], v[42:43], v[7:8]
	s_andn2_b32 exec_lo, exec_lo, s6
	s_cbranch_execnz .LBB101_8
; %bb.9:
	s_or_b32 exec_lo, exec_lo, s6
.LBB101_10:
	s_or_b32 exec_lo, exec_lo, s1
	v_mbcnt_lo_u32_b32 v11, -1, 0
	v_xor_b32_e32 v9, 2, v11
	v_cmp_gt_i32_e32 vcc_lo, 32, v9
	v_cndmask_b32_e32 v9, v11, v9, vcc_lo
	v_lshlrev_b32_e32 v10, 2, v9
	ds_bpermute_b32 v9, v10, v7
	ds_bpermute_b32 v10, v10, v8
	s_waitcnt lgkmcnt(0)
	v_add_f64 v[7:8], v[7:8], v[9:10]
	v_xor_b32_e32 v9, 1, v11
	v_cmp_gt_i32_e32 vcc_lo, 32, v9
	v_cndmask_b32_e32 v9, v11, v9, vcc_lo
	v_cmp_eq_u32_e32 vcc_lo, 3, v0
	v_lshlrev_b32_e32 v10, 2, v9
	ds_bpermute_b32 v9, v10, v7
	ds_bpermute_b32 v10, v10, v8
	s_and_b32 exec_lo, exec_lo, vcc_lo
	s_cbranch_execz .LBB101_15
; %bb.11:
	s_waitcnt lgkmcnt(0)
	v_add_f64 v[7:8], v[7:8], v[9:10]
	v_lshlrev_b64 v[5:6], 3, v[5:6]
	s_mov_b32 s0, exec_lo
	v_mul_f64 v[3:4], v[3:4], v[7:8]
	v_cmpx_eq_f64_e32 0, v[1:2]
	s_xor_b32 s0, exec_lo, s0
	s_cbranch_execz .LBB101_13
; %bb.12:
	v_add_co_u32 v0, vcc_lo, s2, v5
	v_add_co_ci_u32_e64 v1, null, s3, v6, vcc_lo
                                        ; implicit-def: $vgpr5_vgpr6
	global_store_dwordx2 v[0:1], v[3:4], off
                                        ; implicit-def: $vgpr1_vgpr2
                                        ; implicit-def: $vgpr3_vgpr4
.LBB101_13:
	s_andn2_saveexec_b32 s0, s0
	s_cbranch_execz .LBB101_15
; %bb.14:
	v_add_co_u32 v5, vcc_lo, s2, v5
	v_add_co_ci_u32_e64 v6, null, s3, v6, vcc_lo
	global_load_dwordx2 v[7:8], v[5:6], off
	s_waitcnt vmcnt(0)
	v_fma_f64 v[0:1], v[1:2], v[7:8], v[3:4]
	global_store_dwordx2 v[5:6], v[0:1], off
.LBB101_15:
	s_endpgm
	.section	.rodata,"a",@progbits
	.p2align	6, 0x0
	.amdhsa_kernel _ZN9rocsparseL19gebsrmvn_1xn_kernelILj128ELj7ELj4EdEEvi20rocsparse_direction_NS_24const_host_device_scalarIT2_EEPKiS6_PKS3_S8_S4_PS3_21rocsparse_index_base_b
		.amdhsa_group_segment_fixed_size 0
		.amdhsa_private_segment_fixed_size 0
		.amdhsa_kernarg_size 72
		.amdhsa_user_sgpr_count 6
		.amdhsa_user_sgpr_private_segment_buffer 1
		.amdhsa_user_sgpr_dispatch_ptr 0
		.amdhsa_user_sgpr_queue_ptr 0
		.amdhsa_user_sgpr_kernarg_segment_ptr 1
		.amdhsa_user_sgpr_dispatch_id 0
		.amdhsa_user_sgpr_flat_scratch_init 0
		.amdhsa_user_sgpr_private_segment_size 0
		.amdhsa_wavefront_size32 1
		.amdhsa_uses_dynamic_stack 0
		.amdhsa_system_sgpr_private_segment_wavefront_offset 0
		.amdhsa_system_sgpr_workgroup_id_x 1
		.amdhsa_system_sgpr_workgroup_id_y 0
		.amdhsa_system_sgpr_workgroup_id_z 0
		.amdhsa_system_sgpr_workgroup_info 0
		.amdhsa_system_vgpr_workitem_id 0
		.amdhsa_next_free_vgpr 44
		.amdhsa_next_free_sgpr 14
		.amdhsa_reserve_vcc 1
		.amdhsa_reserve_flat_scratch 0
		.amdhsa_float_round_mode_32 0
		.amdhsa_float_round_mode_16_64 0
		.amdhsa_float_denorm_mode_32 3
		.amdhsa_float_denorm_mode_16_64 3
		.amdhsa_dx10_clamp 1
		.amdhsa_ieee_mode 1
		.amdhsa_fp16_overflow 0
		.amdhsa_workgroup_processor_mode 1
		.amdhsa_memory_ordered 1
		.amdhsa_forward_progress 1
		.amdhsa_shared_vgpr_count 0
		.amdhsa_exception_fp_ieee_invalid_op 0
		.amdhsa_exception_fp_denorm_src 0
		.amdhsa_exception_fp_ieee_div_zero 0
		.amdhsa_exception_fp_ieee_overflow 0
		.amdhsa_exception_fp_ieee_underflow 0
		.amdhsa_exception_fp_ieee_inexact 0
		.amdhsa_exception_int_div_zero 0
	.end_amdhsa_kernel
	.section	.text._ZN9rocsparseL19gebsrmvn_1xn_kernelILj128ELj7ELj4EdEEvi20rocsparse_direction_NS_24const_host_device_scalarIT2_EEPKiS6_PKS3_S8_S4_PS3_21rocsparse_index_base_b,"axG",@progbits,_ZN9rocsparseL19gebsrmvn_1xn_kernelILj128ELj7ELj4EdEEvi20rocsparse_direction_NS_24const_host_device_scalarIT2_EEPKiS6_PKS3_S8_S4_PS3_21rocsparse_index_base_b,comdat
.Lfunc_end101:
	.size	_ZN9rocsparseL19gebsrmvn_1xn_kernelILj128ELj7ELj4EdEEvi20rocsparse_direction_NS_24const_host_device_scalarIT2_EEPKiS6_PKS3_S8_S4_PS3_21rocsparse_index_base_b, .Lfunc_end101-_ZN9rocsparseL19gebsrmvn_1xn_kernelILj128ELj7ELj4EdEEvi20rocsparse_direction_NS_24const_host_device_scalarIT2_EEPKiS6_PKS3_S8_S4_PS3_21rocsparse_index_base_b
                                        ; -- End function
	.set _ZN9rocsparseL19gebsrmvn_1xn_kernelILj128ELj7ELj4EdEEvi20rocsparse_direction_NS_24const_host_device_scalarIT2_EEPKiS6_PKS3_S8_S4_PS3_21rocsparse_index_base_b.num_vgpr, 44
	.set _ZN9rocsparseL19gebsrmvn_1xn_kernelILj128ELj7ELj4EdEEvi20rocsparse_direction_NS_24const_host_device_scalarIT2_EEPKiS6_PKS3_S8_S4_PS3_21rocsparse_index_base_b.num_agpr, 0
	.set _ZN9rocsparseL19gebsrmvn_1xn_kernelILj128ELj7ELj4EdEEvi20rocsparse_direction_NS_24const_host_device_scalarIT2_EEPKiS6_PKS3_S8_S4_PS3_21rocsparse_index_base_b.numbered_sgpr, 14
	.set _ZN9rocsparseL19gebsrmvn_1xn_kernelILj128ELj7ELj4EdEEvi20rocsparse_direction_NS_24const_host_device_scalarIT2_EEPKiS6_PKS3_S8_S4_PS3_21rocsparse_index_base_b.num_named_barrier, 0
	.set _ZN9rocsparseL19gebsrmvn_1xn_kernelILj128ELj7ELj4EdEEvi20rocsparse_direction_NS_24const_host_device_scalarIT2_EEPKiS6_PKS3_S8_S4_PS3_21rocsparse_index_base_b.private_seg_size, 0
	.set _ZN9rocsparseL19gebsrmvn_1xn_kernelILj128ELj7ELj4EdEEvi20rocsparse_direction_NS_24const_host_device_scalarIT2_EEPKiS6_PKS3_S8_S4_PS3_21rocsparse_index_base_b.uses_vcc, 1
	.set _ZN9rocsparseL19gebsrmvn_1xn_kernelILj128ELj7ELj4EdEEvi20rocsparse_direction_NS_24const_host_device_scalarIT2_EEPKiS6_PKS3_S8_S4_PS3_21rocsparse_index_base_b.uses_flat_scratch, 0
	.set _ZN9rocsparseL19gebsrmvn_1xn_kernelILj128ELj7ELj4EdEEvi20rocsparse_direction_NS_24const_host_device_scalarIT2_EEPKiS6_PKS3_S8_S4_PS3_21rocsparse_index_base_b.has_dyn_sized_stack, 0
	.set _ZN9rocsparseL19gebsrmvn_1xn_kernelILj128ELj7ELj4EdEEvi20rocsparse_direction_NS_24const_host_device_scalarIT2_EEPKiS6_PKS3_S8_S4_PS3_21rocsparse_index_base_b.has_recursion, 0
	.set _ZN9rocsparseL19gebsrmvn_1xn_kernelILj128ELj7ELj4EdEEvi20rocsparse_direction_NS_24const_host_device_scalarIT2_EEPKiS6_PKS3_S8_S4_PS3_21rocsparse_index_base_b.has_indirect_call, 0
	.section	.AMDGPU.csdata,"",@progbits
; Kernel info:
; codeLenInByte = 1220
; TotalNumSgprs: 16
; NumVgprs: 44
; ScratchSize: 0
; MemoryBound: 0
; FloatMode: 240
; IeeeMode: 1
; LDSByteSize: 0 bytes/workgroup (compile time only)
; SGPRBlocks: 0
; VGPRBlocks: 5
; NumSGPRsForWavesPerEU: 16
; NumVGPRsForWavesPerEU: 44
; Occupancy: 16
; WaveLimiterHint : 1
; COMPUTE_PGM_RSRC2:SCRATCH_EN: 0
; COMPUTE_PGM_RSRC2:USER_SGPR: 6
; COMPUTE_PGM_RSRC2:TRAP_HANDLER: 0
; COMPUTE_PGM_RSRC2:TGID_X_EN: 1
; COMPUTE_PGM_RSRC2:TGID_Y_EN: 0
; COMPUTE_PGM_RSRC2:TGID_Z_EN: 0
; COMPUTE_PGM_RSRC2:TIDIG_COMP_CNT: 0
	.section	.text._ZN9rocsparseL19gebsrmvn_1xn_kernelILj128ELj7ELj8EdEEvi20rocsparse_direction_NS_24const_host_device_scalarIT2_EEPKiS6_PKS3_S8_S4_PS3_21rocsparse_index_base_b,"axG",@progbits,_ZN9rocsparseL19gebsrmvn_1xn_kernelILj128ELj7ELj8EdEEvi20rocsparse_direction_NS_24const_host_device_scalarIT2_EEPKiS6_PKS3_S8_S4_PS3_21rocsparse_index_base_b,comdat
	.globl	_ZN9rocsparseL19gebsrmvn_1xn_kernelILj128ELj7ELj8EdEEvi20rocsparse_direction_NS_24const_host_device_scalarIT2_EEPKiS6_PKS3_S8_S4_PS3_21rocsparse_index_base_b ; -- Begin function _ZN9rocsparseL19gebsrmvn_1xn_kernelILj128ELj7ELj8EdEEvi20rocsparse_direction_NS_24const_host_device_scalarIT2_EEPKiS6_PKS3_S8_S4_PS3_21rocsparse_index_base_b
	.p2align	8
	.type	_ZN9rocsparseL19gebsrmvn_1xn_kernelILj128ELj7ELj8EdEEvi20rocsparse_direction_NS_24const_host_device_scalarIT2_EEPKiS6_PKS3_S8_S4_PS3_21rocsparse_index_base_b,@function
_ZN9rocsparseL19gebsrmvn_1xn_kernelILj128ELj7ELj8EdEEvi20rocsparse_direction_NS_24const_host_device_scalarIT2_EEPKiS6_PKS3_S8_S4_PS3_21rocsparse_index_base_b: ; @_ZN9rocsparseL19gebsrmvn_1xn_kernelILj128ELj7ELj8EdEEvi20rocsparse_direction_NS_24const_host_device_scalarIT2_EEPKiS6_PKS3_S8_S4_PS3_21rocsparse_index_base_b
; %bb.0:
	s_clause 0x2
	s_load_dwordx2 s[12:13], s[4:5], 0x40
	s_load_dwordx2 s[2:3], s[4:5], 0x8
	;; [unrolled: 1-line block ×3, first 2 shown]
	s_waitcnt lgkmcnt(0)
	s_bitcmp1_b32 s13, 0
	v_mov_b32_e32 v4, s3
	v_mov_b32_e32 v3, s2
	s_cselect_b32 s7, -1, 0
	s_and_b32 vcc_lo, exec_lo, s7
	s_xor_b32 s7, s7, -1
	s_cbranch_vccnz .LBB102_2
; %bb.1:
	v_mov_b32_e32 v1, s2
	v_mov_b32_e32 v2, s3
	flat_load_dwordx2 v[3:4], v[1:2]
.LBB102_2:
	v_mov_b32_e32 v2, s1
	v_mov_b32_e32 v1, s0
	s_andn2_b32 vcc_lo, exec_lo, s7
	s_cbranch_vccnz .LBB102_4
; %bb.3:
	v_mov_b32_e32 v2, s1
	v_mov_b32_e32 v1, s0
	flat_load_dwordx2 v[1:2], v[1:2]
.LBB102_4:
	s_waitcnt vmcnt(0) lgkmcnt(0)
	v_cmp_neq_f64_e32 vcc_lo, 0, v[3:4]
	v_cmp_neq_f64_e64 s0, 1.0, v[1:2]
	s_or_b32 s0, vcc_lo, s0
	s_and_saveexec_b32 s1, s0
	s_cbranch_execz .LBB102_15
; %bb.5:
	s_load_dword s0, s[4:5], 0x0
	v_lshrrev_b32_e32 v5, 3, v0
	v_lshl_or_b32 v5, s6, 4, v5
	s_waitcnt lgkmcnt(0)
	v_cmp_gt_i32_e32 vcc_lo, s0, v5
	s_and_b32 exec_lo, exec_lo, vcc_lo
	s_cbranch_execz .LBB102_15
; %bb.6:
	s_clause 0x1
	s_load_dwordx2 s[0:1], s[4:5], 0x10
	s_load_dwordx2 s[2:3], s[4:5], 0x38
	v_ashrrev_i32_e32 v6, 31, v5
	v_and_b32_e32 v0, 7, v0
	v_lshlrev_b64 v[7:8], 2, v[5:6]
	v_subrev_nc_u32_e32 v9, s12, v0
	s_waitcnt lgkmcnt(0)
	v_add_co_u32 v7, vcc_lo, s0, v7
	v_add_co_ci_u32_e64 v8, null, s1, v8, vcc_lo
	s_mov_b32 s1, exec_lo
	global_load_dwordx2 v[7:8], v[7:8], off
	s_waitcnt vmcnt(0)
	v_subrev_nc_u32_e32 v14, s12, v8
	v_add_nc_u32_e32 v9, v7, v9
	v_mov_b32_e32 v7, 0
	v_mov_b32_e32 v8, 0
	v_cmpx_lt_i32_e64 v9, v14
	s_cbranch_execz .LBB102_10
; %bb.7:
	s_clause 0x1
	s_load_dwordx4 s[8:11], s[4:5], 0x18
	s_load_dwordx2 s[4:5], s[4:5], 0x28
	v_mad_u64_u32 v[11:12], null, v9, 7, 6
	v_mov_b32_e32 v7, 0
	v_mov_b32_e32 v8, 0
	;; [unrolled: 1-line block ×3, first 2 shown]
	s_mov_b32 s6, 0
.LBB102_8:                              ; =>This Inner Loop Header: Depth=1
	v_ashrrev_i32_e32 v10, 31, v9
	v_add_nc_u32_e32 v12, -6, v11
	v_lshlrev_b64 v[15:16], 2, v[9:10]
	v_lshlrev_b64 v[17:18], 3, v[12:13]
	v_add_nc_u32_e32 v12, -5, v11
	v_add_nc_u32_e32 v9, 8, v9
	s_waitcnt lgkmcnt(0)
	v_add_co_u32 v15, vcc_lo, s8, v15
	v_add_co_ci_u32_e64 v16, null, s9, v16, vcc_lo
	v_lshlrev_b64 v[19:20], 3, v[12:13]
	v_add_co_u32 v17, vcc_lo, s10, v17
	global_load_dword v10, v[15:16], off
	v_mov_b32_e32 v16, v13
	v_add_co_ci_u32_e64 v18, null, s11, v18, vcc_lo
	v_add_co_u32 v19, vcc_lo, s10, v19
	v_add_co_ci_u32_e64 v20, null, s11, v20, vcc_lo
	s_waitcnt vmcnt(0)
	v_subrev_nc_u32_e32 v10, s12, v10
	v_mul_lo_u32 v15, v10, 7
	v_lshlrev_b64 v[21:22], 3, v[15:16]
	v_add_nc_u32_e32 v12, 1, v15
	v_add_co_u32 v21, s0, s4, v21
	v_add_co_ci_u32_e64 v22, null, s5, v22, s0
	s_clause 0x1
	global_load_dwordx2 v[16:17], v[17:18], off
	global_load_dwordx2 v[18:19], v[19:20], off
	;; [unrolled: 1-line block ×3, first 2 shown]
	v_lshlrev_b64 v[22:23], 3, v[12:13]
	v_add_nc_u32_e32 v12, -4, v11
	v_lshlrev_b64 v[24:25], 3, v[12:13]
	v_add_co_u32 v22, vcc_lo, s4, v22
	v_add_co_ci_u32_e64 v23, null, s5, v23, vcc_lo
	v_add_nc_u32_e32 v12, 2, v15
	v_add_co_u32 v24, vcc_lo, s10, v24
	global_load_dwordx2 v[22:23], v[22:23], off
	v_add_co_ci_u32_e64 v25, null, s11, v25, vcc_lo
	v_lshlrev_b64 v[26:27], 3, v[12:13]
	v_add_nc_u32_e32 v12, -3, v11
	v_add_co_u32 v26, vcc_lo, s4, v26
	v_add_co_ci_u32_e64 v27, null, s5, v27, vcc_lo
	global_load_dwordx2 v[24:25], v[24:25], off
	global_load_dwordx2 v[26:27], v[26:27], off
	v_lshlrev_b64 v[28:29], 3, v[12:13]
	v_add_nc_u32_e32 v12, 3, v15
	v_lshlrev_b64 v[30:31], 3, v[12:13]
	v_add_co_u32 v28, vcc_lo, s10, v28
	v_add_co_ci_u32_e64 v29, null, s11, v29, vcc_lo
	v_add_nc_u32_e32 v12, -2, v11
	v_add_co_u32 v30, vcc_lo, s4, v30
	v_add_co_ci_u32_e64 v31, null, s5, v31, vcc_lo
	global_load_dwordx2 v[28:29], v[28:29], off
	global_load_dwordx2 v[30:31], v[30:31], off
	v_lshlrev_b64 v[32:33], 3, v[12:13]
	v_add_nc_u32_e32 v12, 4, v15
	v_lshlrev_b64 v[34:35], 3, v[12:13]
	v_add_co_u32 v32, vcc_lo, s10, v32
	v_add_co_ci_u32_e64 v33, null, s11, v33, vcc_lo
	;; [unrolled: 10-line block ×3, first 2 shown]
	v_mov_b32_e32 v12, v13
	v_add_co_u32 v38, vcc_lo, s4, v38
	v_add_co_ci_u32_e64 v39, null, s5, v39, vcc_lo
	global_load_dwordx2 v[36:37], v[36:37], off
	global_load_dwordx2 v[38:39], v[38:39], off
	v_lshlrev_b64 v[40:41], 3, v[11:12]
	v_add_nc_u32_e32 v12, 6, v15
	v_add_nc_u32_e32 v11, 56, v11
	v_lshlrev_b64 v[42:43], 3, v[12:13]
	v_add_co_u32 v40, vcc_lo, s10, v40
	v_add_co_ci_u32_e64 v41, null, s11, v41, vcc_lo
	v_add_co_u32 v42, vcc_lo, s4, v42
	v_add_co_ci_u32_e64 v43, null, s5, v43, vcc_lo
	global_load_dwordx2 v[40:41], v[40:41], off
	global_load_dwordx2 v[42:43], v[42:43], off
	v_cmp_ge_i32_e32 vcc_lo, v9, v14
	s_or_b32 s6, vcc_lo, s6
	s_waitcnt vmcnt(11)
	v_fma_f64 v[7:8], v[16:17], v[20:21], v[7:8]
	s_waitcnt vmcnt(10)
	v_fma_f64 v[7:8], v[18:19], v[22:23], v[7:8]
	;; [unrolled: 2-line block ×7, first 2 shown]
	s_andn2_b32 exec_lo, exec_lo, s6
	s_cbranch_execnz .LBB102_8
; %bb.9:
	s_or_b32 exec_lo, exec_lo, s6
.LBB102_10:
	s_or_b32 exec_lo, exec_lo, s1
	v_mbcnt_lo_u32_b32 v11, -1, 0
	v_xor_b32_e32 v9, 4, v11
	v_cmp_gt_i32_e32 vcc_lo, 32, v9
	v_cndmask_b32_e32 v9, v11, v9, vcc_lo
	v_lshlrev_b32_e32 v10, 2, v9
	ds_bpermute_b32 v9, v10, v7
	ds_bpermute_b32 v10, v10, v8
	s_waitcnt lgkmcnt(0)
	v_add_f64 v[7:8], v[7:8], v[9:10]
	v_xor_b32_e32 v9, 2, v11
	v_cmp_gt_i32_e32 vcc_lo, 32, v9
	v_cndmask_b32_e32 v9, v11, v9, vcc_lo
	v_lshlrev_b32_e32 v10, 2, v9
	ds_bpermute_b32 v9, v10, v7
	ds_bpermute_b32 v10, v10, v8
	s_waitcnt lgkmcnt(0)
	v_add_f64 v[7:8], v[7:8], v[9:10]
	v_xor_b32_e32 v9, 1, v11
	v_cmp_gt_i32_e32 vcc_lo, 32, v9
	v_cndmask_b32_e32 v9, v11, v9, vcc_lo
	v_cmp_eq_u32_e32 vcc_lo, 7, v0
	v_lshlrev_b32_e32 v10, 2, v9
	ds_bpermute_b32 v9, v10, v7
	ds_bpermute_b32 v10, v10, v8
	s_and_b32 exec_lo, exec_lo, vcc_lo
	s_cbranch_execz .LBB102_15
; %bb.11:
	s_waitcnt lgkmcnt(0)
	v_add_f64 v[7:8], v[7:8], v[9:10]
	v_lshlrev_b64 v[5:6], 3, v[5:6]
	s_mov_b32 s0, exec_lo
	v_mul_f64 v[3:4], v[3:4], v[7:8]
	v_cmpx_eq_f64_e32 0, v[1:2]
	s_xor_b32 s0, exec_lo, s0
	s_cbranch_execz .LBB102_13
; %bb.12:
	v_add_co_u32 v0, vcc_lo, s2, v5
	v_add_co_ci_u32_e64 v1, null, s3, v6, vcc_lo
                                        ; implicit-def: $vgpr5_vgpr6
	global_store_dwordx2 v[0:1], v[3:4], off
                                        ; implicit-def: $vgpr1_vgpr2
                                        ; implicit-def: $vgpr3_vgpr4
.LBB102_13:
	s_andn2_saveexec_b32 s0, s0
	s_cbranch_execz .LBB102_15
; %bb.14:
	v_add_co_u32 v5, vcc_lo, s2, v5
	v_add_co_ci_u32_e64 v6, null, s3, v6, vcc_lo
	global_load_dwordx2 v[7:8], v[5:6], off
	s_waitcnt vmcnt(0)
	v_fma_f64 v[0:1], v[1:2], v[7:8], v[3:4]
	global_store_dwordx2 v[5:6], v[0:1], off
.LBB102_15:
	s_endpgm
	.section	.rodata,"a",@progbits
	.p2align	6, 0x0
	.amdhsa_kernel _ZN9rocsparseL19gebsrmvn_1xn_kernelILj128ELj7ELj8EdEEvi20rocsparse_direction_NS_24const_host_device_scalarIT2_EEPKiS6_PKS3_S8_S4_PS3_21rocsparse_index_base_b
		.amdhsa_group_segment_fixed_size 0
		.amdhsa_private_segment_fixed_size 0
		.amdhsa_kernarg_size 72
		.amdhsa_user_sgpr_count 6
		.amdhsa_user_sgpr_private_segment_buffer 1
		.amdhsa_user_sgpr_dispatch_ptr 0
		.amdhsa_user_sgpr_queue_ptr 0
		.amdhsa_user_sgpr_kernarg_segment_ptr 1
		.amdhsa_user_sgpr_dispatch_id 0
		.amdhsa_user_sgpr_flat_scratch_init 0
		.amdhsa_user_sgpr_private_segment_size 0
		.amdhsa_wavefront_size32 1
		.amdhsa_uses_dynamic_stack 0
		.amdhsa_system_sgpr_private_segment_wavefront_offset 0
		.amdhsa_system_sgpr_workgroup_id_x 1
		.amdhsa_system_sgpr_workgroup_id_y 0
		.amdhsa_system_sgpr_workgroup_id_z 0
		.amdhsa_system_sgpr_workgroup_info 0
		.amdhsa_system_vgpr_workitem_id 0
		.amdhsa_next_free_vgpr 44
		.amdhsa_next_free_sgpr 14
		.amdhsa_reserve_vcc 1
		.amdhsa_reserve_flat_scratch 0
		.amdhsa_float_round_mode_32 0
		.amdhsa_float_round_mode_16_64 0
		.amdhsa_float_denorm_mode_32 3
		.amdhsa_float_denorm_mode_16_64 3
		.amdhsa_dx10_clamp 1
		.amdhsa_ieee_mode 1
		.amdhsa_fp16_overflow 0
		.amdhsa_workgroup_processor_mode 1
		.amdhsa_memory_ordered 1
		.amdhsa_forward_progress 1
		.amdhsa_shared_vgpr_count 0
		.amdhsa_exception_fp_ieee_invalid_op 0
		.amdhsa_exception_fp_denorm_src 0
		.amdhsa_exception_fp_ieee_div_zero 0
		.amdhsa_exception_fp_ieee_overflow 0
		.amdhsa_exception_fp_ieee_underflow 0
		.amdhsa_exception_fp_ieee_inexact 0
		.amdhsa_exception_int_div_zero 0
	.end_amdhsa_kernel
	.section	.text._ZN9rocsparseL19gebsrmvn_1xn_kernelILj128ELj7ELj8EdEEvi20rocsparse_direction_NS_24const_host_device_scalarIT2_EEPKiS6_PKS3_S8_S4_PS3_21rocsparse_index_base_b,"axG",@progbits,_ZN9rocsparseL19gebsrmvn_1xn_kernelILj128ELj7ELj8EdEEvi20rocsparse_direction_NS_24const_host_device_scalarIT2_EEPKiS6_PKS3_S8_S4_PS3_21rocsparse_index_base_b,comdat
.Lfunc_end102:
	.size	_ZN9rocsparseL19gebsrmvn_1xn_kernelILj128ELj7ELj8EdEEvi20rocsparse_direction_NS_24const_host_device_scalarIT2_EEPKiS6_PKS3_S8_S4_PS3_21rocsparse_index_base_b, .Lfunc_end102-_ZN9rocsparseL19gebsrmvn_1xn_kernelILj128ELj7ELj8EdEEvi20rocsparse_direction_NS_24const_host_device_scalarIT2_EEPKiS6_PKS3_S8_S4_PS3_21rocsparse_index_base_b
                                        ; -- End function
	.set _ZN9rocsparseL19gebsrmvn_1xn_kernelILj128ELj7ELj8EdEEvi20rocsparse_direction_NS_24const_host_device_scalarIT2_EEPKiS6_PKS3_S8_S4_PS3_21rocsparse_index_base_b.num_vgpr, 44
	.set _ZN9rocsparseL19gebsrmvn_1xn_kernelILj128ELj7ELj8EdEEvi20rocsparse_direction_NS_24const_host_device_scalarIT2_EEPKiS6_PKS3_S8_S4_PS3_21rocsparse_index_base_b.num_agpr, 0
	.set _ZN9rocsparseL19gebsrmvn_1xn_kernelILj128ELj7ELj8EdEEvi20rocsparse_direction_NS_24const_host_device_scalarIT2_EEPKiS6_PKS3_S8_S4_PS3_21rocsparse_index_base_b.numbered_sgpr, 14
	.set _ZN9rocsparseL19gebsrmvn_1xn_kernelILj128ELj7ELj8EdEEvi20rocsparse_direction_NS_24const_host_device_scalarIT2_EEPKiS6_PKS3_S8_S4_PS3_21rocsparse_index_base_b.num_named_barrier, 0
	.set _ZN9rocsparseL19gebsrmvn_1xn_kernelILj128ELj7ELj8EdEEvi20rocsparse_direction_NS_24const_host_device_scalarIT2_EEPKiS6_PKS3_S8_S4_PS3_21rocsparse_index_base_b.private_seg_size, 0
	.set _ZN9rocsparseL19gebsrmvn_1xn_kernelILj128ELj7ELj8EdEEvi20rocsparse_direction_NS_24const_host_device_scalarIT2_EEPKiS6_PKS3_S8_S4_PS3_21rocsparse_index_base_b.uses_vcc, 1
	.set _ZN9rocsparseL19gebsrmvn_1xn_kernelILj128ELj7ELj8EdEEvi20rocsparse_direction_NS_24const_host_device_scalarIT2_EEPKiS6_PKS3_S8_S4_PS3_21rocsparse_index_base_b.uses_flat_scratch, 0
	.set _ZN9rocsparseL19gebsrmvn_1xn_kernelILj128ELj7ELj8EdEEvi20rocsparse_direction_NS_24const_host_device_scalarIT2_EEPKiS6_PKS3_S8_S4_PS3_21rocsparse_index_base_b.has_dyn_sized_stack, 0
	.set _ZN9rocsparseL19gebsrmvn_1xn_kernelILj128ELj7ELj8EdEEvi20rocsparse_direction_NS_24const_host_device_scalarIT2_EEPKiS6_PKS3_S8_S4_PS3_21rocsparse_index_base_b.has_recursion, 0
	.set _ZN9rocsparseL19gebsrmvn_1xn_kernelILj128ELj7ELj8EdEEvi20rocsparse_direction_NS_24const_host_device_scalarIT2_EEPKiS6_PKS3_S8_S4_PS3_21rocsparse_index_base_b.has_indirect_call, 0
	.section	.AMDGPU.csdata,"",@progbits
; Kernel info:
; codeLenInByte = 1264
; TotalNumSgprs: 16
; NumVgprs: 44
; ScratchSize: 0
; MemoryBound: 0
; FloatMode: 240
; IeeeMode: 1
; LDSByteSize: 0 bytes/workgroup (compile time only)
; SGPRBlocks: 0
; VGPRBlocks: 5
; NumSGPRsForWavesPerEU: 16
; NumVGPRsForWavesPerEU: 44
; Occupancy: 16
; WaveLimiterHint : 1
; COMPUTE_PGM_RSRC2:SCRATCH_EN: 0
; COMPUTE_PGM_RSRC2:USER_SGPR: 6
; COMPUTE_PGM_RSRC2:TRAP_HANDLER: 0
; COMPUTE_PGM_RSRC2:TGID_X_EN: 1
; COMPUTE_PGM_RSRC2:TGID_Y_EN: 0
; COMPUTE_PGM_RSRC2:TGID_Z_EN: 0
; COMPUTE_PGM_RSRC2:TIDIG_COMP_CNT: 0
	.section	.text._ZN9rocsparseL19gebsrmvn_1xn_kernelILj128ELj7ELj16EdEEvi20rocsparse_direction_NS_24const_host_device_scalarIT2_EEPKiS6_PKS3_S8_S4_PS3_21rocsparse_index_base_b,"axG",@progbits,_ZN9rocsparseL19gebsrmvn_1xn_kernelILj128ELj7ELj16EdEEvi20rocsparse_direction_NS_24const_host_device_scalarIT2_EEPKiS6_PKS3_S8_S4_PS3_21rocsparse_index_base_b,comdat
	.globl	_ZN9rocsparseL19gebsrmvn_1xn_kernelILj128ELj7ELj16EdEEvi20rocsparse_direction_NS_24const_host_device_scalarIT2_EEPKiS6_PKS3_S8_S4_PS3_21rocsparse_index_base_b ; -- Begin function _ZN9rocsparseL19gebsrmvn_1xn_kernelILj128ELj7ELj16EdEEvi20rocsparse_direction_NS_24const_host_device_scalarIT2_EEPKiS6_PKS3_S8_S4_PS3_21rocsparse_index_base_b
	.p2align	8
	.type	_ZN9rocsparseL19gebsrmvn_1xn_kernelILj128ELj7ELj16EdEEvi20rocsparse_direction_NS_24const_host_device_scalarIT2_EEPKiS6_PKS3_S8_S4_PS3_21rocsparse_index_base_b,@function
_ZN9rocsparseL19gebsrmvn_1xn_kernelILj128ELj7ELj16EdEEvi20rocsparse_direction_NS_24const_host_device_scalarIT2_EEPKiS6_PKS3_S8_S4_PS3_21rocsparse_index_base_b: ; @_ZN9rocsparseL19gebsrmvn_1xn_kernelILj128ELj7ELj16EdEEvi20rocsparse_direction_NS_24const_host_device_scalarIT2_EEPKiS6_PKS3_S8_S4_PS3_21rocsparse_index_base_b
; %bb.0:
	s_clause 0x2
	s_load_dwordx2 s[12:13], s[4:5], 0x40
	s_load_dwordx2 s[2:3], s[4:5], 0x8
	;; [unrolled: 1-line block ×3, first 2 shown]
	s_waitcnt lgkmcnt(0)
	s_bitcmp1_b32 s13, 0
	v_mov_b32_e32 v4, s3
	v_mov_b32_e32 v3, s2
	s_cselect_b32 s7, -1, 0
	s_and_b32 vcc_lo, exec_lo, s7
	s_xor_b32 s7, s7, -1
	s_cbranch_vccnz .LBB103_2
; %bb.1:
	v_mov_b32_e32 v1, s2
	v_mov_b32_e32 v2, s3
	flat_load_dwordx2 v[3:4], v[1:2]
.LBB103_2:
	v_mov_b32_e32 v2, s1
	v_mov_b32_e32 v1, s0
	s_andn2_b32 vcc_lo, exec_lo, s7
	s_cbranch_vccnz .LBB103_4
; %bb.3:
	v_mov_b32_e32 v2, s1
	v_mov_b32_e32 v1, s0
	flat_load_dwordx2 v[1:2], v[1:2]
.LBB103_4:
	s_waitcnt vmcnt(0) lgkmcnt(0)
	v_cmp_neq_f64_e32 vcc_lo, 0, v[3:4]
	v_cmp_neq_f64_e64 s0, 1.0, v[1:2]
	s_or_b32 s0, vcc_lo, s0
	s_and_saveexec_b32 s1, s0
	s_cbranch_execz .LBB103_15
; %bb.5:
	s_load_dword s0, s[4:5], 0x0
	v_lshrrev_b32_e32 v5, 4, v0
	v_lshl_or_b32 v5, s6, 3, v5
	s_waitcnt lgkmcnt(0)
	v_cmp_gt_i32_e32 vcc_lo, s0, v5
	s_and_b32 exec_lo, exec_lo, vcc_lo
	s_cbranch_execz .LBB103_15
; %bb.6:
	s_clause 0x1
	s_load_dwordx2 s[0:1], s[4:5], 0x10
	s_load_dwordx2 s[2:3], s[4:5], 0x38
	v_ashrrev_i32_e32 v6, 31, v5
	v_and_b32_e32 v0, 15, v0
	v_lshlrev_b64 v[7:8], 2, v[5:6]
	v_subrev_nc_u32_e32 v9, s12, v0
	s_waitcnt lgkmcnt(0)
	v_add_co_u32 v7, vcc_lo, s0, v7
	v_add_co_ci_u32_e64 v8, null, s1, v8, vcc_lo
	s_mov_b32 s1, exec_lo
	global_load_dwordx2 v[7:8], v[7:8], off
	s_waitcnt vmcnt(0)
	v_subrev_nc_u32_e32 v14, s12, v8
	v_add_nc_u32_e32 v9, v7, v9
	v_mov_b32_e32 v7, 0
	v_mov_b32_e32 v8, 0
	v_cmpx_lt_i32_e64 v9, v14
	s_cbranch_execz .LBB103_10
; %bb.7:
	s_clause 0x1
	s_load_dwordx4 s[8:11], s[4:5], 0x18
	s_load_dwordx2 s[4:5], s[4:5], 0x28
	v_mad_u64_u32 v[11:12], null, v9, 7, 6
	v_mov_b32_e32 v7, 0
	v_mov_b32_e32 v8, 0
	;; [unrolled: 1-line block ×3, first 2 shown]
	s_mov_b32 s6, 0
.LBB103_8:                              ; =>This Inner Loop Header: Depth=1
	v_ashrrev_i32_e32 v10, 31, v9
	v_add_nc_u32_e32 v12, -6, v11
	v_lshlrev_b64 v[15:16], 2, v[9:10]
	v_lshlrev_b64 v[17:18], 3, v[12:13]
	v_add_nc_u32_e32 v12, -5, v11
	v_add_nc_u32_e32 v9, 16, v9
	s_waitcnt lgkmcnt(0)
	v_add_co_u32 v15, vcc_lo, s8, v15
	v_add_co_ci_u32_e64 v16, null, s9, v16, vcc_lo
	v_lshlrev_b64 v[19:20], 3, v[12:13]
	v_add_co_u32 v17, vcc_lo, s10, v17
	global_load_dword v10, v[15:16], off
	v_mov_b32_e32 v16, v13
	v_add_co_ci_u32_e64 v18, null, s11, v18, vcc_lo
	v_add_co_u32 v19, vcc_lo, s10, v19
	v_add_co_ci_u32_e64 v20, null, s11, v20, vcc_lo
	s_waitcnt vmcnt(0)
	v_subrev_nc_u32_e32 v10, s12, v10
	v_mul_lo_u32 v15, v10, 7
	v_lshlrev_b64 v[21:22], 3, v[15:16]
	v_add_nc_u32_e32 v12, 1, v15
	v_add_co_u32 v21, s0, s4, v21
	v_add_co_ci_u32_e64 v22, null, s5, v22, s0
	s_clause 0x1
	global_load_dwordx2 v[16:17], v[17:18], off
	global_load_dwordx2 v[18:19], v[19:20], off
	;; [unrolled: 1-line block ×3, first 2 shown]
	v_lshlrev_b64 v[22:23], 3, v[12:13]
	v_add_nc_u32_e32 v12, -4, v11
	v_lshlrev_b64 v[24:25], 3, v[12:13]
	v_add_co_u32 v22, vcc_lo, s4, v22
	v_add_co_ci_u32_e64 v23, null, s5, v23, vcc_lo
	v_add_nc_u32_e32 v12, 2, v15
	v_add_co_u32 v24, vcc_lo, s10, v24
	global_load_dwordx2 v[22:23], v[22:23], off
	v_add_co_ci_u32_e64 v25, null, s11, v25, vcc_lo
	v_lshlrev_b64 v[26:27], 3, v[12:13]
	v_add_nc_u32_e32 v12, -3, v11
	v_add_co_u32 v26, vcc_lo, s4, v26
	v_add_co_ci_u32_e64 v27, null, s5, v27, vcc_lo
	global_load_dwordx2 v[24:25], v[24:25], off
	global_load_dwordx2 v[26:27], v[26:27], off
	v_lshlrev_b64 v[28:29], 3, v[12:13]
	v_add_nc_u32_e32 v12, 3, v15
	v_lshlrev_b64 v[30:31], 3, v[12:13]
	v_add_co_u32 v28, vcc_lo, s10, v28
	v_add_co_ci_u32_e64 v29, null, s11, v29, vcc_lo
	v_add_nc_u32_e32 v12, -2, v11
	v_add_co_u32 v30, vcc_lo, s4, v30
	v_add_co_ci_u32_e64 v31, null, s5, v31, vcc_lo
	global_load_dwordx2 v[28:29], v[28:29], off
	global_load_dwordx2 v[30:31], v[30:31], off
	v_lshlrev_b64 v[32:33], 3, v[12:13]
	v_add_nc_u32_e32 v12, 4, v15
	v_lshlrev_b64 v[34:35], 3, v[12:13]
	v_add_co_u32 v32, vcc_lo, s10, v32
	v_add_co_ci_u32_e64 v33, null, s11, v33, vcc_lo
	;; [unrolled: 10-line block ×3, first 2 shown]
	v_mov_b32_e32 v12, v13
	v_add_co_u32 v38, vcc_lo, s4, v38
	v_add_co_ci_u32_e64 v39, null, s5, v39, vcc_lo
	global_load_dwordx2 v[36:37], v[36:37], off
	global_load_dwordx2 v[38:39], v[38:39], off
	v_lshlrev_b64 v[40:41], 3, v[11:12]
	v_add_nc_u32_e32 v12, 6, v15
	v_add_nc_u32_e32 v11, 0x70, v11
	v_lshlrev_b64 v[42:43], 3, v[12:13]
	v_add_co_u32 v40, vcc_lo, s10, v40
	v_add_co_ci_u32_e64 v41, null, s11, v41, vcc_lo
	v_add_co_u32 v42, vcc_lo, s4, v42
	v_add_co_ci_u32_e64 v43, null, s5, v43, vcc_lo
	global_load_dwordx2 v[40:41], v[40:41], off
	global_load_dwordx2 v[42:43], v[42:43], off
	v_cmp_ge_i32_e32 vcc_lo, v9, v14
	s_or_b32 s6, vcc_lo, s6
	s_waitcnt vmcnt(11)
	v_fma_f64 v[7:8], v[16:17], v[20:21], v[7:8]
	s_waitcnt vmcnt(10)
	v_fma_f64 v[7:8], v[18:19], v[22:23], v[7:8]
	;; [unrolled: 2-line block ×7, first 2 shown]
	s_andn2_b32 exec_lo, exec_lo, s6
	s_cbranch_execnz .LBB103_8
; %bb.9:
	s_or_b32 exec_lo, exec_lo, s6
.LBB103_10:
	s_or_b32 exec_lo, exec_lo, s1
	v_mbcnt_lo_u32_b32 v11, -1, 0
	v_xor_b32_e32 v9, 8, v11
	v_cmp_gt_i32_e32 vcc_lo, 32, v9
	v_cndmask_b32_e32 v9, v11, v9, vcc_lo
	v_lshlrev_b32_e32 v10, 2, v9
	ds_bpermute_b32 v9, v10, v7
	ds_bpermute_b32 v10, v10, v8
	s_waitcnt lgkmcnt(0)
	v_add_f64 v[7:8], v[7:8], v[9:10]
	v_xor_b32_e32 v9, 4, v11
	v_cmp_gt_i32_e32 vcc_lo, 32, v9
	v_cndmask_b32_e32 v9, v11, v9, vcc_lo
	v_lshlrev_b32_e32 v10, 2, v9
	ds_bpermute_b32 v9, v10, v7
	ds_bpermute_b32 v10, v10, v8
	s_waitcnt lgkmcnt(0)
	v_add_f64 v[7:8], v[7:8], v[9:10]
	;; [unrolled: 8-line block ×3, first 2 shown]
	v_xor_b32_e32 v9, 1, v11
	v_cmp_gt_i32_e32 vcc_lo, 32, v9
	v_cndmask_b32_e32 v9, v11, v9, vcc_lo
	v_cmp_eq_u32_e32 vcc_lo, 15, v0
	v_lshlrev_b32_e32 v10, 2, v9
	ds_bpermute_b32 v9, v10, v7
	ds_bpermute_b32 v10, v10, v8
	s_and_b32 exec_lo, exec_lo, vcc_lo
	s_cbranch_execz .LBB103_15
; %bb.11:
	s_waitcnt lgkmcnt(0)
	v_add_f64 v[7:8], v[7:8], v[9:10]
	v_lshlrev_b64 v[5:6], 3, v[5:6]
	s_mov_b32 s0, exec_lo
	v_mul_f64 v[3:4], v[3:4], v[7:8]
	v_cmpx_eq_f64_e32 0, v[1:2]
	s_xor_b32 s0, exec_lo, s0
	s_cbranch_execz .LBB103_13
; %bb.12:
	v_add_co_u32 v0, vcc_lo, s2, v5
	v_add_co_ci_u32_e64 v1, null, s3, v6, vcc_lo
                                        ; implicit-def: $vgpr5_vgpr6
	global_store_dwordx2 v[0:1], v[3:4], off
                                        ; implicit-def: $vgpr1_vgpr2
                                        ; implicit-def: $vgpr3_vgpr4
.LBB103_13:
	s_andn2_saveexec_b32 s0, s0
	s_cbranch_execz .LBB103_15
; %bb.14:
	v_add_co_u32 v5, vcc_lo, s2, v5
	v_add_co_ci_u32_e64 v6, null, s3, v6, vcc_lo
	global_load_dwordx2 v[7:8], v[5:6], off
	s_waitcnt vmcnt(0)
	v_fma_f64 v[0:1], v[1:2], v[7:8], v[3:4]
	global_store_dwordx2 v[5:6], v[0:1], off
.LBB103_15:
	s_endpgm
	.section	.rodata,"a",@progbits
	.p2align	6, 0x0
	.amdhsa_kernel _ZN9rocsparseL19gebsrmvn_1xn_kernelILj128ELj7ELj16EdEEvi20rocsparse_direction_NS_24const_host_device_scalarIT2_EEPKiS6_PKS3_S8_S4_PS3_21rocsparse_index_base_b
		.amdhsa_group_segment_fixed_size 0
		.amdhsa_private_segment_fixed_size 0
		.amdhsa_kernarg_size 72
		.amdhsa_user_sgpr_count 6
		.amdhsa_user_sgpr_private_segment_buffer 1
		.amdhsa_user_sgpr_dispatch_ptr 0
		.amdhsa_user_sgpr_queue_ptr 0
		.amdhsa_user_sgpr_kernarg_segment_ptr 1
		.amdhsa_user_sgpr_dispatch_id 0
		.amdhsa_user_sgpr_flat_scratch_init 0
		.amdhsa_user_sgpr_private_segment_size 0
		.amdhsa_wavefront_size32 1
		.amdhsa_uses_dynamic_stack 0
		.amdhsa_system_sgpr_private_segment_wavefront_offset 0
		.amdhsa_system_sgpr_workgroup_id_x 1
		.amdhsa_system_sgpr_workgroup_id_y 0
		.amdhsa_system_sgpr_workgroup_id_z 0
		.amdhsa_system_sgpr_workgroup_info 0
		.amdhsa_system_vgpr_workitem_id 0
		.amdhsa_next_free_vgpr 44
		.amdhsa_next_free_sgpr 14
		.amdhsa_reserve_vcc 1
		.amdhsa_reserve_flat_scratch 0
		.amdhsa_float_round_mode_32 0
		.amdhsa_float_round_mode_16_64 0
		.amdhsa_float_denorm_mode_32 3
		.amdhsa_float_denorm_mode_16_64 3
		.amdhsa_dx10_clamp 1
		.amdhsa_ieee_mode 1
		.amdhsa_fp16_overflow 0
		.amdhsa_workgroup_processor_mode 1
		.amdhsa_memory_ordered 1
		.amdhsa_forward_progress 1
		.amdhsa_shared_vgpr_count 0
		.amdhsa_exception_fp_ieee_invalid_op 0
		.amdhsa_exception_fp_denorm_src 0
		.amdhsa_exception_fp_ieee_div_zero 0
		.amdhsa_exception_fp_ieee_overflow 0
		.amdhsa_exception_fp_ieee_underflow 0
		.amdhsa_exception_fp_ieee_inexact 0
		.amdhsa_exception_int_div_zero 0
	.end_amdhsa_kernel
	.section	.text._ZN9rocsparseL19gebsrmvn_1xn_kernelILj128ELj7ELj16EdEEvi20rocsparse_direction_NS_24const_host_device_scalarIT2_EEPKiS6_PKS3_S8_S4_PS3_21rocsparse_index_base_b,"axG",@progbits,_ZN9rocsparseL19gebsrmvn_1xn_kernelILj128ELj7ELj16EdEEvi20rocsparse_direction_NS_24const_host_device_scalarIT2_EEPKiS6_PKS3_S8_S4_PS3_21rocsparse_index_base_b,comdat
.Lfunc_end103:
	.size	_ZN9rocsparseL19gebsrmvn_1xn_kernelILj128ELj7ELj16EdEEvi20rocsparse_direction_NS_24const_host_device_scalarIT2_EEPKiS6_PKS3_S8_S4_PS3_21rocsparse_index_base_b, .Lfunc_end103-_ZN9rocsparseL19gebsrmvn_1xn_kernelILj128ELj7ELj16EdEEvi20rocsparse_direction_NS_24const_host_device_scalarIT2_EEPKiS6_PKS3_S8_S4_PS3_21rocsparse_index_base_b
                                        ; -- End function
	.set _ZN9rocsparseL19gebsrmvn_1xn_kernelILj128ELj7ELj16EdEEvi20rocsparse_direction_NS_24const_host_device_scalarIT2_EEPKiS6_PKS3_S8_S4_PS3_21rocsparse_index_base_b.num_vgpr, 44
	.set _ZN9rocsparseL19gebsrmvn_1xn_kernelILj128ELj7ELj16EdEEvi20rocsparse_direction_NS_24const_host_device_scalarIT2_EEPKiS6_PKS3_S8_S4_PS3_21rocsparse_index_base_b.num_agpr, 0
	.set _ZN9rocsparseL19gebsrmvn_1xn_kernelILj128ELj7ELj16EdEEvi20rocsparse_direction_NS_24const_host_device_scalarIT2_EEPKiS6_PKS3_S8_S4_PS3_21rocsparse_index_base_b.numbered_sgpr, 14
	.set _ZN9rocsparseL19gebsrmvn_1xn_kernelILj128ELj7ELj16EdEEvi20rocsparse_direction_NS_24const_host_device_scalarIT2_EEPKiS6_PKS3_S8_S4_PS3_21rocsparse_index_base_b.num_named_barrier, 0
	.set _ZN9rocsparseL19gebsrmvn_1xn_kernelILj128ELj7ELj16EdEEvi20rocsparse_direction_NS_24const_host_device_scalarIT2_EEPKiS6_PKS3_S8_S4_PS3_21rocsparse_index_base_b.private_seg_size, 0
	.set _ZN9rocsparseL19gebsrmvn_1xn_kernelILj128ELj7ELj16EdEEvi20rocsparse_direction_NS_24const_host_device_scalarIT2_EEPKiS6_PKS3_S8_S4_PS3_21rocsparse_index_base_b.uses_vcc, 1
	.set _ZN9rocsparseL19gebsrmvn_1xn_kernelILj128ELj7ELj16EdEEvi20rocsparse_direction_NS_24const_host_device_scalarIT2_EEPKiS6_PKS3_S8_S4_PS3_21rocsparse_index_base_b.uses_flat_scratch, 0
	.set _ZN9rocsparseL19gebsrmvn_1xn_kernelILj128ELj7ELj16EdEEvi20rocsparse_direction_NS_24const_host_device_scalarIT2_EEPKiS6_PKS3_S8_S4_PS3_21rocsparse_index_base_b.has_dyn_sized_stack, 0
	.set _ZN9rocsparseL19gebsrmvn_1xn_kernelILj128ELj7ELj16EdEEvi20rocsparse_direction_NS_24const_host_device_scalarIT2_EEPKiS6_PKS3_S8_S4_PS3_21rocsparse_index_base_b.has_recursion, 0
	.set _ZN9rocsparseL19gebsrmvn_1xn_kernelILj128ELj7ELj16EdEEvi20rocsparse_direction_NS_24const_host_device_scalarIT2_EEPKiS6_PKS3_S8_S4_PS3_21rocsparse_index_base_b.has_indirect_call, 0
	.section	.AMDGPU.csdata,"",@progbits
; Kernel info:
; codeLenInByte = 1312
; TotalNumSgprs: 16
; NumVgprs: 44
; ScratchSize: 0
; MemoryBound: 0
; FloatMode: 240
; IeeeMode: 1
; LDSByteSize: 0 bytes/workgroup (compile time only)
; SGPRBlocks: 0
; VGPRBlocks: 5
; NumSGPRsForWavesPerEU: 16
; NumVGPRsForWavesPerEU: 44
; Occupancy: 16
; WaveLimiterHint : 1
; COMPUTE_PGM_RSRC2:SCRATCH_EN: 0
; COMPUTE_PGM_RSRC2:USER_SGPR: 6
; COMPUTE_PGM_RSRC2:TRAP_HANDLER: 0
; COMPUTE_PGM_RSRC2:TGID_X_EN: 1
; COMPUTE_PGM_RSRC2:TGID_Y_EN: 0
; COMPUTE_PGM_RSRC2:TGID_Z_EN: 0
; COMPUTE_PGM_RSRC2:TIDIG_COMP_CNT: 0
	.section	.text._ZN9rocsparseL19gebsrmvn_1xn_kernelILj128ELj7ELj32EdEEvi20rocsparse_direction_NS_24const_host_device_scalarIT2_EEPKiS6_PKS3_S8_S4_PS3_21rocsparse_index_base_b,"axG",@progbits,_ZN9rocsparseL19gebsrmvn_1xn_kernelILj128ELj7ELj32EdEEvi20rocsparse_direction_NS_24const_host_device_scalarIT2_EEPKiS6_PKS3_S8_S4_PS3_21rocsparse_index_base_b,comdat
	.globl	_ZN9rocsparseL19gebsrmvn_1xn_kernelILj128ELj7ELj32EdEEvi20rocsparse_direction_NS_24const_host_device_scalarIT2_EEPKiS6_PKS3_S8_S4_PS3_21rocsparse_index_base_b ; -- Begin function _ZN9rocsparseL19gebsrmvn_1xn_kernelILj128ELj7ELj32EdEEvi20rocsparse_direction_NS_24const_host_device_scalarIT2_EEPKiS6_PKS3_S8_S4_PS3_21rocsparse_index_base_b
	.p2align	8
	.type	_ZN9rocsparseL19gebsrmvn_1xn_kernelILj128ELj7ELj32EdEEvi20rocsparse_direction_NS_24const_host_device_scalarIT2_EEPKiS6_PKS3_S8_S4_PS3_21rocsparse_index_base_b,@function
_ZN9rocsparseL19gebsrmvn_1xn_kernelILj128ELj7ELj32EdEEvi20rocsparse_direction_NS_24const_host_device_scalarIT2_EEPKiS6_PKS3_S8_S4_PS3_21rocsparse_index_base_b: ; @_ZN9rocsparseL19gebsrmvn_1xn_kernelILj128ELj7ELj32EdEEvi20rocsparse_direction_NS_24const_host_device_scalarIT2_EEPKiS6_PKS3_S8_S4_PS3_21rocsparse_index_base_b
; %bb.0:
	s_clause 0x2
	s_load_dwordx2 s[12:13], s[4:5], 0x40
	s_load_dwordx2 s[2:3], s[4:5], 0x8
	;; [unrolled: 1-line block ×3, first 2 shown]
	s_waitcnt lgkmcnt(0)
	s_bitcmp1_b32 s13, 0
	v_mov_b32_e32 v4, s3
	v_mov_b32_e32 v3, s2
	s_cselect_b32 s7, -1, 0
	s_and_b32 vcc_lo, exec_lo, s7
	s_xor_b32 s7, s7, -1
	s_cbranch_vccnz .LBB104_2
; %bb.1:
	v_mov_b32_e32 v1, s2
	v_mov_b32_e32 v2, s3
	flat_load_dwordx2 v[3:4], v[1:2]
.LBB104_2:
	v_mov_b32_e32 v2, s1
	v_mov_b32_e32 v1, s0
	s_andn2_b32 vcc_lo, exec_lo, s7
	s_cbranch_vccnz .LBB104_4
; %bb.3:
	v_mov_b32_e32 v2, s1
	v_mov_b32_e32 v1, s0
	flat_load_dwordx2 v[1:2], v[1:2]
.LBB104_4:
	s_waitcnt vmcnt(0) lgkmcnt(0)
	v_cmp_neq_f64_e32 vcc_lo, 0, v[3:4]
	v_cmp_neq_f64_e64 s0, 1.0, v[1:2]
	s_or_b32 s0, vcc_lo, s0
	s_and_saveexec_b32 s1, s0
	s_cbranch_execz .LBB104_15
; %bb.5:
	s_load_dword s0, s[4:5], 0x0
	v_lshrrev_b32_e32 v5, 5, v0
	v_lshl_or_b32 v5, s6, 2, v5
	s_waitcnt lgkmcnt(0)
	v_cmp_gt_i32_e32 vcc_lo, s0, v5
	s_and_b32 exec_lo, exec_lo, vcc_lo
	s_cbranch_execz .LBB104_15
; %bb.6:
	s_clause 0x1
	s_load_dwordx2 s[0:1], s[4:5], 0x10
	s_load_dwordx2 s[2:3], s[4:5], 0x38
	v_ashrrev_i32_e32 v6, 31, v5
	v_and_b32_e32 v0, 31, v0
	v_lshlrev_b64 v[7:8], 2, v[5:6]
	v_subrev_nc_u32_e32 v9, s12, v0
	s_waitcnt lgkmcnt(0)
	v_add_co_u32 v7, vcc_lo, s0, v7
	v_add_co_ci_u32_e64 v8, null, s1, v8, vcc_lo
	s_mov_b32 s1, exec_lo
	global_load_dwordx2 v[7:8], v[7:8], off
	s_waitcnt vmcnt(0)
	v_subrev_nc_u32_e32 v14, s12, v8
	v_add_nc_u32_e32 v9, v7, v9
	v_mov_b32_e32 v7, 0
	v_mov_b32_e32 v8, 0
	v_cmpx_lt_i32_e64 v9, v14
	s_cbranch_execz .LBB104_10
; %bb.7:
	s_clause 0x1
	s_load_dwordx4 s[8:11], s[4:5], 0x18
	s_load_dwordx2 s[4:5], s[4:5], 0x28
	v_mad_u64_u32 v[11:12], null, v9, 7, 6
	v_mov_b32_e32 v7, 0
	v_mov_b32_e32 v8, 0
	;; [unrolled: 1-line block ×3, first 2 shown]
	s_mov_b32 s6, 0
.LBB104_8:                              ; =>This Inner Loop Header: Depth=1
	v_ashrrev_i32_e32 v10, 31, v9
	v_add_nc_u32_e32 v12, -6, v11
	v_lshlrev_b64 v[15:16], 2, v[9:10]
	v_lshlrev_b64 v[17:18], 3, v[12:13]
	v_add_nc_u32_e32 v12, -5, v11
	v_add_nc_u32_e32 v9, 32, v9
	s_waitcnt lgkmcnt(0)
	v_add_co_u32 v15, vcc_lo, s8, v15
	v_add_co_ci_u32_e64 v16, null, s9, v16, vcc_lo
	v_lshlrev_b64 v[19:20], 3, v[12:13]
	v_add_co_u32 v17, vcc_lo, s10, v17
	global_load_dword v10, v[15:16], off
	v_mov_b32_e32 v16, v13
	v_add_co_ci_u32_e64 v18, null, s11, v18, vcc_lo
	v_add_co_u32 v19, vcc_lo, s10, v19
	v_add_co_ci_u32_e64 v20, null, s11, v20, vcc_lo
	s_waitcnt vmcnt(0)
	v_subrev_nc_u32_e32 v10, s12, v10
	v_mul_lo_u32 v15, v10, 7
	v_lshlrev_b64 v[21:22], 3, v[15:16]
	v_add_nc_u32_e32 v12, 1, v15
	v_add_co_u32 v21, s0, s4, v21
	v_add_co_ci_u32_e64 v22, null, s5, v22, s0
	s_clause 0x1
	global_load_dwordx2 v[16:17], v[17:18], off
	global_load_dwordx2 v[18:19], v[19:20], off
	;; [unrolled: 1-line block ×3, first 2 shown]
	v_lshlrev_b64 v[22:23], 3, v[12:13]
	v_add_nc_u32_e32 v12, -4, v11
	v_lshlrev_b64 v[24:25], 3, v[12:13]
	v_add_co_u32 v22, vcc_lo, s4, v22
	v_add_co_ci_u32_e64 v23, null, s5, v23, vcc_lo
	v_add_nc_u32_e32 v12, 2, v15
	v_add_co_u32 v24, vcc_lo, s10, v24
	global_load_dwordx2 v[22:23], v[22:23], off
	v_add_co_ci_u32_e64 v25, null, s11, v25, vcc_lo
	v_lshlrev_b64 v[26:27], 3, v[12:13]
	v_add_nc_u32_e32 v12, -3, v11
	v_add_co_u32 v26, vcc_lo, s4, v26
	v_add_co_ci_u32_e64 v27, null, s5, v27, vcc_lo
	global_load_dwordx2 v[24:25], v[24:25], off
	global_load_dwordx2 v[26:27], v[26:27], off
	v_lshlrev_b64 v[28:29], 3, v[12:13]
	v_add_nc_u32_e32 v12, 3, v15
	v_lshlrev_b64 v[30:31], 3, v[12:13]
	v_add_co_u32 v28, vcc_lo, s10, v28
	v_add_co_ci_u32_e64 v29, null, s11, v29, vcc_lo
	v_add_nc_u32_e32 v12, -2, v11
	v_add_co_u32 v30, vcc_lo, s4, v30
	v_add_co_ci_u32_e64 v31, null, s5, v31, vcc_lo
	global_load_dwordx2 v[28:29], v[28:29], off
	global_load_dwordx2 v[30:31], v[30:31], off
	v_lshlrev_b64 v[32:33], 3, v[12:13]
	v_add_nc_u32_e32 v12, 4, v15
	v_lshlrev_b64 v[34:35], 3, v[12:13]
	v_add_co_u32 v32, vcc_lo, s10, v32
	v_add_co_ci_u32_e64 v33, null, s11, v33, vcc_lo
	;; [unrolled: 10-line block ×3, first 2 shown]
	v_mov_b32_e32 v12, v13
	v_add_co_u32 v38, vcc_lo, s4, v38
	v_add_co_ci_u32_e64 v39, null, s5, v39, vcc_lo
	global_load_dwordx2 v[36:37], v[36:37], off
	global_load_dwordx2 v[38:39], v[38:39], off
	v_lshlrev_b64 v[40:41], 3, v[11:12]
	v_add_nc_u32_e32 v12, 6, v15
	v_add_nc_u32_e32 v11, 0xe0, v11
	v_lshlrev_b64 v[42:43], 3, v[12:13]
	v_add_co_u32 v40, vcc_lo, s10, v40
	v_add_co_ci_u32_e64 v41, null, s11, v41, vcc_lo
	v_add_co_u32 v42, vcc_lo, s4, v42
	v_add_co_ci_u32_e64 v43, null, s5, v43, vcc_lo
	global_load_dwordx2 v[40:41], v[40:41], off
	global_load_dwordx2 v[42:43], v[42:43], off
	v_cmp_ge_i32_e32 vcc_lo, v9, v14
	s_or_b32 s6, vcc_lo, s6
	s_waitcnt vmcnt(11)
	v_fma_f64 v[7:8], v[16:17], v[20:21], v[7:8]
	s_waitcnt vmcnt(10)
	v_fma_f64 v[7:8], v[18:19], v[22:23], v[7:8]
	;; [unrolled: 2-line block ×7, first 2 shown]
	s_andn2_b32 exec_lo, exec_lo, s6
	s_cbranch_execnz .LBB104_8
; %bb.9:
	s_or_b32 exec_lo, exec_lo, s6
.LBB104_10:
	s_or_b32 exec_lo, exec_lo, s1
	v_mbcnt_lo_u32_b32 v11, -1, 0
	v_xor_b32_e32 v9, 16, v11
	v_cmp_gt_i32_e32 vcc_lo, 32, v9
	v_cndmask_b32_e32 v9, v11, v9, vcc_lo
	v_lshlrev_b32_e32 v10, 2, v9
	ds_bpermute_b32 v9, v10, v7
	ds_bpermute_b32 v10, v10, v8
	s_waitcnt lgkmcnt(0)
	v_add_f64 v[7:8], v[7:8], v[9:10]
	v_xor_b32_e32 v9, 8, v11
	v_cmp_gt_i32_e32 vcc_lo, 32, v9
	v_cndmask_b32_e32 v9, v11, v9, vcc_lo
	v_lshlrev_b32_e32 v10, 2, v9
	ds_bpermute_b32 v9, v10, v7
	ds_bpermute_b32 v10, v10, v8
	s_waitcnt lgkmcnt(0)
	v_add_f64 v[7:8], v[7:8], v[9:10]
	;; [unrolled: 8-line block ×4, first 2 shown]
	v_xor_b32_e32 v9, 1, v11
	v_cmp_gt_i32_e32 vcc_lo, 32, v9
	v_cndmask_b32_e32 v9, v11, v9, vcc_lo
	v_cmp_eq_u32_e32 vcc_lo, 31, v0
	v_lshlrev_b32_e32 v10, 2, v9
	ds_bpermute_b32 v9, v10, v7
	ds_bpermute_b32 v10, v10, v8
	s_and_b32 exec_lo, exec_lo, vcc_lo
	s_cbranch_execz .LBB104_15
; %bb.11:
	s_waitcnt lgkmcnt(0)
	v_add_f64 v[7:8], v[7:8], v[9:10]
	v_lshlrev_b64 v[5:6], 3, v[5:6]
	s_mov_b32 s0, exec_lo
	v_mul_f64 v[3:4], v[3:4], v[7:8]
	v_cmpx_eq_f64_e32 0, v[1:2]
	s_xor_b32 s0, exec_lo, s0
	s_cbranch_execz .LBB104_13
; %bb.12:
	v_add_co_u32 v0, vcc_lo, s2, v5
	v_add_co_ci_u32_e64 v1, null, s3, v6, vcc_lo
                                        ; implicit-def: $vgpr5_vgpr6
	global_store_dwordx2 v[0:1], v[3:4], off
                                        ; implicit-def: $vgpr1_vgpr2
                                        ; implicit-def: $vgpr3_vgpr4
.LBB104_13:
	s_andn2_saveexec_b32 s0, s0
	s_cbranch_execz .LBB104_15
; %bb.14:
	v_add_co_u32 v5, vcc_lo, s2, v5
	v_add_co_ci_u32_e64 v6, null, s3, v6, vcc_lo
	global_load_dwordx2 v[7:8], v[5:6], off
	s_waitcnt vmcnt(0)
	v_fma_f64 v[0:1], v[1:2], v[7:8], v[3:4]
	global_store_dwordx2 v[5:6], v[0:1], off
.LBB104_15:
	s_endpgm
	.section	.rodata,"a",@progbits
	.p2align	6, 0x0
	.amdhsa_kernel _ZN9rocsparseL19gebsrmvn_1xn_kernelILj128ELj7ELj32EdEEvi20rocsparse_direction_NS_24const_host_device_scalarIT2_EEPKiS6_PKS3_S8_S4_PS3_21rocsparse_index_base_b
		.amdhsa_group_segment_fixed_size 0
		.amdhsa_private_segment_fixed_size 0
		.amdhsa_kernarg_size 72
		.amdhsa_user_sgpr_count 6
		.amdhsa_user_sgpr_private_segment_buffer 1
		.amdhsa_user_sgpr_dispatch_ptr 0
		.amdhsa_user_sgpr_queue_ptr 0
		.amdhsa_user_sgpr_kernarg_segment_ptr 1
		.amdhsa_user_sgpr_dispatch_id 0
		.amdhsa_user_sgpr_flat_scratch_init 0
		.amdhsa_user_sgpr_private_segment_size 0
		.amdhsa_wavefront_size32 1
		.amdhsa_uses_dynamic_stack 0
		.amdhsa_system_sgpr_private_segment_wavefront_offset 0
		.amdhsa_system_sgpr_workgroup_id_x 1
		.amdhsa_system_sgpr_workgroup_id_y 0
		.amdhsa_system_sgpr_workgroup_id_z 0
		.amdhsa_system_sgpr_workgroup_info 0
		.amdhsa_system_vgpr_workitem_id 0
		.amdhsa_next_free_vgpr 44
		.amdhsa_next_free_sgpr 14
		.amdhsa_reserve_vcc 1
		.amdhsa_reserve_flat_scratch 0
		.amdhsa_float_round_mode_32 0
		.amdhsa_float_round_mode_16_64 0
		.amdhsa_float_denorm_mode_32 3
		.amdhsa_float_denorm_mode_16_64 3
		.amdhsa_dx10_clamp 1
		.amdhsa_ieee_mode 1
		.amdhsa_fp16_overflow 0
		.amdhsa_workgroup_processor_mode 1
		.amdhsa_memory_ordered 1
		.amdhsa_forward_progress 1
		.amdhsa_shared_vgpr_count 0
		.amdhsa_exception_fp_ieee_invalid_op 0
		.amdhsa_exception_fp_denorm_src 0
		.amdhsa_exception_fp_ieee_div_zero 0
		.amdhsa_exception_fp_ieee_overflow 0
		.amdhsa_exception_fp_ieee_underflow 0
		.amdhsa_exception_fp_ieee_inexact 0
		.amdhsa_exception_int_div_zero 0
	.end_amdhsa_kernel
	.section	.text._ZN9rocsparseL19gebsrmvn_1xn_kernelILj128ELj7ELj32EdEEvi20rocsparse_direction_NS_24const_host_device_scalarIT2_EEPKiS6_PKS3_S8_S4_PS3_21rocsparse_index_base_b,"axG",@progbits,_ZN9rocsparseL19gebsrmvn_1xn_kernelILj128ELj7ELj32EdEEvi20rocsparse_direction_NS_24const_host_device_scalarIT2_EEPKiS6_PKS3_S8_S4_PS3_21rocsparse_index_base_b,comdat
.Lfunc_end104:
	.size	_ZN9rocsparseL19gebsrmvn_1xn_kernelILj128ELj7ELj32EdEEvi20rocsparse_direction_NS_24const_host_device_scalarIT2_EEPKiS6_PKS3_S8_S4_PS3_21rocsparse_index_base_b, .Lfunc_end104-_ZN9rocsparseL19gebsrmvn_1xn_kernelILj128ELj7ELj32EdEEvi20rocsparse_direction_NS_24const_host_device_scalarIT2_EEPKiS6_PKS3_S8_S4_PS3_21rocsparse_index_base_b
                                        ; -- End function
	.set _ZN9rocsparseL19gebsrmvn_1xn_kernelILj128ELj7ELj32EdEEvi20rocsparse_direction_NS_24const_host_device_scalarIT2_EEPKiS6_PKS3_S8_S4_PS3_21rocsparse_index_base_b.num_vgpr, 44
	.set _ZN9rocsparseL19gebsrmvn_1xn_kernelILj128ELj7ELj32EdEEvi20rocsparse_direction_NS_24const_host_device_scalarIT2_EEPKiS6_PKS3_S8_S4_PS3_21rocsparse_index_base_b.num_agpr, 0
	.set _ZN9rocsparseL19gebsrmvn_1xn_kernelILj128ELj7ELj32EdEEvi20rocsparse_direction_NS_24const_host_device_scalarIT2_EEPKiS6_PKS3_S8_S4_PS3_21rocsparse_index_base_b.numbered_sgpr, 14
	.set _ZN9rocsparseL19gebsrmvn_1xn_kernelILj128ELj7ELj32EdEEvi20rocsparse_direction_NS_24const_host_device_scalarIT2_EEPKiS6_PKS3_S8_S4_PS3_21rocsparse_index_base_b.num_named_barrier, 0
	.set _ZN9rocsparseL19gebsrmvn_1xn_kernelILj128ELj7ELj32EdEEvi20rocsparse_direction_NS_24const_host_device_scalarIT2_EEPKiS6_PKS3_S8_S4_PS3_21rocsparse_index_base_b.private_seg_size, 0
	.set _ZN9rocsparseL19gebsrmvn_1xn_kernelILj128ELj7ELj32EdEEvi20rocsparse_direction_NS_24const_host_device_scalarIT2_EEPKiS6_PKS3_S8_S4_PS3_21rocsparse_index_base_b.uses_vcc, 1
	.set _ZN9rocsparseL19gebsrmvn_1xn_kernelILj128ELj7ELj32EdEEvi20rocsparse_direction_NS_24const_host_device_scalarIT2_EEPKiS6_PKS3_S8_S4_PS3_21rocsparse_index_base_b.uses_flat_scratch, 0
	.set _ZN9rocsparseL19gebsrmvn_1xn_kernelILj128ELj7ELj32EdEEvi20rocsparse_direction_NS_24const_host_device_scalarIT2_EEPKiS6_PKS3_S8_S4_PS3_21rocsparse_index_base_b.has_dyn_sized_stack, 0
	.set _ZN9rocsparseL19gebsrmvn_1xn_kernelILj128ELj7ELj32EdEEvi20rocsparse_direction_NS_24const_host_device_scalarIT2_EEPKiS6_PKS3_S8_S4_PS3_21rocsparse_index_base_b.has_recursion, 0
	.set _ZN9rocsparseL19gebsrmvn_1xn_kernelILj128ELj7ELj32EdEEvi20rocsparse_direction_NS_24const_host_device_scalarIT2_EEPKiS6_PKS3_S8_S4_PS3_21rocsparse_index_base_b.has_indirect_call, 0
	.section	.AMDGPU.csdata,"",@progbits
; Kernel info:
; codeLenInByte = 1356
; TotalNumSgprs: 16
; NumVgprs: 44
; ScratchSize: 0
; MemoryBound: 0
; FloatMode: 240
; IeeeMode: 1
; LDSByteSize: 0 bytes/workgroup (compile time only)
; SGPRBlocks: 0
; VGPRBlocks: 5
; NumSGPRsForWavesPerEU: 16
; NumVGPRsForWavesPerEU: 44
; Occupancy: 16
; WaveLimiterHint : 1
; COMPUTE_PGM_RSRC2:SCRATCH_EN: 0
; COMPUTE_PGM_RSRC2:USER_SGPR: 6
; COMPUTE_PGM_RSRC2:TRAP_HANDLER: 0
; COMPUTE_PGM_RSRC2:TGID_X_EN: 1
; COMPUTE_PGM_RSRC2:TGID_Y_EN: 0
; COMPUTE_PGM_RSRC2:TGID_Z_EN: 0
; COMPUTE_PGM_RSRC2:TIDIG_COMP_CNT: 0
	.section	.text._ZN9rocsparseL19gebsrmvn_1xn_kernelILj128ELj7ELj64EdEEvi20rocsparse_direction_NS_24const_host_device_scalarIT2_EEPKiS6_PKS3_S8_S4_PS3_21rocsparse_index_base_b,"axG",@progbits,_ZN9rocsparseL19gebsrmvn_1xn_kernelILj128ELj7ELj64EdEEvi20rocsparse_direction_NS_24const_host_device_scalarIT2_EEPKiS6_PKS3_S8_S4_PS3_21rocsparse_index_base_b,comdat
	.globl	_ZN9rocsparseL19gebsrmvn_1xn_kernelILj128ELj7ELj64EdEEvi20rocsparse_direction_NS_24const_host_device_scalarIT2_EEPKiS6_PKS3_S8_S4_PS3_21rocsparse_index_base_b ; -- Begin function _ZN9rocsparseL19gebsrmvn_1xn_kernelILj128ELj7ELj64EdEEvi20rocsparse_direction_NS_24const_host_device_scalarIT2_EEPKiS6_PKS3_S8_S4_PS3_21rocsparse_index_base_b
	.p2align	8
	.type	_ZN9rocsparseL19gebsrmvn_1xn_kernelILj128ELj7ELj64EdEEvi20rocsparse_direction_NS_24const_host_device_scalarIT2_EEPKiS6_PKS3_S8_S4_PS3_21rocsparse_index_base_b,@function
_ZN9rocsparseL19gebsrmvn_1xn_kernelILj128ELj7ELj64EdEEvi20rocsparse_direction_NS_24const_host_device_scalarIT2_EEPKiS6_PKS3_S8_S4_PS3_21rocsparse_index_base_b: ; @_ZN9rocsparseL19gebsrmvn_1xn_kernelILj128ELj7ELj64EdEEvi20rocsparse_direction_NS_24const_host_device_scalarIT2_EEPKiS6_PKS3_S8_S4_PS3_21rocsparse_index_base_b
; %bb.0:
	s_clause 0x2
	s_load_dwordx2 s[12:13], s[4:5], 0x40
	s_load_dwordx2 s[2:3], s[4:5], 0x8
	;; [unrolled: 1-line block ×3, first 2 shown]
	s_waitcnt lgkmcnt(0)
	s_bitcmp1_b32 s13, 0
	v_mov_b32_e32 v4, s3
	v_mov_b32_e32 v3, s2
	s_cselect_b32 s7, -1, 0
	s_and_b32 vcc_lo, exec_lo, s7
	s_xor_b32 s7, s7, -1
	s_cbranch_vccnz .LBB105_2
; %bb.1:
	v_mov_b32_e32 v1, s2
	v_mov_b32_e32 v2, s3
	flat_load_dwordx2 v[3:4], v[1:2]
.LBB105_2:
	v_mov_b32_e32 v2, s1
	v_mov_b32_e32 v1, s0
	s_andn2_b32 vcc_lo, exec_lo, s7
	s_cbranch_vccnz .LBB105_4
; %bb.3:
	v_mov_b32_e32 v2, s1
	v_mov_b32_e32 v1, s0
	flat_load_dwordx2 v[1:2], v[1:2]
.LBB105_4:
	s_waitcnt vmcnt(0) lgkmcnt(0)
	v_cmp_neq_f64_e32 vcc_lo, 0, v[3:4]
	v_cmp_neq_f64_e64 s0, 1.0, v[1:2]
	s_or_b32 s0, vcc_lo, s0
	s_and_saveexec_b32 s1, s0
	s_cbranch_execz .LBB105_15
; %bb.5:
	s_load_dword s0, s[4:5], 0x0
	v_lshrrev_b32_e32 v5, 6, v0
	v_lshl_or_b32 v5, s6, 1, v5
	s_waitcnt lgkmcnt(0)
	v_cmp_gt_i32_e32 vcc_lo, s0, v5
	s_and_b32 exec_lo, exec_lo, vcc_lo
	s_cbranch_execz .LBB105_15
; %bb.6:
	s_clause 0x1
	s_load_dwordx2 s[0:1], s[4:5], 0x10
	s_load_dwordx2 s[2:3], s[4:5], 0x38
	v_ashrrev_i32_e32 v6, 31, v5
	v_and_b32_e32 v0, 63, v0
	v_lshlrev_b64 v[7:8], 2, v[5:6]
	v_subrev_nc_u32_e32 v9, s12, v0
	s_waitcnt lgkmcnt(0)
	v_add_co_u32 v7, vcc_lo, s0, v7
	v_add_co_ci_u32_e64 v8, null, s1, v8, vcc_lo
	s_mov_b32 s1, exec_lo
	global_load_dwordx2 v[7:8], v[7:8], off
	s_waitcnt vmcnt(0)
	v_subrev_nc_u32_e32 v14, s12, v8
	v_add_nc_u32_e32 v9, v7, v9
	v_mov_b32_e32 v7, 0
	v_mov_b32_e32 v8, 0
	v_cmpx_lt_i32_e64 v9, v14
	s_cbranch_execz .LBB105_10
; %bb.7:
	s_clause 0x1
	s_load_dwordx4 s[8:11], s[4:5], 0x18
	s_load_dwordx2 s[4:5], s[4:5], 0x28
	v_mad_u64_u32 v[11:12], null, v9, 7, 6
	v_mov_b32_e32 v7, 0
	v_mov_b32_e32 v8, 0
	;; [unrolled: 1-line block ×3, first 2 shown]
	s_mov_b32 s6, 0
.LBB105_8:                              ; =>This Inner Loop Header: Depth=1
	v_ashrrev_i32_e32 v10, 31, v9
	v_add_nc_u32_e32 v12, -6, v11
	v_lshlrev_b64 v[15:16], 2, v[9:10]
	v_lshlrev_b64 v[17:18], 3, v[12:13]
	v_add_nc_u32_e32 v12, -5, v11
	v_add_nc_u32_e32 v9, 64, v9
	s_waitcnt lgkmcnt(0)
	v_add_co_u32 v15, vcc_lo, s8, v15
	v_add_co_ci_u32_e64 v16, null, s9, v16, vcc_lo
	v_lshlrev_b64 v[19:20], 3, v[12:13]
	v_add_co_u32 v17, vcc_lo, s10, v17
	global_load_dword v10, v[15:16], off
	v_mov_b32_e32 v16, v13
	v_add_co_ci_u32_e64 v18, null, s11, v18, vcc_lo
	v_add_co_u32 v19, vcc_lo, s10, v19
	v_add_co_ci_u32_e64 v20, null, s11, v20, vcc_lo
	s_waitcnt vmcnt(0)
	v_subrev_nc_u32_e32 v10, s12, v10
	v_mul_lo_u32 v15, v10, 7
	v_lshlrev_b64 v[21:22], 3, v[15:16]
	v_add_nc_u32_e32 v12, 1, v15
	v_add_co_u32 v21, s0, s4, v21
	v_add_co_ci_u32_e64 v22, null, s5, v22, s0
	s_clause 0x1
	global_load_dwordx2 v[16:17], v[17:18], off
	global_load_dwordx2 v[18:19], v[19:20], off
	;; [unrolled: 1-line block ×3, first 2 shown]
	v_lshlrev_b64 v[22:23], 3, v[12:13]
	v_add_nc_u32_e32 v12, -4, v11
	v_lshlrev_b64 v[24:25], 3, v[12:13]
	v_add_co_u32 v22, vcc_lo, s4, v22
	v_add_co_ci_u32_e64 v23, null, s5, v23, vcc_lo
	v_add_nc_u32_e32 v12, 2, v15
	v_add_co_u32 v24, vcc_lo, s10, v24
	global_load_dwordx2 v[22:23], v[22:23], off
	v_add_co_ci_u32_e64 v25, null, s11, v25, vcc_lo
	v_lshlrev_b64 v[26:27], 3, v[12:13]
	v_add_nc_u32_e32 v12, -3, v11
	v_add_co_u32 v26, vcc_lo, s4, v26
	v_add_co_ci_u32_e64 v27, null, s5, v27, vcc_lo
	global_load_dwordx2 v[24:25], v[24:25], off
	global_load_dwordx2 v[26:27], v[26:27], off
	v_lshlrev_b64 v[28:29], 3, v[12:13]
	v_add_nc_u32_e32 v12, 3, v15
	v_lshlrev_b64 v[30:31], 3, v[12:13]
	v_add_co_u32 v28, vcc_lo, s10, v28
	v_add_co_ci_u32_e64 v29, null, s11, v29, vcc_lo
	v_add_nc_u32_e32 v12, -2, v11
	v_add_co_u32 v30, vcc_lo, s4, v30
	v_add_co_ci_u32_e64 v31, null, s5, v31, vcc_lo
	global_load_dwordx2 v[28:29], v[28:29], off
	global_load_dwordx2 v[30:31], v[30:31], off
	v_lshlrev_b64 v[32:33], 3, v[12:13]
	v_add_nc_u32_e32 v12, 4, v15
	v_lshlrev_b64 v[34:35], 3, v[12:13]
	v_add_co_u32 v32, vcc_lo, s10, v32
	v_add_co_ci_u32_e64 v33, null, s11, v33, vcc_lo
	;; [unrolled: 10-line block ×3, first 2 shown]
	v_mov_b32_e32 v12, v13
	v_add_co_u32 v38, vcc_lo, s4, v38
	v_add_co_ci_u32_e64 v39, null, s5, v39, vcc_lo
	global_load_dwordx2 v[36:37], v[36:37], off
	global_load_dwordx2 v[38:39], v[38:39], off
	v_lshlrev_b64 v[40:41], 3, v[11:12]
	v_add_nc_u32_e32 v12, 6, v15
	v_add_nc_u32_e32 v11, 0x1c0, v11
	v_lshlrev_b64 v[42:43], 3, v[12:13]
	v_add_co_u32 v40, vcc_lo, s10, v40
	v_add_co_ci_u32_e64 v41, null, s11, v41, vcc_lo
	v_add_co_u32 v42, vcc_lo, s4, v42
	v_add_co_ci_u32_e64 v43, null, s5, v43, vcc_lo
	global_load_dwordx2 v[40:41], v[40:41], off
	global_load_dwordx2 v[42:43], v[42:43], off
	v_cmp_ge_i32_e32 vcc_lo, v9, v14
	s_or_b32 s6, vcc_lo, s6
	s_waitcnt vmcnt(11)
	v_fma_f64 v[7:8], v[16:17], v[20:21], v[7:8]
	s_waitcnt vmcnt(10)
	v_fma_f64 v[7:8], v[18:19], v[22:23], v[7:8]
	;; [unrolled: 2-line block ×7, first 2 shown]
	s_andn2_b32 exec_lo, exec_lo, s6
	s_cbranch_execnz .LBB105_8
; %bb.9:
	s_or_b32 exec_lo, exec_lo, s6
.LBB105_10:
	s_or_b32 exec_lo, exec_lo, s1
	v_mbcnt_lo_u32_b32 v11, -1, 0
	v_or_b32_e32 v9, 32, v11
	v_cmp_gt_i32_e32 vcc_lo, 32, v9
	v_cndmask_b32_e32 v9, v11, v9, vcc_lo
	v_lshlrev_b32_e32 v10, 2, v9
	ds_bpermute_b32 v9, v10, v7
	ds_bpermute_b32 v10, v10, v8
	s_waitcnt lgkmcnt(0)
	v_add_f64 v[7:8], v[7:8], v[9:10]
	v_xor_b32_e32 v9, 16, v11
	v_cmp_gt_i32_e32 vcc_lo, 32, v9
	v_cndmask_b32_e32 v9, v11, v9, vcc_lo
	v_lshlrev_b32_e32 v10, 2, v9
	ds_bpermute_b32 v9, v10, v7
	ds_bpermute_b32 v10, v10, v8
	s_waitcnt lgkmcnt(0)
	v_add_f64 v[7:8], v[7:8], v[9:10]
	v_xor_b32_e32 v9, 8, v11
	v_cmp_gt_i32_e32 vcc_lo, 32, v9
	v_cndmask_b32_e32 v9, v11, v9, vcc_lo
	v_lshlrev_b32_e32 v10, 2, v9
	ds_bpermute_b32 v9, v10, v7
	ds_bpermute_b32 v10, v10, v8
	s_waitcnt lgkmcnt(0)
	v_add_f64 v[7:8], v[7:8], v[9:10]
	v_xor_b32_e32 v9, 4, v11
	v_cmp_gt_i32_e32 vcc_lo, 32, v9
	v_cndmask_b32_e32 v9, v11, v9, vcc_lo
	v_lshlrev_b32_e32 v10, 2, v9
	ds_bpermute_b32 v9, v10, v7
	ds_bpermute_b32 v10, v10, v8
	s_waitcnt lgkmcnt(0)
	v_add_f64 v[7:8], v[7:8], v[9:10]
	v_xor_b32_e32 v9, 2, v11
	v_cmp_gt_i32_e32 vcc_lo, 32, v9
	v_cndmask_b32_e32 v9, v11, v9, vcc_lo
	v_lshlrev_b32_e32 v10, 2, v9
	ds_bpermute_b32 v9, v10, v7
	ds_bpermute_b32 v10, v10, v8
	s_waitcnt lgkmcnt(0)
	v_add_f64 v[7:8], v[7:8], v[9:10]
	v_xor_b32_e32 v9, 1, v11
	v_cmp_gt_i32_e32 vcc_lo, 32, v9
	v_cndmask_b32_e32 v9, v11, v9, vcc_lo
	v_cmp_eq_u32_e32 vcc_lo, 63, v0
	v_lshlrev_b32_e32 v10, 2, v9
	ds_bpermute_b32 v9, v10, v7
	ds_bpermute_b32 v10, v10, v8
	s_and_b32 exec_lo, exec_lo, vcc_lo
	s_cbranch_execz .LBB105_15
; %bb.11:
	s_waitcnt lgkmcnt(0)
	v_add_f64 v[7:8], v[7:8], v[9:10]
	v_lshlrev_b64 v[5:6], 3, v[5:6]
	s_mov_b32 s0, exec_lo
	v_mul_f64 v[3:4], v[3:4], v[7:8]
	v_cmpx_eq_f64_e32 0, v[1:2]
	s_xor_b32 s0, exec_lo, s0
	s_cbranch_execz .LBB105_13
; %bb.12:
	v_add_co_u32 v0, vcc_lo, s2, v5
	v_add_co_ci_u32_e64 v1, null, s3, v6, vcc_lo
                                        ; implicit-def: $vgpr5_vgpr6
	global_store_dwordx2 v[0:1], v[3:4], off
                                        ; implicit-def: $vgpr1_vgpr2
                                        ; implicit-def: $vgpr3_vgpr4
.LBB105_13:
	s_andn2_saveexec_b32 s0, s0
	s_cbranch_execz .LBB105_15
; %bb.14:
	v_add_co_u32 v5, vcc_lo, s2, v5
	v_add_co_ci_u32_e64 v6, null, s3, v6, vcc_lo
	global_load_dwordx2 v[7:8], v[5:6], off
	s_waitcnt vmcnt(0)
	v_fma_f64 v[0:1], v[1:2], v[7:8], v[3:4]
	global_store_dwordx2 v[5:6], v[0:1], off
.LBB105_15:
	s_endpgm
	.section	.rodata,"a",@progbits
	.p2align	6, 0x0
	.amdhsa_kernel _ZN9rocsparseL19gebsrmvn_1xn_kernelILj128ELj7ELj64EdEEvi20rocsparse_direction_NS_24const_host_device_scalarIT2_EEPKiS6_PKS3_S8_S4_PS3_21rocsparse_index_base_b
		.amdhsa_group_segment_fixed_size 0
		.amdhsa_private_segment_fixed_size 0
		.amdhsa_kernarg_size 72
		.amdhsa_user_sgpr_count 6
		.amdhsa_user_sgpr_private_segment_buffer 1
		.amdhsa_user_sgpr_dispatch_ptr 0
		.amdhsa_user_sgpr_queue_ptr 0
		.amdhsa_user_sgpr_kernarg_segment_ptr 1
		.amdhsa_user_sgpr_dispatch_id 0
		.amdhsa_user_sgpr_flat_scratch_init 0
		.amdhsa_user_sgpr_private_segment_size 0
		.amdhsa_wavefront_size32 1
		.amdhsa_uses_dynamic_stack 0
		.amdhsa_system_sgpr_private_segment_wavefront_offset 0
		.amdhsa_system_sgpr_workgroup_id_x 1
		.amdhsa_system_sgpr_workgroup_id_y 0
		.amdhsa_system_sgpr_workgroup_id_z 0
		.amdhsa_system_sgpr_workgroup_info 0
		.amdhsa_system_vgpr_workitem_id 0
		.amdhsa_next_free_vgpr 44
		.amdhsa_next_free_sgpr 14
		.amdhsa_reserve_vcc 1
		.amdhsa_reserve_flat_scratch 0
		.amdhsa_float_round_mode_32 0
		.amdhsa_float_round_mode_16_64 0
		.amdhsa_float_denorm_mode_32 3
		.amdhsa_float_denorm_mode_16_64 3
		.amdhsa_dx10_clamp 1
		.amdhsa_ieee_mode 1
		.amdhsa_fp16_overflow 0
		.amdhsa_workgroup_processor_mode 1
		.amdhsa_memory_ordered 1
		.amdhsa_forward_progress 1
		.amdhsa_shared_vgpr_count 0
		.amdhsa_exception_fp_ieee_invalid_op 0
		.amdhsa_exception_fp_denorm_src 0
		.amdhsa_exception_fp_ieee_div_zero 0
		.amdhsa_exception_fp_ieee_overflow 0
		.amdhsa_exception_fp_ieee_underflow 0
		.amdhsa_exception_fp_ieee_inexact 0
		.amdhsa_exception_int_div_zero 0
	.end_amdhsa_kernel
	.section	.text._ZN9rocsparseL19gebsrmvn_1xn_kernelILj128ELj7ELj64EdEEvi20rocsparse_direction_NS_24const_host_device_scalarIT2_EEPKiS6_PKS3_S8_S4_PS3_21rocsparse_index_base_b,"axG",@progbits,_ZN9rocsparseL19gebsrmvn_1xn_kernelILj128ELj7ELj64EdEEvi20rocsparse_direction_NS_24const_host_device_scalarIT2_EEPKiS6_PKS3_S8_S4_PS3_21rocsparse_index_base_b,comdat
.Lfunc_end105:
	.size	_ZN9rocsparseL19gebsrmvn_1xn_kernelILj128ELj7ELj64EdEEvi20rocsparse_direction_NS_24const_host_device_scalarIT2_EEPKiS6_PKS3_S8_S4_PS3_21rocsparse_index_base_b, .Lfunc_end105-_ZN9rocsparseL19gebsrmvn_1xn_kernelILj128ELj7ELj64EdEEvi20rocsparse_direction_NS_24const_host_device_scalarIT2_EEPKiS6_PKS3_S8_S4_PS3_21rocsparse_index_base_b
                                        ; -- End function
	.set _ZN9rocsparseL19gebsrmvn_1xn_kernelILj128ELj7ELj64EdEEvi20rocsparse_direction_NS_24const_host_device_scalarIT2_EEPKiS6_PKS3_S8_S4_PS3_21rocsparse_index_base_b.num_vgpr, 44
	.set _ZN9rocsparseL19gebsrmvn_1xn_kernelILj128ELj7ELj64EdEEvi20rocsparse_direction_NS_24const_host_device_scalarIT2_EEPKiS6_PKS3_S8_S4_PS3_21rocsparse_index_base_b.num_agpr, 0
	.set _ZN9rocsparseL19gebsrmvn_1xn_kernelILj128ELj7ELj64EdEEvi20rocsparse_direction_NS_24const_host_device_scalarIT2_EEPKiS6_PKS3_S8_S4_PS3_21rocsparse_index_base_b.numbered_sgpr, 14
	.set _ZN9rocsparseL19gebsrmvn_1xn_kernelILj128ELj7ELj64EdEEvi20rocsparse_direction_NS_24const_host_device_scalarIT2_EEPKiS6_PKS3_S8_S4_PS3_21rocsparse_index_base_b.num_named_barrier, 0
	.set _ZN9rocsparseL19gebsrmvn_1xn_kernelILj128ELj7ELj64EdEEvi20rocsparse_direction_NS_24const_host_device_scalarIT2_EEPKiS6_PKS3_S8_S4_PS3_21rocsparse_index_base_b.private_seg_size, 0
	.set _ZN9rocsparseL19gebsrmvn_1xn_kernelILj128ELj7ELj64EdEEvi20rocsparse_direction_NS_24const_host_device_scalarIT2_EEPKiS6_PKS3_S8_S4_PS3_21rocsparse_index_base_b.uses_vcc, 1
	.set _ZN9rocsparseL19gebsrmvn_1xn_kernelILj128ELj7ELj64EdEEvi20rocsparse_direction_NS_24const_host_device_scalarIT2_EEPKiS6_PKS3_S8_S4_PS3_21rocsparse_index_base_b.uses_flat_scratch, 0
	.set _ZN9rocsparseL19gebsrmvn_1xn_kernelILj128ELj7ELj64EdEEvi20rocsparse_direction_NS_24const_host_device_scalarIT2_EEPKiS6_PKS3_S8_S4_PS3_21rocsparse_index_base_b.has_dyn_sized_stack, 0
	.set _ZN9rocsparseL19gebsrmvn_1xn_kernelILj128ELj7ELj64EdEEvi20rocsparse_direction_NS_24const_host_device_scalarIT2_EEPKiS6_PKS3_S8_S4_PS3_21rocsparse_index_base_b.has_recursion, 0
	.set _ZN9rocsparseL19gebsrmvn_1xn_kernelILj128ELj7ELj64EdEEvi20rocsparse_direction_NS_24const_host_device_scalarIT2_EEPKiS6_PKS3_S8_S4_PS3_21rocsparse_index_base_b.has_indirect_call, 0
	.section	.AMDGPU.csdata,"",@progbits
; Kernel info:
; codeLenInByte = 1400
; TotalNumSgprs: 16
; NumVgprs: 44
; ScratchSize: 0
; MemoryBound: 0
; FloatMode: 240
; IeeeMode: 1
; LDSByteSize: 0 bytes/workgroup (compile time only)
; SGPRBlocks: 0
; VGPRBlocks: 5
; NumSGPRsForWavesPerEU: 16
; NumVGPRsForWavesPerEU: 44
; Occupancy: 16
; WaveLimiterHint : 1
; COMPUTE_PGM_RSRC2:SCRATCH_EN: 0
; COMPUTE_PGM_RSRC2:USER_SGPR: 6
; COMPUTE_PGM_RSRC2:TRAP_HANDLER: 0
; COMPUTE_PGM_RSRC2:TGID_X_EN: 1
; COMPUTE_PGM_RSRC2:TGID_Y_EN: 0
; COMPUTE_PGM_RSRC2:TGID_Z_EN: 0
; COMPUTE_PGM_RSRC2:TIDIG_COMP_CNT: 0
	.section	.text._ZN9rocsparseL19gebsrmvn_1xn_kernelILj128ELj8ELj4EdEEvi20rocsparse_direction_NS_24const_host_device_scalarIT2_EEPKiS6_PKS3_S8_S4_PS3_21rocsparse_index_base_b,"axG",@progbits,_ZN9rocsparseL19gebsrmvn_1xn_kernelILj128ELj8ELj4EdEEvi20rocsparse_direction_NS_24const_host_device_scalarIT2_EEPKiS6_PKS3_S8_S4_PS3_21rocsparse_index_base_b,comdat
	.globl	_ZN9rocsparseL19gebsrmvn_1xn_kernelILj128ELj8ELj4EdEEvi20rocsparse_direction_NS_24const_host_device_scalarIT2_EEPKiS6_PKS3_S8_S4_PS3_21rocsparse_index_base_b ; -- Begin function _ZN9rocsparseL19gebsrmvn_1xn_kernelILj128ELj8ELj4EdEEvi20rocsparse_direction_NS_24const_host_device_scalarIT2_EEPKiS6_PKS3_S8_S4_PS3_21rocsparse_index_base_b
	.p2align	8
	.type	_ZN9rocsparseL19gebsrmvn_1xn_kernelILj128ELj8ELj4EdEEvi20rocsparse_direction_NS_24const_host_device_scalarIT2_EEPKiS6_PKS3_S8_S4_PS3_21rocsparse_index_base_b,@function
_ZN9rocsparseL19gebsrmvn_1xn_kernelILj128ELj8ELj4EdEEvi20rocsparse_direction_NS_24const_host_device_scalarIT2_EEPKiS6_PKS3_S8_S4_PS3_21rocsparse_index_base_b: ; @_ZN9rocsparseL19gebsrmvn_1xn_kernelILj128ELj8ELj4EdEEvi20rocsparse_direction_NS_24const_host_device_scalarIT2_EEPKiS6_PKS3_S8_S4_PS3_21rocsparse_index_base_b
; %bb.0:
	s_clause 0x2
	s_load_dwordx2 s[8:9], s[4:5], 0x40
	s_load_dwordx2 s[2:3], s[4:5], 0x8
	s_load_dwordx2 s[0:1], s[4:5], 0x30
	s_waitcnt lgkmcnt(0)
	s_bitcmp1_b32 s9, 0
	v_mov_b32_e32 v4, s3
	v_mov_b32_e32 v3, s2
	s_cselect_b32 s7, -1, 0
	s_and_b32 vcc_lo, exec_lo, s7
	s_xor_b32 s7, s7, -1
	s_cbranch_vccnz .LBB106_2
; %bb.1:
	v_mov_b32_e32 v1, s2
	v_mov_b32_e32 v2, s3
	flat_load_dwordx2 v[3:4], v[1:2]
.LBB106_2:
	v_mov_b32_e32 v2, s1
	v_mov_b32_e32 v1, s0
	s_andn2_b32 vcc_lo, exec_lo, s7
	s_cbranch_vccnz .LBB106_4
; %bb.3:
	v_mov_b32_e32 v2, s1
	v_mov_b32_e32 v1, s0
	flat_load_dwordx2 v[1:2], v[1:2]
.LBB106_4:
	s_waitcnt vmcnt(0) lgkmcnt(0)
	v_cmp_neq_f64_e32 vcc_lo, 0, v[3:4]
	v_cmp_neq_f64_e64 s0, 1.0, v[1:2]
	s_or_b32 s0, vcc_lo, s0
	s_and_saveexec_b32 s1, s0
	s_cbranch_execz .LBB106_15
; %bb.5:
	s_load_dword s0, s[4:5], 0x0
	v_lshrrev_b32_e32 v5, 2, v0
	v_lshl_or_b32 v5, s6, 5, v5
	s_waitcnt lgkmcnt(0)
	v_cmp_gt_i32_e32 vcc_lo, s0, v5
	s_and_b32 exec_lo, exec_lo, vcc_lo
	s_cbranch_execz .LBB106_15
; %bb.6:
	s_clause 0x1
	s_load_dwordx2 s[0:1], s[4:5], 0x10
	s_load_dwordx2 s[6:7], s[4:5], 0x38
	v_ashrrev_i32_e32 v6, 31, v5
	v_and_b32_e32 v0, 3, v0
	s_mov_b32 s9, exec_lo
	v_lshlrev_b64 v[7:8], 2, v[5:6]
	v_subrev_nc_u32_e32 v9, s8, v0
	s_waitcnt lgkmcnt(0)
	v_add_co_u32 v7, vcc_lo, s0, v7
	v_add_co_ci_u32_e64 v8, null, s1, v8, vcc_lo
	global_load_dwordx2 v[7:8], v[7:8], off
	s_waitcnt vmcnt(0)
	v_subrev_nc_u32_e32 v13, s8, v8
	v_add_nc_u32_e32 v9, v7, v9
	v_mov_b32_e32 v7, 0
	v_mov_b32_e32 v8, 0
	v_cmpx_lt_i32_e64 v9, v13
	s_cbranch_execz .LBB106_10
; %bb.7:
	s_clause 0x1
	s_load_dwordx4 s[0:3], s[4:5], 0x18
	s_load_dwordx2 s[4:5], s[4:5], 0x28
	v_mov_b32_e32 v7, 0
	v_lshlrev_b32_e32 v11, 3, v9
	v_mov_b32_e32 v8, 0
	v_mov_b32_e32 v12, 0
	s_mov_b32 s10, 0
.LBB106_8:                              ; =>This Inner Loop Header: Depth=1
	v_ashrrev_i32_e32 v10, 31, v9
	v_mov_b32_e32 v17, v12
	v_lshlrev_b64 v[14:15], 2, v[9:10]
	v_add_nc_u32_e32 v9, 4, v9
	s_waitcnt lgkmcnt(0)
	v_add_co_u32 v14, vcc_lo, s0, v14
	v_add_co_ci_u32_e64 v15, null, s1, v15, vcc_lo
	global_load_dword v10, v[14:15], off
	v_lshlrev_b64 v[14:15], 3, v[11:12]
	v_add_nc_u32_e32 v11, 32, v11
	v_add_co_u32 v34, vcc_lo, s2, v14
	v_add_co_ci_u32_e64 v35, null, s3, v15, vcc_lo
	s_waitcnt vmcnt(0)
	v_subrev_nc_u32_e32 v10, s8, v10
	v_lshlrev_b32_e32 v16, 3, v10
	v_lshlrev_b64 v[16:17], 3, v[16:17]
	v_add_co_u32 v42, vcc_lo, s4, v16
	v_add_co_ci_u32_e64 v43, null, s5, v17, vcc_lo
	v_cmp_ge_i32_e32 vcc_lo, v9, v13
	s_clause 0x1
	global_load_dwordx4 v[14:17], v[34:35], off offset:16
	global_load_dwordx4 v[18:21], v[34:35], off
	s_clause 0x1
	global_load_dwordx4 v[22:25], v[42:43], off
	global_load_dwordx4 v[26:29], v[42:43], off offset:16
	s_clause 0x1
	global_load_dwordx4 v[30:33], v[34:35], off offset:48
	global_load_dwordx4 v[34:37], v[34:35], off offset:32
	s_clause 0x1
	global_load_dwordx4 v[38:41], v[42:43], off offset:32
	global_load_dwordx4 v[42:45], v[42:43], off offset:48
	s_or_b32 s10, vcc_lo, s10
	s_waitcnt vmcnt(5)
	v_fma_f64 v[7:8], v[18:19], v[22:23], v[7:8]
	v_fma_f64 v[7:8], v[20:21], v[24:25], v[7:8]
	s_waitcnt vmcnt(4)
	v_fma_f64 v[7:8], v[14:15], v[26:27], v[7:8]
	v_fma_f64 v[7:8], v[16:17], v[28:29], v[7:8]
	;; [unrolled: 3-line block ×4, first 2 shown]
	s_andn2_b32 exec_lo, exec_lo, s10
	s_cbranch_execnz .LBB106_8
; %bb.9:
	s_or_b32 exec_lo, exec_lo, s10
.LBB106_10:
	s_or_b32 exec_lo, exec_lo, s9
	v_mbcnt_lo_u32_b32 v11, -1, 0
	v_xor_b32_e32 v9, 2, v11
	v_cmp_gt_i32_e32 vcc_lo, 32, v9
	v_cndmask_b32_e32 v9, v11, v9, vcc_lo
	v_lshlrev_b32_e32 v10, 2, v9
	ds_bpermute_b32 v9, v10, v7
	ds_bpermute_b32 v10, v10, v8
	s_waitcnt lgkmcnt(0)
	v_add_f64 v[7:8], v[7:8], v[9:10]
	v_xor_b32_e32 v9, 1, v11
	v_cmp_gt_i32_e32 vcc_lo, 32, v9
	v_cndmask_b32_e32 v9, v11, v9, vcc_lo
	v_cmp_eq_u32_e32 vcc_lo, 3, v0
	v_lshlrev_b32_e32 v10, 2, v9
	ds_bpermute_b32 v9, v10, v7
	ds_bpermute_b32 v10, v10, v8
	s_and_b32 exec_lo, exec_lo, vcc_lo
	s_cbranch_execz .LBB106_15
; %bb.11:
	s_waitcnt lgkmcnt(0)
	v_add_f64 v[7:8], v[7:8], v[9:10]
	v_lshlrev_b64 v[5:6], 3, v[5:6]
	s_mov_b32 s0, exec_lo
	v_mul_f64 v[3:4], v[3:4], v[7:8]
	v_cmpx_eq_f64_e32 0, v[1:2]
	s_xor_b32 s0, exec_lo, s0
	s_cbranch_execz .LBB106_13
; %bb.12:
	v_add_co_u32 v0, vcc_lo, s6, v5
	v_add_co_ci_u32_e64 v1, null, s7, v6, vcc_lo
                                        ; implicit-def: $vgpr5_vgpr6
	global_store_dwordx2 v[0:1], v[3:4], off
                                        ; implicit-def: $vgpr1_vgpr2
                                        ; implicit-def: $vgpr3_vgpr4
.LBB106_13:
	s_andn2_saveexec_b32 s0, s0
	s_cbranch_execz .LBB106_15
; %bb.14:
	v_add_co_u32 v5, vcc_lo, s6, v5
	v_add_co_ci_u32_e64 v6, null, s7, v6, vcc_lo
	global_load_dwordx2 v[7:8], v[5:6], off
	s_waitcnt vmcnt(0)
	v_fma_f64 v[0:1], v[1:2], v[7:8], v[3:4]
	global_store_dwordx2 v[5:6], v[0:1], off
.LBB106_15:
	s_endpgm
	.section	.rodata,"a",@progbits
	.p2align	6, 0x0
	.amdhsa_kernel _ZN9rocsparseL19gebsrmvn_1xn_kernelILj128ELj8ELj4EdEEvi20rocsparse_direction_NS_24const_host_device_scalarIT2_EEPKiS6_PKS3_S8_S4_PS3_21rocsparse_index_base_b
		.amdhsa_group_segment_fixed_size 0
		.amdhsa_private_segment_fixed_size 0
		.amdhsa_kernarg_size 72
		.amdhsa_user_sgpr_count 6
		.amdhsa_user_sgpr_private_segment_buffer 1
		.amdhsa_user_sgpr_dispatch_ptr 0
		.amdhsa_user_sgpr_queue_ptr 0
		.amdhsa_user_sgpr_kernarg_segment_ptr 1
		.amdhsa_user_sgpr_dispatch_id 0
		.amdhsa_user_sgpr_flat_scratch_init 0
		.amdhsa_user_sgpr_private_segment_size 0
		.amdhsa_wavefront_size32 1
		.amdhsa_uses_dynamic_stack 0
		.amdhsa_system_sgpr_private_segment_wavefront_offset 0
		.amdhsa_system_sgpr_workgroup_id_x 1
		.amdhsa_system_sgpr_workgroup_id_y 0
		.amdhsa_system_sgpr_workgroup_id_z 0
		.amdhsa_system_sgpr_workgroup_info 0
		.amdhsa_system_vgpr_workitem_id 0
		.amdhsa_next_free_vgpr 46
		.amdhsa_next_free_sgpr 11
		.amdhsa_reserve_vcc 1
		.amdhsa_reserve_flat_scratch 0
		.amdhsa_float_round_mode_32 0
		.amdhsa_float_round_mode_16_64 0
		.amdhsa_float_denorm_mode_32 3
		.amdhsa_float_denorm_mode_16_64 3
		.amdhsa_dx10_clamp 1
		.amdhsa_ieee_mode 1
		.amdhsa_fp16_overflow 0
		.amdhsa_workgroup_processor_mode 1
		.amdhsa_memory_ordered 1
		.amdhsa_forward_progress 1
		.amdhsa_shared_vgpr_count 0
		.amdhsa_exception_fp_ieee_invalid_op 0
		.amdhsa_exception_fp_denorm_src 0
		.amdhsa_exception_fp_ieee_div_zero 0
		.amdhsa_exception_fp_ieee_overflow 0
		.amdhsa_exception_fp_ieee_underflow 0
		.amdhsa_exception_fp_ieee_inexact 0
		.amdhsa_exception_int_div_zero 0
	.end_amdhsa_kernel
	.section	.text._ZN9rocsparseL19gebsrmvn_1xn_kernelILj128ELj8ELj4EdEEvi20rocsparse_direction_NS_24const_host_device_scalarIT2_EEPKiS6_PKS3_S8_S4_PS3_21rocsparse_index_base_b,"axG",@progbits,_ZN9rocsparseL19gebsrmvn_1xn_kernelILj128ELj8ELj4EdEEvi20rocsparse_direction_NS_24const_host_device_scalarIT2_EEPKiS6_PKS3_S8_S4_PS3_21rocsparse_index_base_b,comdat
.Lfunc_end106:
	.size	_ZN9rocsparseL19gebsrmvn_1xn_kernelILj128ELj8ELj4EdEEvi20rocsparse_direction_NS_24const_host_device_scalarIT2_EEPKiS6_PKS3_S8_S4_PS3_21rocsparse_index_base_b, .Lfunc_end106-_ZN9rocsparseL19gebsrmvn_1xn_kernelILj128ELj8ELj4EdEEvi20rocsparse_direction_NS_24const_host_device_scalarIT2_EEPKiS6_PKS3_S8_S4_PS3_21rocsparse_index_base_b
                                        ; -- End function
	.set _ZN9rocsparseL19gebsrmvn_1xn_kernelILj128ELj8ELj4EdEEvi20rocsparse_direction_NS_24const_host_device_scalarIT2_EEPKiS6_PKS3_S8_S4_PS3_21rocsparse_index_base_b.num_vgpr, 46
	.set _ZN9rocsparseL19gebsrmvn_1xn_kernelILj128ELj8ELj4EdEEvi20rocsparse_direction_NS_24const_host_device_scalarIT2_EEPKiS6_PKS3_S8_S4_PS3_21rocsparse_index_base_b.num_agpr, 0
	.set _ZN9rocsparseL19gebsrmvn_1xn_kernelILj128ELj8ELj4EdEEvi20rocsparse_direction_NS_24const_host_device_scalarIT2_EEPKiS6_PKS3_S8_S4_PS3_21rocsparse_index_base_b.numbered_sgpr, 11
	.set _ZN9rocsparseL19gebsrmvn_1xn_kernelILj128ELj8ELj4EdEEvi20rocsparse_direction_NS_24const_host_device_scalarIT2_EEPKiS6_PKS3_S8_S4_PS3_21rocsparse_index_base_b.num_named_barrier, 0
	.set _ZN9rocsparseL19gebsrmvn_1xn_kernelILj128ELj8ELj4EdEEvi20rocsparse_direction_NS_24const_host_device_scalarIT2_EEPKiS6_PKS3_S8_S4_PS3_21rocsparse_index_base_b.private_seg_size, 0
	.set _ZN9rocsparseL19gebsrmvn_1xn_kernelILj128ELj8ELj4EdEEvi20rocsparse_direction_NS_24const_host_device_scalarIT2_EEPKiS6_PKS3_S8_S4_PS3_21rocsparse_index_base_b.uses_vcc, 1
	.set _ZN9rocsparseL19gebsrmvn_1xn_kernelILj128ELj8ELj4EdEEvi20rocsparse_direction_NS_24const_host_device_scalarIT2_EEPKiS6_PKS3_S8_S4_PS3_21rocsparse_index_base_b.uses_flat_scratch, 0
	.set _ZN9rocsparseL19gebsrmvn_1xn_kernelILj128ELj8ELj4EdEEvi20rocsparse_direction_NS_24const_host_device_scalarIT2_EEPKiS6_PKS3_S8_S4_PS3_21rocsparse_index_base_b.has_dyn_sized_stack, 0
	.set _ZN9rocsparseL19gebsrmvn_1xn_kernelILj128ELj8ELj4EdEEvi20rocsparse_direction_NS_24const_host_device_scalarIT2_EEPKiS6_PKS3_S8_S4_PS3_21rocsparse_index_base_b.has_recursion, 0
	.set _ZN9rocsparseL19gebsrmvn_1xn_kernelILj128ELj8ELj4EdEEvi20rocsparse_direction_NS_24const_host_device_scalarIT2_EEPKiS6_PKS3_S8_S4_PS3_21rocsparse_index_base_b.has_indirect_call, 0
	.section	.AMDGPU.csdata,"",@progbits
; Kernel info:
; codeLenInByte = 832
; TotalNumSgprs: 13
; NumVgprs: 46
; ScratchSize: 0
; MemoryBound: 1
; FloatMode: 240
; IeeeMode: 1
; LDSByteSize: 0 bytes/workgroup (compile time only)
; SGPRBlocks: 0
; VGPRBlocks: 5
; NumSGPRsForWavesPerEU: 13
; NumVGPRsForWavesPerEU: 46
; Occupancy: 16
; WaveLimiterHint : 1
; COMPUTE_PGM_RSRC2:SCRATCH_EN: 0
; COMPUTE_PGM_RSRC2:USER_SGPR: 6
; COMPUTE_PGM_RSRC2:TRAP_HANDLER: 0
; COMPUTE_PGM_RSRC2:TGID_X_EN: 1
; COMPUTE_PGM_RSRC2:TGID_Y_EN: 0
; COMPUTE_PGM_RSRC2:TGID_Z_EN: 0
; COMPUTE_PGM_RSRC2:TIDIG_COMP_CNT: 0
	.section	.text._ZN9rocsparseL19gebsrmvn_1xn_kernelILj128ELj8ELj8EdEEvi20rocsparse_direction_NS_24const_host_device_scalarIT2_EEPKiS6_PKS3_S8_S4_PS3_21rocsparse_index_base_b,"axG",@progbits,_ZN9rocsparseL19gebsrmvn_1xn_kernelILj128ELj8ELj8EdEEvi20rocsparse_direction_NS_24const_host_device_scalarIT2_EEPKiS6_PKS3_S8_S4_PS3_21rocsparse_index_base_b,comdat
	.globl	_ZN9rocsparseL19gebsrmvn_1xn_kernelILj128ELj8ELj8EdEEvi20rocsparse_direction_NS_24const_host_device_scalarIT2_EEPKiS6_PKS3_S8_S4_PS3_21rocsparse_index_base_b ; -- Begin function _ZN9rocsparseL19gebsrmvn_1xn_kernelILj128ELj8ELj8EdEEvi20rocsparse_direction_NS_24const_host_device_scalarIT2_EEPKiS6_PKS3_S8_S4_PS3_21rocsparse_index_base_b
	.p2align	8
	.type	_ZN9rocsparseL19gebsrmvn_1xn_kernelILj128ELj8ELj8EdEEvi20rocsparse_direction_NS_24const_host_device_scalarIT2_EEPKiS6_PKS3_S8_S4_PS3_21rocsparse_index_base_b,@function
_ZN9rocsparseL19gebsrmvn_1xn_kernelILj128ELj8ELj8EdEEvi20rocsparse_direction_NS_24const_host_device_scalarIT2_EEPKiS6_PKS3_S8_S4_PS3_21rocsparse_index_base_b: ; @_ZN9rocsparseL19gebsrmvn_1xn_kernelILj128ELj8ELj8EdEEvi20rocsparse_direction_NS_24const_host_device_scalarIT2_EEPKiS6_PKS3_S8_S4_PS3_21rocsparse_index_base_b
; %bb.0:
	s_clause 0x2
	s_load_dwordx2 s[8:9], s[4:5], 0x40
	s_load_dwordx2 s[2:3], s[4:5], 0x8
	;; [unrolled: 1-line block ×3, first 2 shown]
	s_waitcnt lgkmcnt(0)
	s_bitcmp1_b32 s9, 0
	v_mov_b32_e32 v4, s3
	v_mov_b32_e32 v3, s2
	s_cselect_b32 s7, -1, 0
	s_and_b32 vcc_lo, exec_lo, s7
	s_xor_b32 s7, s7, -1
	s_cbranch_vccnz .LBB107_2
; %bb.1:
	v_mov_b32_e32 v1, s2
	v_mov_b32_e32 v2, s3
	flat_load_dwordx2 v[3:4], v[1:2]
.LBB107_2:
	v_mov_b32_e32 v2, s1
	v_mov_b32_e32 v1, s0
	s_andn2_b32 vcc_lo, exec_lo, s7
	s_cbranch_vccnz .LBB107_4
; %bb.3:
	v_mov_b32_e32 v2, s1
	v_mov_b32_e32 v1, s0
	flat_load_dwordx2 v[1:2], v[1:2]
.LBB107_4:
	s_waitcnt vmcnt(0) lgkmcnt(0)
	v_cmp_neq_f64_e32 vcc_lo, 0, v[3:4]
	v_cmp_neq_f64_e64 s0, 1.0, v[1:2]
	s_or_b32 s0, vcc_lo, s0
	s_and_saveexec_b32 s1, s0
	s_cbranch_execz .LBB107_15
; %bb.5:
	s_load_dword s0, s[4:5], 0x0
	v_lshrrev_b32_e32 v5, 3, v0
	v_lshl_or_b32 v5, s6, 4, v5
	s_waitcnt lgkmcnt(0)
	v_cmp_gt_i32_e32 vcc_lo, s0, v5
	s_and_b32 exec_lo, exec_lo, vcc_lo
	s_cbranch_execz .LBB107_15
; %bb.6:
	s_clause 0x1
	s_load_dwordx2 s[0:1], s[4:5], 0x10
	s_load_dwordx2 s[6:7], s[4:5], 0x38
	v_ashrrev_i32_e32 v6, 31, v5
	v_and_b32_e32 v0, 7, v0
	s_mov_b32 s9, exec_lo
	v_lshlrev_b64 v[7:8], 2, v[5:6]
	v_subrev_nc_u32_e32 v9, s8, v0
	s_waitcnt lgkmcnt(0)
	v_add_co_u32 v7, vcc_lo, s0, v7
	v_add_co_ci_u32_e64 v8, null, s1, v8, vcc_lo
	global_load_dwordx2 v[7:8], v[7:8], off
	s_waitcnt vmcnt(0)
	v_subrev_nc_u32_e32 v13, s8, v8
	v_add_nc_u32_e32 v9, v7, v9
	v_mov_b32_e32 v7, 0
	v_mov_b32_e32 v8, 0
	v_cmpx_lt_i32_e64 v9, v13
	s_cbranch_execz .LBB107_10
; %bb.7:
	s_clause 0x1
	s_load_dwordx4 s[0:3], s[4:5], 0x18
	s_load_dwordx2 s[4:5], s[4:5], 0x28
	v_mov_b32_e32 v7, 0
	v_lshlrev_b32_e32 v11, 3, v9
	v_mov_b32_e32 v8, 0
	v_mov_b32_e32 v12, 0
	s_mov_b32 s10, 0
.LBB107_8:                              ; =>This Inner Loop Header: Depth=1
	v_ashrrev_i32_e32 v10, 31, v9
	v_mov_b32_e32 v17, v12
	v_lshlrev_b64 v[14:15], 2, v[9:10]
	v_add_nc_u32_e32 v9, 8, v9
	s_waitcnt lgkmcnt(0)
	v_add_co_u32 v14, vcc_lo, s0, v14
	v_add_co_ci_u32_e64 v15, null, s1, v15, vcc_lo
	global_load_dword v10, v[14:15], off
	v_lshlrev_b64 v[14:15], 3, v[11:12]
	v_add_nc_u32_e32 v11, 64, v11
	v_add_co_u32 v34, vcc_lo, s2, v14
	v_add_co_ci_u32_e64 v35, null, s3, v15, vcc_lo
	s_waitcnt vmcnt(0)
	v_subrev_nc_u32_e32 v10, s8, v10
	v_lshlrev_b32_e32 v16, 3, v10
	v_lshlrev_b64 v[16:17], 3, v[16:17]
	v_add_co_u32 v42, vcc_lo, s4, v16
	v_add_co_ci_u32_e64 v43, null, s5, v17, vcc_lo
	v_cmp_ge_i32_e32 vcc_lo, v9, v13
	s_clause 0x1
	global_load_dwordx4 v[14:17], v[34:35], off offset:16
	global_load_dwordx4 v[18:21], v[34:35], off
	s_clause 0x1
	global_load_dwordx4 v[22:25], v[42:43], off
	global_load_dwordx4 v[26:29], v[42:43], off offset:16
	s_clause 0x1
	global_load_dwordx4 v[30:33], v[34:35], off offset:48
	global_load_dwordx4 v[34:37], v[34:35], off offset:32
	s_clause 0x1
	global_load_dwordx4 v[38:41], v[42:43], off offset:32
	global_load_dwordx4 v[42:45], v[42:43], off offset:48
	s_or_b32 s10, vcc_lo, s10
	s_waitcnt vmcnt(5)
	v_fma_f64 v[7:8], v[18:19], v[22:23], v[7:8]
	v_fma_f64 v[7:8], v[20:21], v[24:25], v[7:8]
	s_waitcnt vmcnt(4)
	v_fma_f64 v[7:8], v[14:15], v[26:27], v[7:8]
	v_fma_f64 v[7:8], v[16:17], v[28:29], v[7:8]
	;; [unrolled: 3-line block ×4, first 2 shown]
	s_andn2_b32 exec_lo, exec_lo, s10
	s_cbranch_execnz .LBB107_8
; %bb.9:
	s_or_b32 exec_lo, exec_lo, s10
.LBB107_10:
	s_or_b32 exec_lo, exec_lo, s9
	v_mbcnt_lo_u32_b32 v11, -1, 0
	v_xor_b32_e32 v9, 4, v11
	v_cmp_gt_i32_e32 vcc_lo, 32, v9
	v_cndmask_b32_e32 v9, v11, v9, vcc_lo
	v_lshlrev_b32_e32 v10, 2, v9
	ds_bpermute_b32 v9, v10, v7
	ds_bpermute_b32 v10, v10, v8
	s_waitcnt lgkmcnt(0)
	v_add_f64 v[7:8], v[7:8], v[9:10]
	v_xor_b32_e32 v9, 2, v11
	v_cmp_gt_i32_e32 vcc_lo, 32, v9
	v_cndmask_b32_e32 v9, v11, v9, vcc_lo
	v_lshlrev_b32_e32 v10, 2, v9
	ds_bpermute_b32 v9, v10, v7
	ds_bpermute_b32 v10, v10, v8
	s_waitcnt lgkmcnt(0)
	v_add_f64 v[7:8], v[7:8], v[9:10]
	v_xor_b32_e32 v9, 1, v11
	v_cmp_gt_i32_e32 vcc_lo, 32, v9
	v_cndmask_b32_e32 v9, v11, v9, vcc_lo
	v_cmp_eq_u32_e32 vcc_lo, 7, v0
	v_lshlrev_b32_e32 v10, 2, v9
	ds_bpermute_b32 v9, v10, v7
	ds_bpermute_b32 v10, v10, v8
	s_and_b32 exec_lo, exec_lo, vcc_lo
	s_cbranch_execz .LBB107_15
; %bb.11:
	s_waitcnt lgkmcnt(0)
	v_add_f64 v[7:8], v[7:8], v[9:10]
	v_lshlrev_b64 v[5:6], 3, v[5:6]
	s_mov_b32 s0, exec_lo
	v_mul_f64 v[3:4], v[3:4], v[7:8]
	v_cmpx_eq_f64_e32 0, v[1:2]
	s_xor_b32 s0, exec_lo, s0
	s_cbranch_execz .LBB107_13
; %bb.12:
	v_add_co_u32 v0, vcc_lo, s6, v5
	v_add_co_ci_u32_e64 v1, null, s7, v6, vcc_lo
                                        ; implicit-def: $vgpr5_vgpr6
	global_store_dwordx2 v[0:1], v[3:4], off
                                        ; implicit-def: $vgpr1_vgpr2
                                        ; implicit-def: $vgpr3_vgpr4
.LBB107_13:
	s_andn2_saveexec_b32 s0, s0
	s_cbranch_execz .LBB107_15
; %bb.14:
	v_add_co_u32 v5, vcc_lo, s6, v5
	v_add_co_ci_u32_e64 v6, null, s7, v6, vcc_lo
	global_load_dwordx2 v[7:8], v[5:6], off
	s_waitcnt vmcnt(0)
	v_fma_f64 v[0:1], v[1:2], v[7:8], v[3:4]
	global_store_dwordx2 v[5:6], v[0:1], off
.LBB107_15:
	s_endpgm
	.section	.rodata,"a",@progbits
	.p2align	6, 0x0
	.amdhsa_kernel _ZN9rocsparseL19gebsrmvn_1xn_kernelILj128ELj8ELj8EdEEvi20rocsparse_direction_NS_24const_host_device_scalarIT2_EEPKiS6_PKS3_S8_S4_PS3_21rocsparse_index_base_b
		.amdhsa_group_segment_fixed_size 0
		.amdhsa_private_segment_fixed_size 0
		.amdhsa_kernarg_size 72
		.amdhsa_user_sgpr_count 6
		.amdhsa_user_sgpr_private_segment_buffer 1
		.amdhsa_user_sgpr_dispatch_ptr 0
		.amdhsa_user_sgpr_queue_ptr 0
		.amdhsa_user_sgpr_kernarg_segment_ptr 1
		.amdhsa_user_sgpr_dispatch_id 0
		.amdhsa_user_sgpr_flat_scratch_init 0
		.amdhsa_user_sgpr_private_segment_size 0
		.amdhsa_wavefront_size32 1
		.amdhsa_uses_dynamic_stack 0
		.amdhsa_system_sgpr_private_segment_wavefront_offset 0
		.amdhsa_system_sgpr_workgroup_id_x 1
		.amdhsa_system_sgpr_workgroup_id_y 0
		.amdhsa_system_sgpr_workgroup_id_z 0
		.amdhsa_system_sgpr_workgroup_info 0
		.amdhsa_system_vgpr_workitem_id 0
		.amdhsa_next_free_vgpr 46
		.amdhsa_next_free_sgpr 11
		.amdhsa_reserve_vcc 1
		.amdhsa_reserve_flat_scratch 0
		.amdhsa_float_round_mode_32 0
		.amdhsa_float_round_mode_16_64 0
		.amdhsa_float_denorm_mode_32 3
		.amdhsa_float_denorm_mode_16_64 3
		.amdhsa_dx10_clamp 1
		.amdhsa_ieee_mode 1
		.amdhsa_fp16_overflow 0
		.amdhsa_workgroup_processor_mode 1
		.amdhsa_memory_ordered 1
		.amdhsa_forward_progress 1
		.amdhsa_shared_vgpr_count 0
		.amdhsa_exception_fp_ieee_invalid_op 0
		.amdhsa_exception_fp_denorm_src 0
		.amdhsa_exception_fp_ieee_div_zero 0
		.amdhsa_exception_fp_ieee_overflow 0
		.amdhsa_exception_fp_ieee_underflow 0
		.amdhsa_exception_fp_ieee_inexact 0
		.amdhsa_exception_int_div_zero 0
	.end_amdhsa_kernel
	.section	.text._ZN9rocsparseL19gebsrmvn_1xn_kernelILj128ELj8ELj8EdEEvi20rocsparse_direction_NS_24const_host_device_scalarIT2_EEPKiS6_PKS3_S8_S4_PS3_21rocsparse_index_base_b,"axG",@progbits,_ZN9rocsparseL19gebsrmvn_1xn_kernelILj128ELj8ELj8EdEEvi20rocsparse_direction_NS_24const_host_device_scalarIT2_EEPKiS6_PKS3_S8_S4_PS3_21rocsparse_index_base_b,comdat
.Lfunc_end107:
	.size	_ZN9rocsparseL19gebsrmvn_1xn_kernelILj128ELj8ELj8EdEEvi20rocsparse_direction_NS_24const_host_device_scalarIT2_EEPKiS6_PKS3_S8_S4_PS3_21rocsparse_index_base_b, .Lfunc_end107-_ZN9rocsparseL19gebsrmvn_1xn_kernelILj128ELj8ELj8EdEEvi20rocsparse_direction_NS_24const_host_device_scalarIT2_EEPKiS6_PKS3_S8_S4_PS3_21rocsparse_index_base_b
                                        ; -- End function
	.set _ZN9rocsparseL19gebsrmvn_1xn_kernelILj128ELj8ELj8EdEEvi20rocsparse_direction_NS_24const_host_device_scalarIT2_EEPKiS6_PKS3_S8_S4_PS3_21rocsparse_index_base_b.num_vgpr, 46
	.set _ZN9rocsparseL19gebsrmvn_1xn_kernelILj128ELj8ELj8EdEEvi20rocsparse_direction_NS_24const_host_device_scalarIT2_EEPKiS6_PKS3_S8_S4_PS3_21rocsparse_index_base_b.num_agpr, 0
	.set _ZN9rocsparseL19gebsrmvn_1xn_kernelILj128ELj8ELj8EdEEvi20rocsparse_direction_NS_24const_host_device_scalarIT2_EEPKiS6_PKS3_S8_S4_PS3_21rocsparse_index_base_b.numbered_sgpr, 11
	.set _ZN9rocsparseL19gebsrmvn_1xn_kernelILj128ELj8ELj8EdEEvi20rocsparse_direction_NS_24const_host_device_scalarIT2_EEPKiS6_PKS3_S8_S4_PS3_21rocsparse_index_base_b.num_named_barrier, 0
	.set _ZN9rocsparseL19gebsrmvn_1xn_kernelILj128ELj8ELj8EdEEvi20rocsparse_direction_NS_24const_host_device_scalarIT2_EEPKiS6_PKS3_S8_S4_PS3_21rocsparse_index_base_b.private_seg_size, 0
	.set _ZN9rocsparseL19gebsrmvn_1xn_kernelILj128ELj8ELj8EdEEvi20rocsparse_direction_NS_24const_host_device_scalarIT2_EEPKiS6_PKS3_S8_S4_PS3_21rocsparse_index_base_b.uses_vcc, 1
	.set _ZN9rocsparseL19gebsrmvn_1xn_kernelILj128ELj8ELj8EdEEvi20rocsparse_direction_NS_24const_host_device_scalarIT2_EEPKiS6_PKS3_S8_S4_PS3_21rocsparse_index_base_b.uses_flat_scratch, 0
	.set _ZN9rocsparseL19gebsrmvn_1xn_kernelILj128ELj8ELj8EdEEvi20rocsparse_direction_NS_24const_host_device_scalarIT2_EEPKiS6_PKS3_S8_S4_PS3_21rocsparse_index_base_b.has_dyn_sized_stack, 0
	.set _ZN9rocsparseL19gebsrmvn_1xn_kernelILj128ELj8ELj8EdEEvi20rocsparse_direction_NS_24const_host_device_scalarIT2_EEPKiS6_PKS3_S8_S4_PS3_21rocsparse_index_base_b.has_recursion, 0
	.set _ZN9rocsparseL19gebsrmvn_1xn_kernelILj128ELj8ELj8EdEEvi20rocsparse_direction_NS_24const_host_device_scalarIT2_EEPKiS6_PKS3_S8_S4_PS3_21rocsparse_index_base_b.has_indirect_call, 0
	.section	.AMDGPU.csdata,"",@progbits
; Kernel info:
; codeLenInByte = 876
; TotalNumSgprs: 13
; NumVgprs: 46
; ScratchSize: 0
; MemoryBound: 1
; FloatMode: 240
; IeeeMode: 1
; LDSByteSize: 0 bytes/workgroup (compile time only)
; SGPRBlocks: 0
; VGPRBlocks: 5
; NumSGPRsForWavesPerEU: 13
; NumVGPRsForWavesPerEU: 46
; Occupancy: 16
; WaveLimiterHint : 1
; COMPUTE_PGM_RSRC2:SCRATCH_EN: 0
; COMPUTE_PGM_RSRC2:USER_SGPR: 6
; COMPUTE_PGM_RSRC2:TRAP_HANDLER: 0
; COMPUTE_PGM_RSRC2:TGID_X_EN: 1
; COMPUTE_PGM_RSRC2:TGID_Y_EN: 0
; COMPUTE_PGM_RSRC2:TGID_Z_EN: 0
; COMPUTE_PGM_RSRC2:TIDIG_COMP_CNT: 0
	.section	.text._ZN9rocsparseL19gebsrmvn_1xn_kernelILj128ELj8ELj16EdEEvi20rocsparse_direction_NS_24const_host_device_scalarIT2_EEPKiS6_PKS3_S8_S4_PS3_21rocsparse_index_base_b,"axG",@progbits,_ZN9rocsparseL19gebsrmvn_1xn_kernelILj128ELj8ELj16EdEEvi20rocsparse_direction_NS_24const_host_device_scalarIT2_EEPKiS6_PKS3_S8_S4_PS3_21rocsparse_index_base_b,comdat
	.globl	_ZN9rocsparseL19gebsrmvn_1xn_kernelILj128ELj8ELj16EdEEvi20rocsparse_direction_NS_24const_host_device_scalarIT2_EEPKiS6_PKS3_S8_S4_PS3_21rocsparse_index_base_b ; -- Begin function _ZN9rocsparseL19gebsrmvn_1xn_kernelILj128ELj8ELj16EdEEvi20rocsparse_direction_NS_24const_host_device_scalarIT2_EEPKiS6_PKS3_S8_S4_PS3_21rocsparse_index_base_b
	.p2align	8
	.type	_ZN9rocsparseL19gebsrmvn_1xn_kernelILj128ELj8ELj16EdEEvi20rocsparse_direction_NS_24const_host_device_scalarIT2_EEPKiS6_PKS3_S8_S4_PS3_21rocsparse_index_base_b,@function
_ZN9rocsparseL19gebsrmvn_1xn_kernelILj128ELj8ELj16EdEEvi20rocsparse_direction_NS_24const_host_device_scalarIT2_EEPKiS6_PKS3_S8_S4_PS3_21rocsparse_index_base_b: ; @_ZN9rocsparseL19gebsrmvn_1xn_kernelILj128ELj8ELj16EdEEvi20rocsparse_direction_NS_24const_host_device_scalarIT2_EEPKiS6_PKS3_S8_S4_PS3_21rocsparse_index_base_b
; %bb.0:
	s_clause 0x2
	s_load_dwordx2 s[8:9], s[4:5], 0x40
	s_load_dwordx2 s[2:3], s[4:5], 0x8
	s_load_dwordx2 s[0:1], s[4:5], 0x30
	s_waitcnt lgkmcnt(0)
	s_bitcmp1_b32 s9, 0
	v_mov_b32_e32 v4, s3
	v_mov_b32_e32 v3, s2
	s_cselect_b32 s7, -1, 0
	s_and_b32 vcc_lo, exec_lo, s7
	s_xor_b32 s7, s7, -1
	s_cbranch_vccnz .LBB108_2
; %bb.1:
	v_mov_b32_e32 v1, s2
	v_mov_b32_e32 v2, s3
	flat_load_dwordx2 v[3:4], v[1:2]
.LBB108_2:
	v_mov_b32_e32 v2, s1
	v_mov_b32_e32 v1, s0
	s_andn2_b32 vcc_lo, exec_lo, s7
	s_cbranch_vccnz .LBB108_4
; %bb.3:
	v_mov_b32_e32 v2, s1
	v_mov_b32_e32 v1, s0
	flat_load_dwordx2 v[1:2], v[1:2]
.LBB108_4:
	s_waitcnt vmcnt(0) lgkmcnt(0)
	v_cmp_neq_f64_e32 vcc_lo, 0, v[3:4]
	v_cmp_neq_f64_e64 s0, 1.0, v[1:2]
	s_or_b32 s0, vcc_lo, s0
	s_and_saveexec_b32 s1, s0
	s_cbranch_execz .LBB108_15
; %bb.5:
	s_load_dword s0, s[4:5], 0x0
	v_lshrrev_b32_e32 v5, 4, v0
	v_lshl_or_b32 v5, s6, 3, v5
	s_waitcnt lgkmcnt(0)
	v_cmp_gt_i32_e32 vcc_lo, s0, v5
	s_and_b32 exec_lo, exec_lo, vcc_lo
	s_cbranch_execz .LBB108_15
; %bb.6:
	s_clause 0x1
	s_load_dwordx2 s[0:1], s[4:5], 0x10
	s_load_dwordx2 s[6:7], s[4:5], 0x38
	v_ashrrev_i32_e32 v6, 31, v5
	v_and_b32_e32 v0, 15, v0
	s_mov_b32 s9, exec_lo
	v_lshlrev_b64 v[7:8], 2, v[5:6]
	v_subrev_nc_u32_e32 v9, s8, v0
	s_waitcnt lgkmcnt(0)
	v_add_co_u32 v7, vcc_lo, s0, v7
	v_add_co_ci_u32_e64 v8, null, s1, v8, vcc_lo
	global_load_dwordx2 v[7:8], v[7:8], off
	s_waitcnt vmcnt(0)
	v_subrev_nc_u32_e32 v13, s8, v8
	v_add_nc_u32_e32 v9, v7, v9
	v_mov_b32_e32 v7, 0
	v_mov_b32_e32 v8, 0
	v_cmpx_lt_i32_e64 v9, v13
	s_cbranch_execz .LBB108_10
; %bb.7:
	s_clause 0x1
	s_load_dwordx4 s[0:3], s[4:5], 0x18
	s_load_dwordx2 s[4:5], s[4:5], 0x28
	v_mov_b32_e32 v7, 0
	v_lshlrev_b32_e32 v11, 3, v9
	v_mov_b32_e32 v8, 0
	v_mov_b32_e32 v12, 0
	s_mov_b32 s10, 0
.LBB108_8:                              ; =>This Inner Loop Header: Depth=1
	v_ashrrev_i32_e32 v10, 31, v9
	v_mov_b32_e32 v17, v12
	v_lshlrev_b64 v[14:15], 2, v[9:10]
	v_add_nc_u32_e32 v9, 16, v9
	s_waitcnt lgkmcnt(0)
	v_add_co_u32 v14, vcc_lo, s0, v14
	v_add_co_ci_u32_e64 v15, null, s1, v15, vcc_lo
	global_load_dword v10, v[14:15], off
	v_lshlrev_b64 v[14:15], 3, v[11:12]
	v_add_nc_u32_e32 v11, 0x80, v11
	v_add_co_u32 v34, vcc_lo, s2, v14
	v_add_co_ci_u32_e64 v35, null, s3, v15, vcc_lo
	s_waitcnt vmcnt(0)
	v_subrev_nc_u32_e32 v10, s8, v10
	v_lshlrev_b32_e32 v16, 3, v10
	v_lshlrev_b64 v[16:17], 3, v[16:17]
	v_add_co_u32 v42, vcc_lo, s4, v16
	v_add_co_ci_u32_e64 v43, null, s5, v17, vcc_lo
	v_cmp_ge_i32_e32 vcc_lo, v9, v13
	s_clause 0x1
	global_load_dwordx4 v[14:17], v[34:35], off offset:16
	global_load_dwordx4 v[18:21], v[34:35], off
	s_clause 0x1
	global_load_dwordx4 v[22:25], v[42:43], off
	global_load_dwordx4 v[26:29], v[42:43], off offset:16
	s_clause 0x1
	global_load_dwordx4 v[30:33], v[34:35], off offset:48
	global_load_dwordx4 v[34:37], v[34:35], off offset:32
	s_clause 0x1
	global_load_dwordx4 v[38:41], v[42:43], off offset:32
	global_load_dwordx4 v[42:45], v[42:43], off offset:48
	s_or_b32 s10, vcc_lo, s10
	s_waitcnt vmcnt(5)
	v_fma_f64 v[7:8], v[18:19], v[22:23], v[7:8]
	v_fma_f64 v[7:8], v[20:21], v[24:25], v[7:8]
	s_waitcnt vmcnt(4)
	v_fma_f64 v[7:8], v[14:15], v[26:27], v[7:8]
	v_fma_f64 v[7:8], v[16:17], v[28:29], v[7:8]
	;; [unrolled: 3-line block ×4, first 2 shown]
	s_andn2_b32 exec_lo, exec_lo, s10
	s_cbranch_execnz .LBB108_8
; %bb.9:
	s_or_b32 exec_lo, exec_lo, s10
.LBB108_10:
	s_or_b32 exec_lo, exec_lo, s9
	v_mbcnt_lo_u32_b32 v11, -1, 0
	v_xor_b32_e32 v9, 8, v11
	v_cmp_gt_i32_e32 vcc_lo, 32, v9
	v_cndmask_b32_e32 v9, v11, v9, vcc_lo
	v_lshlrev_b32_e32 v10, 2, v9
	ds_bpermute_b32 v9, v10, v7
	ds_bpermute_b32 v10, v10, v8
	s_waitcnt lgkmcnt(0)
	v_add_f64 v[7:8], v[7:8], v[9:10]
	v_xor_b32_e32 v9, 4, v11
	v_cmp_gt_i32_e32 vcc_lo, 32, v9
	v_cndmask_b32_e32 v9, v11, v9, vcc_lo
	v_lshlrev_b32_e32 v10, 2, v9
	ds_bpermute_b32 v9, v10, v7
	ds_bpermute_b32 v10, v10, v8
	s_waitcnt lgkmcnt(0)
	v_add_f64 v[7:8], v[7:8], v[9:10]
	;; [unrolled: 8-line block ×3, first 2 shown]
	v_xor_b32_e32 v9, 1, v11
	v_cmp_gt_i32_e32 vcc_lo, 32, v9
	v_cndmask_b32_e32 v9, v11, v9, vcc_lo
	v_cmp_eq_u32_e32 vcc_lo, 15, v0
	v_lshlrev_b32_e32 v10, 2, v9
	ds_bpermute_b32 v9, v10, v7
	ds_bpermute_b32 v10, v10, v8
	s_and_b32 exec_lo, exec_lo, vcc_lo
	s_cbranch_execz .LBB108_15
; %bb.11:
	s_waitcnt lgkmcnt(0)
	v_add_f64 v[7:8], v[7:8], v[9:10]
	v_lshlrev_b64 v[5:6], 3, v[5:6]
	s_mov_b32 s0, exec_lo
	v_mul_f64 v[3:4], v[3:4], v[7:8]
	v_cmpx_eq_f64_e32 0, v[1:2]
	s_xor_b32 s0, exec_lo, s0
	s_cbranch_execz .LBB108_13
; %bb.12:
	v_add_co_u32 v0, vcc_lo, s6, v5
	v_add_co_ci_u32_e64 v1, null, s7, v6, vcc_lo
                                        ; implicit-def: $vgpr5_vgpr6
	global_store_dwordx2 v[0:1], v[3:4], off
                                        ; implicit-def: $vgpr1_vgpr2
                                        ; implicit-def: $vgpr3_vgpr4
.LBB108_13:
	s_andn2_saveexec_b32 s0, s0
	s_cbranch_execz .LBB108_15
; %bb.14:
	v_add_co_u32 v5, vcc_lo, s6, v5
	v_add_co_ci_u32_e64 v6, null, s7, v6, vcc_lo
	global_load_dwordx2 v[7:8], v[5:6], off
	s_waitcnt vmcnt(0)
	v_fma_f64 v[0:1], v[1:2], v[7:8], v[3:4]
	global_store_dwordx2 v[5:6], v[0:1], off
.LBB108_15:
	s_endpgm
	.section	.rodata,"a",@progbits
	.p2align	6, 0x0
	.amdhsa_kernel _ZN9rocsparseL19gebsrmvn_1xn_kernelILj128ELj8ELj16EdEEvi20rocsparse_direction_NS_24const_host_device_scalarIT2_EEPKiS6_PKS3_S8_S4_PS3_21rocsparse_index_base_b
		.amdhsa_group_segment_fixed_size 0
		.amdhsa_private_segment_fixed_size 0
		.amdhsa_kernarg_size 72
		.amdhsa_user_sgpr_count 6
		.amdhsa_user_sgpr_private_segment_buffer 1
		.amdhsa_user_sgpr_dispatch_ptr 0
		.amdhsa_user_sgpr_queue_ptr 0
		.amdhsa_user_sgpr_kernarg_segment_ptr 1
		.amdhsa_user_sgpr_dispatch_id 0
		.amdhsa_user_sgpr_flat_scratch_init 0
		.amdhsa_user_sgpr_private_segment_size 0
		.amdhsa_wavefront_size32 1
		.amdhsa_uses_dynamic_stack 0
		.amdhsa_system_sgpr_private_segment_wavefront_offset 0
		.amdhsa_system_sgpr_workgroup_id_x 1
		.amdhsa_system_sgpr_workgroup_id_y 0
		.amdhsa_system_sgpr_workgroup_id_z 0
		.amdhsa_system_sgpr_workgroup_info 0
		.amdhsa_system_vgpr_workitem_id 0
		.amdhsa_next_free_vgpr 46
		.amdhsa_next_free_sgpr 11
		.amdhsa_reserve_vcc 1
		.amdhsa_reserve_flat_scratch 0
		.amdhsa_float_round_mode_32 0
		.amdhsa_float_round_mode_16_64 0
		.amdhsa_float_denorm_mode_32 3
		.amdhsa_float_denorm_mode_16_64 3
		.amdhsa_dx10_clamp 1
		.amdhsa_ieee_mode 1
		.amdhsa_fp16_overflow 0
		.amdhsa_workgroup_processor_mode 1
		.amdhsa_memory_ordered 1
		.amdhsa_forward_progress 1
		.amdhsa_shared_vgpr_count 0
		.amdhsa_exception_fp_ieee_invalid_op 0
		.amdhsa_exception_fp_denorm_src 0
		.amdhsa_exception_fp_ieee_div_zero 0
		.amdhsa_exception_fp_ieee_overflow 0
		.amdhsa_exception_fp_ieee_underflow 0
		.amdhsa_exception_fp_ieee_inexact 0
		.amdhsa_exception_int_div_zero 0
	.end_amdhsa_kernel
	.section	.text._ZN9rocsparseL19gebsrmvn_1xn_kernelILj128ELj8ELj16EdEEvi20rocsparse_direction_NS_24const_host_device_scalarIT2_EEPKiS6_PKS3_S8_S4_PS3_21rocsparse_index_base_b,"axG",@progbits,_ZN9rocsparseL19gebsrmvn_1xn_kernelILj128ELj8ELj16EdEEvi20rocsparse_direction_NS_24const_host_device_scalarIT2_EEPKiS6_PKS3_S8_S4_PS3_21rocsparse_index_base_b,comdat
.Lfunc_end108:
	.size	_ZN9rocsparseL19gebsrmvn_1xn_kernelILj128ELj8ELj16EdEEvi20rocsparse_direction_NS_24const_host_device_scalarIT2_EEPKiS6_PKS3_S8_S4_PS3_21rocsparse_index_base_b, .Lfunc_end108-_ZN9rocsparseL19gebsrmvn_1xn_kernelILj128ELj8ELj16EdEEvi20rocsparse_direction_NS_24const_host_device_scalarIT2_EEPKiS6_PKS3_S8_S4_PS3_21rocsparse_index_base_b
                                        ; -- End function
	.set _ZN9rocsparseL19gebsrmvn_1xn_kernelILj128ELj8ELj16EdEEvi20rocsparse_direction_NS_24const_host_device_scalarIT2_EEPKiS6_PKS3_S8_S4_PS3_21rocsparse_index_base_b.num_vgpr, 46
	.set _ZN9rocsparseL19gebsrmvn_1xn_kernelILj128ELj8ELj16EdEEvi20rocsparse_direction_NS_24const_host_device_scalarIT2_EEPKiS6_PKS3_S8_S4_PS3_21rocsparse_index_base_b.num_agpr, 0
	.set _ZN9rocsparseL19gebsrmvn_1xn_kernelILj128ELj8ELj16EdEEvi20rocsparse_direction_NS_24const_host_device_scalarIT2_EEPKiS6_PKS3_S8_S4_PS3_21rocsparse_index_base_b.numbered_sgpr, 11
	.set _ZN9rocsparseL19gebsrmvn_1xn_kernelILj128ELj8ELj16EdEEvi20rocsparse_direction_NS_24const_host_device_scalarIT2_EEPKiS6_PKS3_S8_S4_PS3_21rocsparse_index_base_b.num_named_barrier, 0
	.set _ZN9rocsparseL19gebsrmvn_1xn_kernelILj128ELj8ELj16EdEEvi20rocsparse_direction_NS_24const_host_device_scalarIT2_EEPKiS6_PKS3_S8_S4_PS3_21rocsparse_index_base_b.private_seg_size, 0
	.set _ZN9rocsparseL19gebsrmvn_1xn_kernelILj128ELj8ELj16EdEEvi20rocsparse_direction_NS_24const_host_device_scalarIT2_EEPKiS6_PKS3_S8_S4_PS3_21rocsparse_index_base_b.uses_vcc, 1
	.set _ZN9rocsparseL19gebsrmvn_1xn_kernelILj128ELj8ELj16EdEEvi20rocsparse_direction_NS_24const_host_device_scalarIT2_EEPKiS6_PKS3_S8_S4_PS3_21rocsparse_index_base_b.uses_flat_scratch, 0
	.set _ZN9rocsparseL19gebsrmvn_1xn_kernelILj128ELj8ELj16EdEEvi20rocsparse_direction_NS_24const_host_device_scalarIT2_EEPKiS6_PKS3_S8_S4_PS3_21rocsparse_index_base_b.has_dyn_sized_stack, 0
	.set _ZN9rocsparseL19gebsrmvn_1xn_kernelILj128ELj8ELj16EdEEvi20rocsparse_direction_NS_24const_host_device_scalarIT2_EEPKiS6_PKS3_S8_S4_PS3_21rocsparse_index_base_b.has_recursion, 0
	.set _ZN9rocsparseL19gebsrmvn_1xn_kernelILj128ELj8ELj16EdEEvi20rocsparse_direction_NS_24const_host_device_scalarIT2_EEPKiS6_PKS3_S8_S4_PS3_21rocsparse_index_base_b.has_indirect_call, 0
	.section	.AMDGPU.csdata,"",@progbits
; Kernel info:
; codeLenInByte = 924
; TotalNumSgprs: 13
; NumVgprs: 46
; ScratchSize: 0
; MemoryBound: 1
; FloatMode: 240
; IeeeMode: 1
; LDSByteSize: 0 bytes/workgroup (compile time only)
; SGPRBlocks: 0
; VGPRBlocks: 5
; NumSGPRsForWavesPerEU: 13
; NumVGPRsForWavesPerEU: 46
; Occupancy: 16
; WaveLimiterHint : 1
; COMPUTE_PGM_RSRC2:SCRATCH_EN: 0
; COMPUTE_PGM_RSRC2:USER_SGPR: 6
; COMPUTE_PGM_RSRC2:TRAP_HANDLER: 0
; COMPUTE_PGM_RSRC2:TGID_X_EN: 1
; COMPUTE_PGM_RSRC2:TGID_Y_EN: 0
; COMPUTE_PGM_RSRC2:TGID_Z_EN: 0
; COMPUTE_PGM_RSRC2:TIDIG_COMP_CNT: 0
	.section	.text._ZN9rocsparseL19gebsrmvn_1xn_kernelILj128ELj8ELj32EdEEvi20rocsparse_direction_NS_24const_host_device_scalarIT2_EEPKiS6_PKS3_S8_S4_PS3_21rocsparse_index_base_b,"axG",@progbits,_ZN9rocsparseL19gebsrmvn_1xn_kernelILj128ELj8ELj32EdEEvi20rocsparse_direction_NS_24const_host_device_scalarIT2_EEPKiS6_PKS3_S8_S4_PS3_21rocsparse_index_base_b,comdat
	.globl	_ZN9rocsparseL19gebsrmvn_1xn_kernelILj128ELj8ELj32EdEEvi20rocsparse_direction_NS_24const_host_device_scalarIT2_EEPKiS6_PKS3_S8_S4_PS3_21rocsparse_index_base_b ; -- Begin function _ZN9rocsparseL19gebsrmvn_1xn_kernelILj128ELj8ELj32EdEEvi20rocsparse_direction_NS_24const_host_device_scalarIT2_EEPKiS6_PKS3_S8_S4_PS3_21rocsparse_index_base_b
	.p2align	8
	.type	_ZN9rocsparseL19gebsrmvn_1xn_kernelILj128ELj8ELj32EdEEvi20rocsparse_direction_NS_24const_host_device_scalarIT2_EEPKiS6_PKS3_S8_S4_PS3_21rocsparse_index_base_b,@function
_ZN9rocsparseL19gebsrmvn_1xn_kernelILj128ELj8ELj32EdEEvi20rocsparse_direction_NS_24const_host_device_scalarIT2_EEPKiS6_PKS3_S8_S4_PS3_21rocsparse_index_base_b: ; @_ZN9rocsparseL19gebsrmvn_1xn_kernelILj128ELj8ELj32EdEEvi20rocsparse_direction_NS_24const_host_device_scalarIT2_EEPKiS6_PKS3_S8_S4_PS3_21rocsparse_index_base_b
; %bb.0:
	s_clause 0x2
	s_load_dwordx2 s[8:9], s[4:5], 0x40
	s_load_dwordx2 s[2:3], s[4:5], 0x8
	;; [unrolled: 1-line block ×3, first 2 shown]
	s_waitcnt lgkmcnt(0)
	s_bitcmp1_b32 s9, 0
	v_mov_b32_e32 v4, s3
	v_mov_b32_e32 v3, s2
	s_cselect_b32 s7, -1, 0
	s_and_b32 vcc_lo, exec_lo, s7
	s_xor_b32 s7, s7, -1
	s_cbranch_vccnz .LBB109_2
; %bb.1:
	v_mov_b32_e32 v1, s2
	v_mov_b32_e32 v2, s3
	flat_load_dwordx2 v[3:4], v[1:2]
.LBB109_2:
	v_mov_b32_e32 v2, s1
	v_mov_b32_e32 v1, s0
	s_andn2_b32 vcc_lo, exec_lo, s7
	s_cbranch_vccnz .LBB109_4
; %bb.3:
	v_mov_b32_e32 v2, s1
	v_mov_b32_e32 v1, s0
	flat_load_dwordx2 v[1:2], v[1:2]
.LBB109_4:
	s_waitcnt vmcnt(0) lgkmcnt(0)
	v_cmp_neq_f64_e32 vcc_lo, 0, v[3:4]
	v_cmp_neq_f64_e64 s0, 1.0, v[1:2]
	s_or_b32 s0, vcc_lo, s0
	s_and_saveexec_b32 s1, s0
	s_cbranch_execz .LBB109_15
; %bb.5:
	s_load_dword s0, s[4:5], 0x0
	v_lshrrev_b32_e32 v5, 5, v0
	v_lshl_or_b32 v5, s6, 2, v5
	s_waitcnt lgkmcnt(0)
	v_cmp_gt_i32_e32 vcc_lo, s0, v5
	s_and_b32 exec_lo, exec_lo, vcc_lo
	s_cbranch_execz .LBB109_15
; %bb.6:
	s_clause 0x1
	s_load_dwordx2 s[0:1], s[4:5], 0x10
	s_load_dwordx2 s[6:7], s[4:5], 0x38
	v_ashrrev_i32_e32 v6, 31, v5
	v_and_b32_e32 v0, 31, v0
	s_mov_b32 s9, exec_lo
	v_lshlrev_b64 v[7:8], 2, v[5:6]
	v_subrev_nc_u32_e32 v9, s8, v0
	s_waitcnt lgkmcnt(0)
	v_add_co_u32 v7, vcc_lo, s0, v7
	v_add_co_ci_u32_e64 v8, null, s1, v8, vcc_lo
	global_load_dwordx2 v[7:8], v[7:8], off
	s_waitcnt vmcnt(0)
	v_subrev_nc_u32_e32 v13, s8, v8
	v_add_nc_u32_e32 v9, v7, v9
	v_mov_b32_e32 v7, 0
	v_mov_b32_e32 v8, 0
	v_cmpx_lt_i32_e64 v9, v13
	s_cbranch_execz .LBB109_10
; %bb.7:
	s_clause 0x1
	s_load_dwordx4 s[0:3], s[4:5], 0x18
	s_load_dwordx2 s[4:5], s[4:5], 0x28
	v_mov_b32_e32 v7, 0
	v_lshlrev_b32_e32 v11, 3, v9
	v_mov_b32_e32 v8, 0
	v_mov_b32_e32 v12, 0
	s_mov_b32 s10, 0
.LBB109_8:                              ; =>This Inner Loop Header: Depth=1
	v_ashrrev_i32_e32 v10, 31, v9
	v_mov_b32_e32 v17, v12
	v_lshlrev_b64 v[14:15], 2, v[9:10]
	v_add_nc_u32_e32 v9, 32, v9
	s_waitcnt lgkmcnt(0)
	v_add_co_u32 v14, vcc_lo, s0, v14
	v_add_co_ci_u32_e64 v15, null, s1, v15, vcc_lo
	global_load_dword v10, v[14:15], off
	v_lshlrev_b64 v[14:15], 3, v[11:12]
	v_add_nc_u32_e32 v11, 0x100, v11
	v_add_co_u32 v34, vcc_lo, s2, v14
	v_add_co_ci_u32_e64 v35, null, s3, v15, vcc_lo
	s_waitcnt vmcnt(0)
	v_subrev_nc_u32_e32 v10, s8, v10
	v_lshlrev_b32_e32 v16, 3, v10
	v_lshlrev_b64 v[16:17], 3, v[16:17]
	v_add_co_u32 v42, vcc_lo, s4, v16
	v_add_co_ci_u32_e64 v43, null, s5, v17, vcc_lo
	v_cmp_ge_i32_e32 vcc_lo, v9, v13
	s_clause 0x1
	global_load_dwordx4 v[14:17], v[34:35], off offset:16
	global_load_dwordx4 v[18:21], v[34:35], off
	s_clause 0x1
	global_load_dwordx4 v[22:25], v[42:43], off
	global_load_dwordx4 v[26:29], v[42:43], off offset:16
	s_clause 0x1
	global_load_dwordx4 v[30:33], v[34:35], off offset:48
	global_load_dwordx4 v[34:37], v[34:35], off offset:32
	s_clause 0x1
	global_load_dwordx4 v[38:41], v[42:43], off offset:32
	global_load_dwordx4 v[42:45], v[42:43], off offset:48
	s_or_b32 s10, vcc_lo, s10
	s_waitcnt vmcnt(5)
	v_fma_f64 v[7:8], v[18:19], v[22:23], v[7:8]
	v_fma_f64 v[7:8], v[20:21], v[24:25], v[7:8]
	s_waitcnt vmcnt(4)
	v_fma_f64 v[7:8], v[14:15], v[26:27], v[7:8]
	v_fma_f64 v[7:8], v[16:17], v[28:29], v[7:8]
	;; [unrolled: 3-line block ×4, first 2 shown]
	s_andn2_b32 exec_lo, exec_lo, s10
	s_cbranch_execnz .LBB109_8
; %bb.9:
	s_or_b32 exec_lo, exec_lo, s10
.LBB109_10:
	s_or_b32 exec_lo, exec_lo, s9
	v_mbcnt_lo_u32_b32 v11, -1, 0
	v_xor_b32_e32 v9, 16, v11
	v_cmp_gt_i32_e32 vcc_lo, 32, v9
	v_cndmask_b32_e32 v9, v11, v9, vcc_lo
	v_lshlrev_b32_e32 v10, 2, v9
	ds_bpermute_b32 v9, v10, v7
	ds_bpermute_b32 v10, v10, v8
	s_waitcnt lgkmcnt(0)
	v_add_f64 v[7:8], v[7:8], v[9:10]
	v_xor_b32_e32 v9, 8, v11
	v_cmp_gt_i32_e32 vcc_lo, 32, v9
	v_cndmask_b32_e32 v9, v11, v9, vcc_lo
	v_lshlrev_b32_e32 v10, 2, v9
	ds_bpermute_b32 v9, v10, v7
	ds_bpermute_b32 v10, v10, v8
	s_waitcnt lgkmcnt(0)
	v_add_f64 v[7:8], v[7:8], v[9:10]
	;; [unrolled: 8-line block ×4, first 2 shown]
	v_xor_b32_e32 v9, 1, v11
	v_cmp_gt_i32_e32 vcc_lo, 32, v9
	v_cndmask_b32_e32 v9, v11, v9, vcc_lo
	v_cmp_eq_u32_e32 vcc_lo, 31, v0
	v_lshlrev_b32_e32 v10, 2, v9
	ds_bpermute_b32 v9, v10, v7
	ds_bpermute_b32 v10, v10, v8
	s_and_b32 exec_lo, exec_lo, vcc_lo
	s_cbranch_execz .LBB109_15
; %bb.11:
	s_waitcnt lgkmcnt(0)
	v_add_f64 v[7:8], v[7:8], v[9:10]
	v_lshlrev_b64 v[5:6], 3, v[5:6]
	s_mov_b32 s0, exec_lo
	v_mul_f64 v[3:4], v[3:4], v[7:8]
	v_cmpx_eq_f64_e32 0, v[1:2]
	s_xor_b32 s0, exec_lo, s0
	s_cbranch_execz .LBB109_13
; %bb.12:
	v_add_co_u32 v0, vcc_lo, s6, v5
	v_add_co_ci_u32_e64 v1, null, s7, v6, vcc_lo
                                        ; implicit-def: $vgpr5_vgpr6
	global_store_dwordx2 v[0:1], v[3:4], off
                                        ; implicit-def: $vgpr1_vgpr2
                                        ; implicit-def: $vgpr3_vgpr4
.LBB109_13:
	s_andn2_saveexec_b32 s0, s0
	s_cbranch_execz .LBB109_15
; %bb.14:
	v_add_co_u32 v5, vcc_lo, s6, v5
	v_add_co_ci_u32_e64 v6, null, s7, v6, vcc_lo
	global_load_dwordx2 v[7:8], v[5:6], off
	s_waitcnt vmcnt(0)
	v_fma_f64 v[0:1], v[1:2], v[7:8], v[3:4]
	global_store_dwordx2 v[5:6], v[0:1], off
.LBB109_15:
	s_endpgm
	.section	.rodata,"a",@progbits
	.p2align	6, 0x0
	.amdhsa_kernel _ZN9rocsparseL19gebsrmvn_1xn_kernelILj128ELj8ELj32EdEEvi20rocsparse_direction_NS_24const_host_device_scalarIT2_EEPKiS6_PKS3_S8_S4_PS3_21rocsparse_index_base_b
		.amdhsa_group_segment_fixed_size 0
		.amdhsa_private_segment_fixed_size 0
		.amdhsa_kernarg_size 72
		.amdhsa_user_sgpr_count 6
		.amdhsa_user_sgpr_private_segment_buffer 1
		.amdhsa_user_sgpr_dispatch_ptr 0
		.amdhsa_user_sgpr_queue_ptr 0
		.amdhsa_user_sgpr_kernarg_segment_ptr 1
		.amdhsa_user_sgpr_dispatch_id 0
		.amdhsa_user_sgpr_flat_scratch_init 0
		.amdhsa_user_sgpr_private_segment_size 0
		.amdhsa_wavefront_size32 1
		.amdhsa_uses_dynamic_stack 0
		.amdhsa_system_sgpr_private_segment_wavefront_offset 0
		.amdhsa_system_sgpr_workgroup_id_x 1
		.amdhsa_system_sgpr_workgroup_id_y 0
		.amdhsa_system_sgpr_workgroup_id_z 0
		.amdhsa_system_sgpr_workgroup_info 0
		.amdhsa_system_vgpr_workitem_id 0
		.amdhsa_next_free_vgpr 46
		.amdhsa_next_free_sgpr 11
		.amdhsa_reserve_vcc 1
		.amdhsa_reserve_flat_scratch 0
		.amdhsa_float_round_mode_32 0
		.amdhsa_float_round_mode_16_64 0
		.amdhsa_float_denorm_mode_32 3
		.amdhsa_float_denorm_mode_16_64 3
		.amdhsa_dx10_clamp 1
		.amdhsa_ieee_mode 1
		.amdhsa_fp16_overflow 0
		.amdhsa_workgroup_processor_mode 1
		.amdhsa_memory_ordered 1
		.amdhsa_forward_progress 1
		.amdhsa_shared_vgpr_count 0
		.amdhsa_exception_fp_ieee_invalid_op 0
		.amdhsa_exception_fp_denorm_src 0
		.amdhsa_exception_fp_ieee_div_zero 0
		.amdhsa_exception_fp_ieee_overflow 0
		.amdhsa_exception_fp_ieee_underflow 0
		.amdhsa_exception_fp_ieee_inexact 0
		.amdhsa_exception_int_div_zero 0
	.end_amdhsa_kernel
	.section	.text._ZN9rocsparseL19gebsrmvn_1xn_kernelILj128ELj8ELj32EdEEvi20rocsparse_direction_NS_24const_host_device_scalarIT2_EEPKiS6_PKS3_S8_S4_PS3_21rocsparse_index_base_b,"axG",@progbits,_ZN9rocsparseL19gebsrmvn_1xn_kernelILj128ELj8ELj32EdEEvi20rocsparse_direction_NS_24const_host_device_scalarIT2_EEPKiS6_PKS3_S8_S4_PS3_21rocsparse_index_base_b,comdat
.Lfunc_end109:
	.size	_ZN9rocsparseL19gebsrmvn_1xn_kernelILj128ELj8ELj32EdEEvi20rocsparse_direction_NS_24const_host_device_scalarIT2_EEPKiS6_PKS3_S8_S4_PS3_21rocsparse_index_base_b, .Lfunc_end109-_ZN9rocsparseL19gebsrmvn_1xn_kernelILj128ELj8ELj32EdEEvi20rocsparse_direction_NS_24const_host_device_scalarIT2_EEPKiS6_PKS3_S8_S4_PS3_21rocsparse_index_base_b
                                        ; -- End function
	.set _ZN9rocsparseL19gebsrmvn_1xn_kernelILj128ELj8ELj32EdEEvi20rocsparse_direction_NS_24const_host_device_scalarIT2_EEPKiS6_PKS3_S8_S4_PS3_21rocsparse_index_base_b.num_vgpr, 46
	.set _ZN9rocsparseL19gebsrmvn_1xn_kernelILj128ELj8ELj32EdEEvi20rocsparse_direction_NS_24const_host_device_scalarIT2_EEPKiS6_PKS3_S8_S4_PS3_21rocsparse_index_base_b.num_agpr, 0
	.set _ZN9rocsparseL19gebsrmvn_1xn_kernelILj128ELj8ELj32EdEEvi20rocsparse_direction_NS_24const_host_device_scalarIT2_EEPKiS6_PKS3_S8_S4_PS3_21rocsparse_index_base_b.numbered_sgpr, 11
	.set _ZN9rocsparseL19gebsrmvn_1xn_kernelILj128ELj8ELj32EdEEvi20rocsparse_direction_NS_24const_host_device_scalarIT2_EEPKiS6_PKS3_S8_S4_PS3_21rocsparse_index_base_b.num_named_barrier, 0
	.set _ZN9rocsparseL19gebsrmvn_1xn_kernelILj128ELj8ELj32EdEEvi20rocsparse_direction_NS_24const_host_device_scalarIT2_EEPKiS6_PKS3_S8_S4_PS3_21rocsparse_index_base_b.private_seg_size, 0
	.set _ZN9rocsparseL19gebsrmvn_1xn_kernelILj128ELj8ELj32EdEEvi20rocsparse_direction_NS_24const_host_device_scalarIT2_EEPKiS6_PKS3_S8_S4_PS3_21rocsparse_index_base_b.uses_vcc, 1
	.set _ZN9rocsparseL19gebsrmvn_1xn_kernelILj128ELj8ELj32EdEEvi20rocsparse_direction_NS_24const_host_device_scalarIT2_EEPKiS6_PKS3_S8_S4_PS3_21rocsparse_index_base_b.uses_flat_scratch, 0
	.set _ZN9rocsparseL19gebsrmvn_1xn_kernelILj128ELj8ELj32EdEEvi20rocsparse_direction_NS_24const_host_device_scalarIT2_EEPKiS6_PKS3_S8_S4_PS3_21rocsparse_index_base_b.has_dyn_sized_stack, 0
	.set _ZN9rocsparseL19gebsrmvn_1xn_kernelILj128ELj8ELj32EdEEvi20rocsparse_direction_NS_24const_host_device_scalarIT2_EEPKiS6_PKS3_S8_S4_PS3_21rocsparse_index_base_b.has_recursion, 0
	.set _ZN9rocsparseL19gebsrmvn_1xn_kernelILj128ELj8ELj32EdEEvi20rocsparse_direction_NS_24const_host_device_scalarIT2_EEPKiS6_PKS3_S8_S4_PS3_21rocsparse_index_base_b.has_indirect_call, 0
	.section	.AMDGPU.csdata,"",@progbits
; Kernel info:
; codeLenInByte = 968
; TotalNumSgprs: 13
; NumVgprs: 46
; ScratchSize: 0
; MemoryBound: 1
; FloatMode: 240
; IeeeMode: 1
; LDSByteSize: 0 bytes/workgroup (compile time only)
; SGPRBlocks: 0
; VGPRBlocks: 5
; NumSGPRsForWavesPerEU: 13
; NumVGPRsForWavesPerEU: 46
; Occupancy: 16
; WaveLimiterHint : 1
; COMPUTE_PGM_RSRC2:SCRATCH_EN: 0
; COMPUTE_PGM_RSRC2:USER_SGPR: 6
; COMPUTE_PGM_RSRC2:TRAP_HANDLER: 0
; COMPUTE_PGM_RSRC2:TGID_X_EN: 1
; COMPUTE_PGM_RSRC2:TGID_Y_EN: 0
; COMPUTE_PGM_RSRC2:TGID_Z_EN: 0
; COMPUTE_PGM_RSRC2:TIDIG_COMP_CNT: 0
	.section	.text._ZN9rocsparseL19gebsrmvn_1xn_kernelILj128ELj8ELj64EdEEvi20rocsparse_direction_NS_24const_host_device_scalarIT2_EEPKiS6_PKS3_S8_S4_PS3_21rocsparse_index_base_b,"axG",@progbits,_ZN9rocsparseL19gebsrmvn_1xn_kernelILj128ELj8ELj64EdEEvi20rocsparse_direction_NS_24const_host_device_scalarIT2_EEPKiS6_PKS3_S8_S4_PS3_21rocsparse_index_base_b,comdat
	.globl	_ZN9rocsparseL19gebsrmvn_1xn_kernelILj128ELj8ELj64EdEEvi20rocsparse_direction_NS_24const_host_device_scalarIT2_EEPKiS6_PKS3_S8_S4_PS3_21rocsparse_index_base_b ; -- Begin function _ZN9rocsparseL19gebsrmvn_1xn_kernelILj128ELj8ELj64EdEEvi20rocsparse_direction_NS_24const_host_device_scalarIT2_EEPKiS6_PKS3_S8_S4_PS3_21rocsparse_index_base_b
	.p2align	8
	.type	_ZN9rocsparseL19gebsrmvn_1xn_kernelILj128ELj8ELj64EdEEvi20rocsparse_direction_NS_24const_host_device_scalarIT2_EEPKiS6_PKS3_S8_S4_PS3_21rocsparse_index_base_b,@function
_ZN9rocsparseL19gebsrmvn_1xn_kernelILj128ELj8ELj64EdEEvi20rocsparse_direction_NS_24const_host_device_scalarIT2_EEPKiS6_PKS3_S8_S4_PS3_21rocsparse_index_base_b: ; @_ZN9rocsparseL19gebsrmvn_1xn_kernelILj128ELj8ELj64EdEEvi20rocsparse_direction_NS_24const_host_device_scalarIT2_EEPKiS6_PKS3_S8_S4_PS3_21rocsparse_index_base_b
; %bb.0:
	s_clause 0x2
	s_load_dwordx2 s[8:9], s[4:5], 0x40
	s_load_dwordx2 s[2:3], s[4:5], 0x8
	;; [unrolled: 1-line block ×3, first 2 shown]
	s_waitcnt lgkmcnt(0)
	s_bitcmp1_b32 s9, 0
	v_mov_b32_e32 v4, s3
	v_mov_b32_e32 v3, s2
	s_cselect_b32 s7, -1, 0
	s_and_b32 vcc_lo, exec_lo, s7
	s_xor_b32 s7, s7, -1
	s_cbranch_vccnz .LBB110_2
; %bb.1:
	v_mov_b32_e32 v1, s2
	v_mov_b32_e32 v2, s3
	flat_load_dwordx2 v[3:4], v[1:2]
.LBB110_2:
	v_mov_b32_e32 v2, s1
	v_mov_b32_e32 v1, s0
	s_andn2_b32 vcc_lo, exec_lo, s7
	s_cbranch_vccnz .LBB110_4
; %bb.3:
	v_mov_b32_e32 v2, s1
	v_mov_b32_e32 v1, s0
	flat_load_dwordx2 v[1:2], v[1:2]
.LBB110_4:
	s_waitcnt vmcnt(0) lgkmcnt(0)
	v_cmp_neq_f64_e32 vcc_lo, 0, v[3:4]
	v_cmp_neq_f64_e64 s0, 1.0, v[1:2]
	s_or_b32 s0, vcc_lo, s0
	s_and_saveexec_b32 s1, s0
	s_cbranch_execz .LBB110_15
; %bb.5:
	s_load_dword s0, s[4:5], 0x0
	v_lshrrev_b32_e32 v5, 6, v0
	v_lshl_or_b32 v5, s6, 1, v5
	s_waitcnt lgkmcnt(0)
	v_cmp_gt_i32_e32 vcc_lo, s0, v5
	s_and_b32 exec_lo, exec_lo, vcc_lo
	s_cbranch_execz .LBB110_15
; %bb.6:
	s_clause 0x1
	s_load_dwordx2 s[0:1], s[4:5], 0x10
	s_load_dwordx2 s[6:7], s[4:5], 0x38
	v_ashrrev_i32_e32 v6, 31, v5
	v_and_b32_e32 v0, 63, v0
	s_mov_b32 s9, exec_lo
	v_lshlrev_b64 v[7:8], 2, v[5:6]
	v_subrev_nc_u32_e32 v9, s8, v0
	s_waitcnt lgkmcnt(0)
	v_add_co_u32 v7, vcc_lo, s0, v7
	v_add_co_ci_u32_e64 v8, null, s1, v8, vcc_lo
	global_load_dwordx2 v[7:8], v[7:8], off
	s_waitcnt vmcnt(0)
	v_subrev_nc_u32_e32 v13, s8, v8
	v_add_nc_u32_e32 v9, v7, v9
	v_mov_b32_e32 v7, 0
	v_mov_b32_e32 v8, 0
	v_cmpx_lt_i32_e64 v9, v13
	s_cbranch_execz .LBB110_10
; %bb.7:
	s_clause 0x1
	s_load_dwordx4 s[0:3], s[4:5], 0x18
	s_load_dwordx2 s[4:5], s[4:5], 0x28
	v_mov_b32_e32 v7, 0
	v_lshlrev_b32_e32 v11, 3, v9
	v_mov_b32_e32 v8, 0
	v_mov_b32_e32 v12, 0
	s_mov_b32 s10, 0
.LBB110_8:                              ; =>This Inner Loop Header: Depth=1
	v_ashrrev_i32_e32 v10, 31, v9
	v_mov_b32_e32 v17, v12
	v_lshlrev_b64 v[14:15], 2, v[9:10]
	v_add_nc_u32_e32 v9, 64, v9
	s_waitcnt lgkmcnt(0)
	v_add_co_u32 v14, vcc_lo, s0, v14
	v_add_co_ci_u32_e64 v15, null, s1, v15, vcc_lo
	global_load_dword v10, v[14:15], off
	v_lshlrev_b64 v[14:15], 3, v[11:12]
	v_add_nc_u32_e32 v11, 0x200, v11
	v_add_co_u32 v34, vcc_lo, s2, v14
	v_add_co_ci_u32_e64 v35, null, s3, v15, vcc_lo
	s_waitcnt vmcnt(0)
	v_subrev_nc_u32_e32 v10, s8, v10
	v_lshlrev_b32_e32 v16, 3, v10
	v_lshlrev_b64 v[16:17], 3, v[16:17]
	v_add_co_u32 v42, vcc_lo, s4, v16
	v_add_co_ci_u32_e64 v43, null, s5, v17, vcc_lo
	v_cmp_ge_i32_e32 vcc_lo, v9, v13
	s_clause 0x1
	global_load_dwordx4 v[14:17], v[34:35], off offset:16
	global_load_dwordx4 v[18:21], v[34:35], off
	s_clause 0x1
	global_load_dwordx4 v[22:25], v[42:43], off
	global_load_dwordx4 v[26:29], v[42:43], off offset:16
	s_clause 0x1
	global_load_dwordx4 v[30:33], v[34:35], off offset:48
	global_load_dwordx4 v[34:37], v[34:35], off offset:32
	s_clause 0x1
	global_load_dwordx4 v[38:41], v[42:43], off offset:32
	global_load_dwordx4 v[42:45], v[42:43], off offset:48
	s_or_b32 s10, vcc_lo, s10
	s_waitcnt vmcnt(5)
	v_fma_f64 v[7:8], v[18:19], v[22:23], v[7:8]
	v_fma_f64 v[7:8], v[20:21], v[24:25], v[7:8]
	s_waitcnt vmcnt(4)
	v_fma_f64 v[7:8], v[14:15], v[26:27], v[7:8]
	v_fma_f64 v[7:8], v[16:17], v[28:29], v[7:8]
	;; [unrolled: 3-line block ×4, first 2 shown]
	s_andn2_b32 exec_lo, exec_lo, s10
	s_cbranch_execnz .LBB110_8
; %bb.9:
	s_or_b32 exec_lo, exec_lo, s10
.LBB110_10:
	s_or_b32 exec_lo, exec_lo, s9
	v_mbcnt_lo_u32_b32 v11, -1, 0
	v_or_b32_e32 v9, 32, v11
	v_cmp_gt_i32_e32 vcc_lo, 32, v9
	v_cndmask_b32_e32 v9, v11, v9, vcc_lo
	v_lshlrev_b32_e32 v10, 2, v9
	ds_bpermute_b32 v9, v10, v7
	ds_bpermute_b32 v10, v10, v8
	s_waitcnt lgkmcnt(0)
	v_add_f64 v[7:8], v[7:8], v[9:10]
	v_xor_b32_e32 v9, 16, v11
	v_cmp_gt_i32_e32 vcc_lo, 32, v9
	v_cndmask_b32_e32 v9, v11, v9, vcc_lo
	v_lshlrev_b32_e32 v10, 2, v9
	ds_bpermute_b32 v9, v10, v7
	ds_bpermute_b32 v10, v10, v8
	s_waitcnt lgkmcnt(0)
	v_add_f64 v[7:8], v[7:8], v[9:10]
	v_xor_b32_e32 v9, 8, v11
	;; [unrolled: 8-line block ×5, first 2 shown]
	v_cmp_gt_i32_e32 vcc_lo, 32, v9
	v_cndmask_b32_e32 v9, v11, v9, vcc_lo
	v_cmp_eq_u32_e32 vcc_lo, 63, v0
	v_lshlrev_b32_e32 v10, 2, v9
	ds_bpermute_b32 v9, v10, v7
	ds_bpermute_b32 v10, v10, v8
	s_and_b32 exec_lo, exec_lo, vcc_lo
	s_cbranch_execz .LBB110_15
; %bb.11:
	s_waitcnt lgkmcnt(0)
	v_add_f64 v[7:8], v[7:8], v[9:10]
	v_lshlrev_b64 v[5:6], 3, v[5:6]
	s_mov_b32 s0, exec_lo
	v_mul_f64 v[3:4], v[3:4], v[7:8]
	v_cmpx_eq_f64_e32 0, v[1:2]
	s_xor_b32 s0, exec_lo, s0
	s_cbranch_execz .LBB110_13
; %bb.12:
	v_add_co_u32 v0, vcc_lo, s6, v5
	v_add_co_ci_u32_e64 v1, null, s7, v6, vcc_lo
                                        ; implicit-def: $vgpr5_vgpr6
	global_store_dwordx2 v[0:1], v[3:4], off
                                        ; implicit-def: $vgpr1_vgpr2
                                        ; implicit-def: $vgpr3_vgpr4
.LBB110_13:
	s_andn2_saveexec_b32 s0, s0
	s_cbranch_execz .LBB110_15
; %bb.14:
	v_add_co_u32 v5, vcc_lo, s6, v5
	v_add_co_ci_u32_e64 v6, null, s7, v6, vcc_lo
	global_load_dwordx2 v[7:8], v[5:6], off
	s_waitcnt vmcnt(0)
	v_fma_f64 v[0:1], v[1:2], v[7:8], v[3:4]
	global_store_dwordx2 v[5:6], v[0:1], off
.LBB110_15:
	s_endpgm
	.section	.rodata,"a",@progbits
	.p2align	6, 0x0
	.amdhsa_kernel _ZN9rocsparseL19gebsrmvn_1xn_kernelILj128ELj8ELj64EdEEvi20rocsparse_direction_NS_24const_host_device_scalarIT2_EEPKiS6_PKS3_S8_S4_PS3_21rocsparse_index_base_b
		.amdhsa_group_segment_fixed_size 0
		.amdhsa_private_segment_fixed_size 0
		.amdhsa_kernarg_size 72
		.amdhsa_user_sgpr_count 6
		.amdhsa_user_sgpr_private_segment_buffer 1
		.amdhsa_user_sgpr_dispatch_ptr 0
		.amdhsa_user_sgpr_queue_ptr 0
		.amdhsa_user_sgpr_kernarg_segment_ptr 1
		.amdhsa_user_sgpr_dispatch_id 0
		.amdhsa_user_sgpr_flat_scratch_init 0
		.amdhsa_user_sgpr_private_segment_size 0
		.amdhsa_wavefront_size32 1
		.amdhsa_uses_dynamic_stack 0
		.amdhsa_system_sgpr_private_segment_wavefront_offset 0
		.amdhsa_system_sgpr_workgroup_id_x 1
		.amdhsa_system_sgpr_workgroup_id_y 0
		.amdhsa_system_sgpr_workgroup_id_z 0
		.amdhsa_system_sgpr_workgroup_info 0
		.amdhsa_system_vgpr_workitem_id 0
		.amdhsa_next_free_vgpr 46
		.amdhsa_next_free_sgpr 11
		.amdhsa_reserve_vcc 1
		.amdhsa_reserve_flat_scratch 0
		.amdhsa_float_round_mode_32 0
		.amdhsa_float_round_mode_16_64 0
		.amdhsa_float_denorm_mode_32 3
		.amdhsa_float_denorm_mode_16_64 3
		.amdhsa_dx10_clamp 1
		.amdhsa_ieee_mode 1
		.amdhsa_fp16_overflow 0
		.amdhsa_workgroup_processor_mode 1
		.amdhsa_memory_ordered 1
		.amdhsa_forward_progress 1
		.amdhsa_shared_vgpr_count 0
		.amdhsa_exception_fp_ieee_invalid_op 0
		.amdhsa_exception_fp_denorm_src 0
		.amdhsa_exception_fp_ieee_div_zero 0
		.amdhsa_exception_fp_ieee_overflow 0
		.amdhsa_exception_fp_ieee_underflow 0
		.amdhsa_exception_fp_ieee_inexact 0
		.amdhsa_exception_int_div_zero 0
	.end_amdhsa_kernel
	.section	.text._ZN9rocsparseL19gebsrmvn_1xn_kernelILj128ELj8ELj64EdEEvi20rocsparse_direction_NS_24const_host_device_scalarIT2_EEPKiS6_PKS3_S8_S4_PS3_21rocsparse_index_base_b,"axG",@progbits,_ZN9rocsparseL19gebsrmvn_1xn_kernelILj128ELj8ELj64EdEEvi20rocsparse_direction_NS_24const_host_device_scalarIT2_EEPKiS6_PKS3_S8_S4_PS3_21rocsparse_index_base_b,comdat
.Lfunc_end110:
	.size	_ZN9rocsparseL19gebsrmvn_1xn_kernelILj128ELj8ELj64EdEEvi20rocsparse_direction_NS_24const_host_device_scalarIT2_EEPKiS6_PKS3_S8_S4_PS3_21rocsparse_index_base_b, .Lfunc_end110-_ZN9rocsparseL19gebsrmvn_1xn_kernelILj128ELj8ELj64EdEEvi20rocsparse_direction_NS_24const_host_device_scalarIT2_EEPKiS6_PKS3_S8_S4_PS3_21rocsparse_index_base_b
                                        ; -- End function
	.set _ZN9rocsparseL19gebsrmvn_1xn_kernelILj128ELj8ELj64EdEEvi20rocsparse_direction_NS_24const_host_device_scalarIT2_EEPKiS6_PKS3_S8_S4_PS3_21rocsparse_index_base_b.num_vgpr, 46
	.set _ZN9rocsparseL19gebsrmvn_1xn_kernelILj128ELj8ELj64EdEEvi20rocsparse_direction_NS_24const_host_device_scalarIT2_EEPKiS6_PKS3_S8_S4_PS3_21rocsparse_index_base_b.num_agpr, 0
	.set _ZN9rocsparseL19gebsrmvn_1xn_kernelILj128ELj8ELj64EdEEvi20rocsparse_direction_NS_24const_host_device_scalarIT2_EEPKiS6_PKS3_S8_S4_PS3_21rocsparse_index_base_b.numbered_sgpr, 11
	.set _ZN9rocsparseL19gebsrmvn_1xn_kernelILj128ELj8ELj64EdEEvi20rocsparse_direction_NS_24const_host_device_scalarIT2_EEPKiS6_PKS3_S8_S4_PS3_21rocsparse_index_base_b.num_named_barrier, 0
	.set _ZN9rocsparseL19gebsrmvn_1xn_kernelILj128ELj8ELj64EdEEvi20rocsparse_direction_NS_24const_host_device_scalarIT2_EEPKiS6_PKS3_S8_S4_PS3_21rocsparse_index_base_b.private_seg_size, 0
	.set _ZN9rocsparseL19gebsrmvn_1xn_kernelILj128ELj8ELj64EdEEvi20rocsparse_direction_NS_24const_host_device_scalarIT2_EEPKiS6_PKS3_S8_S4_PS3_21rocsparse_index_base_b.uses_vcc, 1
	.set _ZN9rocsparseL19gebsrmvn_1xn_kernelILj128ELj8ELj64EdEEvi20rocsparse_direction_NS_24const_host_device_scalarIT2_EEPKiS6_PKS3_S8_S4_PS3_21rocsparse_index_base_b.uses_flat_scratch, 0
	.set _ZN9rocsparseL19gebsrmvn_1xn_kernelILj128ELj8ELj64EdEEvi20rocsparse_direction_NS_24const_host_device_scalarIT2_EEPKiS6_PKS3_S8_S4_PS3_21rocsparse_index_base_b.has_dyn_sized_stack, 0
	.set _ZN9rocsparseL19gebsrmvn_1xn_kernelILj128ELj8ELj64EdEEvi20rocsparse_direction_NS_24const_host_device_scalarIT2_EEPKiS6_PKS3_S8_S4_PS3_21rocsparse_index_base_b.has_recursion, 0
	.set _ZN9rocsparseL19gebsrmvn_1xn_kernelILj128ELj8ELj64EdEEvi20rocsparse_direction_NS_24const_host_device_scalarIT2_EEPKiS6_PKS3_S8_S4_PS3_21rocsparse_index_base_b.has_indirect_call, 0
	.section	.AMDGPU.csdata,"",@progbits
; Kernel info:
; codeLenInByte = 1012
; TotalNumSgprs: 13
; NumVgprs: 46
; ScratchSize: 0
; MemoryBound: 1
; FloatMode: 240
; IeeeMode: 1
; LDSByteSize: 0 bytes/workgroup (compile time only)
; SGPRBlocks: 0
; VGPRBlocks: 5
; NumSGPRsForWavesPerEU: 13
; NumVGPRsForWavesPerEU: 46
; Occupancy: 16
; WaveLimiterHint : 1
; COMPUTE_PGM_RSRC2:SCRATCH_EN: 0
; COMPUTE_PGM_RSRC2:USER_SGPR: 6
; COMPUTE_PGM_RSRC2:TRAP_HANDLER: 0
; COMPUTE_PGM_RSRC2:TGID_X_EN: 1
; COMPUTE_PGM_RSRC2:TGID_Y_EN: 0
; COMPUTE_PGM_RSRC2:TGID_Z_EN: 0
; COMPUTE_PGM_RSRC2:TIDIG_COMP_CNT: 0
	.section	.text._ZN9rocsparseL19gebsrmvn_1xn_kernelILj128ELj9ELj4EdEEvi20rocsparse_direction_NS_24const_host_device_scalarIT2_EEPKiS6_PKS3_S8_S4_PS3_21rocsparse_index_base_b,"axG",@progbits,_ZN9rocsparseL19gebsrmvn_1xn_kernelILj128ELj9ELj4EdEEvi20rocsparse_direction_NS_24const_host_device_scalarIT2_EEPKiS6_PKS3_S8_S4_PS3_21rocsparse_index_base_b,comdat
	.globl	_ZN9rocsparseL19gebsrmvn_1xn_kernelILj128ELj9ELj4EdEEvi20rocsparse_direction_NS_24const_host_device_scalarIT2_EEPKiS6_PKS3_S8_S4_PS3_21rocsparse_index_base_b ; -- Begin function _ZN9rocsparseL19gebsrmvn_1xn_kernelILj128ELj9ELj4EdEEvi20rocsparse_direction_NS_24const_host_device_scalarIT2_EEPKiS6_PKS3_S8_S4_PS3_21rocsparse_index_base_b
	.p2align	8
	.type	_ZN9rocsparseL19gebsrmvn_1xn_kernelILj128ELj9ELj4EdEEvi20rocsparse_direction_NS_24const_host_device_scalarIT2_EEPKiS6_PKS3_S8_S4_PS3_21rocsparse_index_base_b,@function
_ZN9rocsparseL19gebsrmvn_1xn_kernelILj128ELj9ELj4EdEEvi20rocsparse_direction_NS_24const_host_device_scalarIT2_EEPKiS6_PKS3_S8_S4_PS3_21rocsparse_index_base_b: ; @_ZN9rocsparseL19gebsrmvn_1xn_kernelILj128ELj9ELj4EdEEvi20rocsparse_direction_NS_24const_host_device_scalarIT2_EEPKiS6_PKS3_S8_S4_PS3_21rocsparse_index_base_b
; %bb.0:
	s_clause 0x2
	s_load_dwordx2 s[12:13], s[4:5], 0x40
	s_load_dwordx2 s[2:3], s[4:5], 0x8
	;; [unrolled: 1-line block ×3, first 2 shown]
	s_waitcnt lgkmcnt(0)
	s_bitcmp1_b32 s13, 0
	v_mov_b32_e32 v4, s3
	v_mov_b32_e32 v3, s2
	s_cselect_b32 s7, -1, 0
	s_and_b32 vcc_lo, exec_lo, s7
	s_xor_b32 s7, s7, -1
	s_cbranch_vccnz .LBB111_2
; %bb.1:
	v_mov_b32_e32 v1, s2
	v_mov_b32_e32 v2, s3
	flat_load_dwordx2 v[3:4], v[1:2]
.LBB111_2:
	v_mov_b32_e32 v2, s1
	v_mov_b32_e32 v1, s0
	s_andn2_b32 vcc_lo, exec_lo, s7
	s_cbranch_vccnz .LBB111_4
; %bb.3:
	v_mov_b32_e32 v2, s1
	v_mov_b32_e32 v1, s0
	flat_load_dwordx2 v[1:2], v[1:2]
.LBB111_4:
	s_waitcnt vmcnt(0) lgkmcnt(0)
	v_cmp_neq_f64_e32 vcc_lo, 0, v[3:4]
	v_cmp_neq_f64_e64 s0, 1.0, v[1:2]
	s_or_b32 s0, vcc_lo, s0
	s_and_saveexec_b32 s1, s0
	s_cbranch_execz .LBB111_15
; %bb.5:
	s_load_dword s0, s[4:5], 0x0
	v_lshrrev_b32_e32 v5, 2, v0
	v_lshl_or_b32 v5, s6, 5, v5
	s_waitcnt lgkmcnt(0)
	v_cmp_gt_i32_e32 vcc_lo, s0, v5
	s_and_b32 exec_lo, exec_lo, vcc_lo
	s_cbranch_execz .LBB111_15
; %bb.6:
	s_clause 0x1
	s_load_dwordx2 s[0:1], s[4:5], 0x10
	s_load_dwordx2 s[2:3], s[4:5], 0x38
	v_ashrrev_i32_e32 v6, 31, v5
	v_and_b32_e32 v0, 3, v0
	v_lshlrev_b64 v[7:8], 2, v[5:6]
	v_subrev_nc_u32_e32 v9, s12, v0
	s_waitcnt lgkmcnt(0)
	v_add_co_u32 v7, vcc_lo, s0, v7
	v_add_co_ci_u32_e64 v8, null, s1, v8, vcc_lo
	s_mov_b32 s1, exec_lo
	global_load_dwordx2 v[7:8], v[7:8], off
	s_waitcnt vmcnt(0)
	v_subrev_nc_u32_e32 v14, s12, v8
	v_add_nc_u32_e32 v9, v7, v9
	v_mov_b32_e32 v7, 0
	v_mov_b32_e32 v8, 0
	v_cmpx_lt_i32_e64 v9, v14
	s_cbranch_execz .LBB111_10
; %bb.7:
	s_clause 0x1
	s_load_dwordx4 s[8:11], s[4:5], 0x18
	s_load_dwordx2 s[4:5], s[4:5], 0x28
	v_mad_u64_u32 v[11:12], null, v9, 9, 8
	v_mov_b32_e32 v7, 0
	v_mov_b32_e32 v8, 0
	;; [unrolled: 1-line block ×3, first 2 shown]
	s_mov_b32 s6, 0
.LBB111_8:                              ; =>This Inner Loop Header: Depth=1
	v_ashrrev_i32_e32 v10, 31, v9
	v_add_nc_u32_e32 v12, -8, v11
	v_lshlrev_b64 v[15:16], 2, v[9:10]
	v_lshlrev_b64 v[17:18], 3, v[12:13]
	v_add_nc_u32_e32 v12, -7, v11
	v_add_nc_u32_e32 v9, 4, v9
	s_waitcnt lgkmcnt(0)
	v_add_co_u32 v15, vcc_lo, s8, v15
	v_add_co_ci_u32_e64 v16, null, s9, v16, vcc_lo
	v_lshlrev_b64 v[19:20], 3, v[12:13]
	v_add_co_u32 v17, vcc_lo, s10, v17
	global_load_dword v10, v[15:16], off
	v_mov_b32_e32 v16, v13
	v_add_co_ci_u32_e64 v18, null, s11, v18, vcc_lo
	v_add_co_u32 v19, vcc_lo, s10, v19
	v_add_co_ci_u32_e64 v20, null, s11, v20, vcc_lo
	s_waitcnt vmcnt(0)
	v_subrev_nc_u32_e32 v10, s12, v10
	v_lshl_add_u32 v15, v10, 3, v10
	v_lshlrev_b64 v[21:22], 3, v[15:16]
	v_add_nc_u32_e32 v12, 1, v15
	v_add_co_u32 v21, s0, s4, v21
	v_add_co_ci_u32_e64 v22, null, s5, v22, s0
	s_clause 0x1
	global_load_dwordx2 v[16:17], v[17:18], off
	global_load_dwordx2 v[18:19], v[19:20], off
	;; [unrolled: 1-line block ×3, first 2 shown]
	v_lshlrev_b64 v[22:23], 3, v[12:13]
	v_add_nc_u32_e32 v12, -6, v11
	v_lshlrev_b64 v[24:25], 3, v[12:13]
	v_add_co_u32 v22, vcc_lo, s4, v22
	v_add_co_ci_u32_e64 v23, null, s5, v23, vcc_lo
	v_add_nc_u32_e32 v12, 2, v15
	v_add_co_u32 v24, vcc_lo, s10, v24
	global_load_dwordx2 v[22:23], v[22:23], off
	v_add_co_ci_u32_e64 v25, null, s11, v25, vcc_lo
	v_lshlrev_b64 v[26:27], 3, v[12:13]
	v_add_nc_u32_e32 v12, -5, v11
	v_add_co_u32 v26, vcc_lo, s4, v26
	v_add_co_ci_u32_e64 v27, null, s5, v27, vcc_lo
	global_load_dwordx2 v[24:25], v[24:25], off
	global_load_dwordx2 v[26:27], v[26:27], off
	v_lshlrev_b64 v[28:29], 3, v[12:13]
	v_add_nc_u32_e32 v12, 3, v15
	v_lshlrev_b64 v[30:31], 3, v[12:13]
	v_add_co_u32 v28, vcc_lo, s10, v28
	v_add_co_ci_u32_e64 v29, null, s11, v29, vcc_lo
	v_add_nc_u32_e32 v12, -4, v11
	v_add_co_u32 v30, vcc_lo, s4, v30
	v_add_co_ci_u32_e64 v31, null, s5, v31, vcc_lo
	global_load_dwordx2 v[28:29], v[28:29], off
	global_load_dwordx2 v[30:31], v[30:31], off
	v_lshlrev_b64 v[32:33], 3, v[12:13]
	v_add_nc_u32_e32 v12, 4, v15
	v_lshlrev_b64 v[34:35], 3, v[12:13]
	v_add_co_u32 v32, vcc_lo, s10, v32
	v_add_co_ci_u32_e64 v33, null, s11, v33, vcc_lo
	;; [unrolled: 10-line block ×5, first 2 shown]
	v_mov_b32_e32 v12, v13
	v_add_co_u32 v46, vcc_lo, s4, v46
	v_add_co_ci_u32_e64 v47, null, s5, v47, vcc_lo
	global_load_dwordx2 v[44:45], v[44:45], off
	global_load_dwordx2 v[46:47], v[46:47], off
	v_lshlrev_b64 v[48:49], 3, v[11:12]
	v_add_nc_u32_e32 v12, 8, v15
	v_add_nc_u32_e32 v11, 36, v11
	v_lshlrev_b64 v[50:51], 3, v[12:13]
	v_add_co_u32 v48, vcc_lo, s10, v48
	v_add_co_ci_u32_e64 v49, null, s11, v49, vcc_lo
	v_add_co_u32 v50, vcc_lo, s4, v50
	v_add_co_ci_u32_e64 v51, null, s5, v51, vcc_lo
	global_load_dwordx2 v[48:49], v[48:49], off
	global_load_dwordx2 v[50:51], v[50:51], off
	v_cmp_ge_i32_e32 vcc_lo, v9, v14
	s_or_b32 s6, vcc_lo, s6
	s_waitcnt vmcnt(15)
	v_fma_f64 v[7:8], v[16:17], v[20:21], v[7:8]
	s_waitcnt vmcnt(14)
	v_fma_f64 v[7:8], v[18:19], v[22:23], v[7:8]
	;; [unrolled: 2-line block ×9, first 2 shown]
	s_andn2_b32 exec_lo, exec_lo, s6
	s_cbranch_execnz .LBB111_8
; %bb.9:
	s_or_b32 exec_lo, exec_lo, s6
.LBB111_10:
	s_or_b32 exec_lo, exec_lo, s1
	v_mbcnt_lo_u32_b32 v11, -1, 0
	v_xor_b32_e32 v9, 2, v11
	v_cmp_gt_i32_e32 vcc_lo, 32, v9
	v_cndmask_b32_e32 v9, v11, v9, vcc_lo
	v_lshlrev_b32_e32 v10, 2, v9
	ds_bpermute_b32 v9, v10, v7
	ds_bpermute_b32 v10, v10, v8
	s_waitcnt lgkmcnt(0)
	v_add_f64 v[7:8], v[7:8], v[9:10]
	v_xor_b32_e32 v9, 1, v11
	v_cmp_gt_i32_e32 vcc_lo, 32, v9
	v_cndmask_b32_e32 v9, v11, v9, vcc_lo
	v_cmp_eq_u32_e32 vcc_lo, 3, v0
	v_lshlrev_b32_e32 v10, 2, v9
	ds_bpermute_b32 v9, v10, v7
	ds_bpermute_b32 v10, v10, v8
	s_and_b32 exec_lo, exec_lo, vcc_lo
	s_cbranch_execz .LBB111_15
; %bb.11:
	s_waitcnt lgkmcnt(0)
	v_add_f64 v[7:8], v[7:8], v[9:10]
	v_lshlrev_b64 v[5:6], 3, v[5:6]
	s_mov_b32 s0, exec_lo
	v_mul_f64 v[3:4], v[3:4], v[7:8]
	v_cmpx_eq_f64_e32 0, v[1:2]
	s_xor_b32 s0, exec_lo, s0
	s_cbranch_execz .LBB111_13
; %bb.12:
	v_add_co_u32 v0, vcc_lo, s2, v5
	v_add_co_ci_u32_e64 v1, null, s3, v6, vcc_lo
                                        ; implicit-def: $vgpr5_vgpr6
	global_store_dwordx2 v[0:1], v[3:4], off
                                        ; implicit-def: $vgpr1_vgpr2
                                        ; implicit-def: $vgpr3_vgpr4
.LBB111_13:
	s_andn2_saveexec_b32 s0, s0
	s_cbranch_execz .LBB111_15
; %bb.14:
	v_add_co_u32 v5, vcc_lo, s2, v5
	v_add_co_ci_u32_e64 v6, null, s3, v6, vcc_lo
	global_load_dwordx2 v[7:8], v[5:6], off
	s_waitcnt vmcnt(0)
	v_fma_f64 v[0:1], v[1:2], v[7:8], v[3:4]
	global_store_dwordx2 v[5:6], v[0:1], off
.LBB111_15:
	s_endpgm
	.section	.rodata,"a",@progbits
	.p2align	6, 0x0
	.amdhsa_kernel _ZN9rocsparseL19gebsrmvn_1xn_kernelILj128ELj9ELj4EdEEvi20rocsparse_direction_NS_24const_host_device_scalarIT2_EEPKiS6_PKS3_S8_S4_PS3_21rocsparse_index_base_b
		.amdhsa_group_segment_fixed_size 0
		.amdhsa_private_segment_fixed_size 0
		.amdhsa_kernarg_size 72
		.amdhsa_user_sgpr_count 6
		.amdhsa_user_sgpr_private_segment_buffer 1
		.amdhsa_user_sgpr_dispatch_ptr 0
		.amdhsa_user_sgpr_queue_ptr 0
		.amdhsa_user_sgpr_kernarg_segment_ptr 1
		.amdhsa_user_sgpr_dispatch_id 0
		.amdhsa_user_sgpr_flat_scratch_init 0
		.amdhsa_user_sgpr_private_segment_size 0
		.amdhsa_wavefront_size32 1
		.amdhsa_uses_dynamic_stack 0
		.amdhsa_system_sgpr_private_segment_wavefront_offset 0
		.amdhsa_system_sgpr_workgroup_id_x 1
		.amdhsa_system_sgpr_workgroup_id_y 0
		.amdhsa_system_sgpr_workgroup_id_z 0
		.amdhsa_system_sgpr_workgroup_info 0
		.amdhsa_system_vgpr_workitem_id 0
		.amdhsa_next_free_vgpr 52
		.amdhsa_next_free_sgpr 14
		.amdhsa_reserve_vcc 1
		.amdhsa_reserve_flat_scratch 0
		.amdhsa_float_round_mode_32 0
		.amdhsa_float_round_mode_16_64 0
		.amdhsa_float_denorm_mode_32 3
		.amdhsa_float_denorm_mode_16_64 3
		.amdhsa_dx10_clamp 1
		.amdhsa_ieee_mode 1
		.amdhsa_fp16_overflow 0
		.amdhsa_workgroup_processor_mode 1
		.amdhsa_memory_ordered 1
		.amdhsa_forward_progress 1
		.amdhsa_shared_vgpr_count 0
		.amdhsa_exception_fp_ieee_invalid_op 0
		.amdhsa_exception_fp_denorm_src 0
		.amdhsa_exception_fp_ieee_div_zero 0
		.amdhsa_exception_fp_ieee_overflow 0
		.amdhsa_exception_fp_ieee_underflow 0
		.amdhsa_exception_fp_ieee_inexact 0
		.amdhsa_exception_int_div_zero 0
	.end_amdhsa_kernel
	.section	.text._ZN9rocsparseL19gebsrmvn_1xn_kernelILj128ELj9ELj4EdEEvi20rocsparse_direction_NS_24const_host_device_scalarIT2_EEPKiS6_PKS3_S8_S4_PS3_21rocsparse_index_base_b,"axG",@progbits,_ZN9rocsparseL19gebsrmvn_1xn_kernelILj128ELj9ELj4EdEEvi20rocsparse_direction_NS_24const_host_device_scalarIT2_EEPKiS6_PKS3_S8_S4_PS3_21rocsparse_index_base_b,comdat
.Lfunc_end111:
	.size	_ZN9rocsparseL19gebsrmvn_1xn_kernelILj128ELj9ELj4EdEEvi20rocsparse_direction_NS_24const_host_device_scalarIT2_EEPKiS6_PKS3_S8_S4_PS3_21rocsparse_index_base_b, .Lfunc_end111-_ZN9rocsparseL19gebsrmvn_1xn_kernelILj128ELj9ELj4EdEEvi20rocsparse_direction_NS_24const_host_device_scalarIT2_EEPKiS6_PKS3_S8_S4_PS3_21rocsparse_index_base_b
                                        ; -- End function
	.set _ZN9rocsparseL19gebsrmvn_1xn_kernelILj128ELj9ELj4EdEEvi20rocsparse_direction_NS_24const_host_device_scalarIT2_EEPKiS6_PKS3_S8_S4_PS3_21rocsparse_index_base_b.num_vgpr, 52
	.set _ZN9rocsparseL19gebsrmvn_1xn_kernelILj128ELj9ELj4EdEEvi20rocsparse_direction_NS_24const_host_device_scalarIT2_EEPKiS6_PKS3_S8_S4_PS3_21rocsparse_index_base_b.num_agpr, 0
	.set _ZN9rocsparseL19gebsrmvn_1xn_kernelILj128ELj9ELj4EdEEvi20rocsparse_direction_NS_24const_host_device_scalarIT2_EEPKiS6_PKS3_S8_S4_PS3_21rocsparse_index_base_b.numbered_sgpr, 14
	.set _ZN9rocsparseL19gebsrmvn_1xn_kernelILj128ELj9ELj4EdEEvi20rocsparse_direction_NS_24const_host_device_scalarIT2_EEPKiS6_PKS3_S8_S4_PS3_21rocsparse_index_base_b.num_named_barrier, 0
	.set _ZN9rocsparseL19gebsrmvn_1xn_kernelILj128ELj9ELj4EdEEvi20rocsparse_direction_NS_24const_host_device_scalarIT2_EEPKiS6_PKS3_S8_S4_PS3_21rocsparse_index_base_b.private_seg_size, 0
	.set _ZN9rocsparseL19gebsrmvn_1xn_kernelILj128ELj9ELj4EdEEvi20rocsparse_direction_NS_24const_host_device_scalarIT2_EEPKiS6_PKS3_S8_S4_PS3_21rocsparse_index_base_b.uses_vcc, 1
	.set _ZN9rocsparseL19gebsrmvn_1xn_kernelILj128ELj9ELj4EdEEvi20rocsparse_direction_NS_24const_host_device_scalarIT2_EEPKiS6_PKS3_S8_S4_PS3_21rocsparse_index_base_b.uses_flat_scratch, 0
	.set _ZN9rocsparseL19gebsrmvn_1xn_kernelILj128ELj9ELj4EdEEvi20rocsparse_direction_NS_24const_host_device_scalarIT2_EEPKiS6_PKS3_S8_S4_PS3_21rocsparse_index_base_b.has_dyn_sized_stack, 0
	.set _ZN9rocsparseL19gebsrmvn_1xn_kernelILj128ELj9ELj4EdEEvi20rocsparse_direction_NS_24const_host_device_scalarIT2_EEPKiS6_PKS3_S8_S4_PS3_21rocsparse_index_base_b.has_recursion, 0
	.set _ZN9rocsparseL19gebsrmvn_1xn_kernelILj128ELj9ELj4EdEEvi20rocsparse_direction_NS_24const_host_device_scalarIT2_EEPKiS6_PKS3_S8_S4_PS3_21rocsparse_index_base_b.has_indirect_call, 0
	.section	.AMDGPU.csdata,"",@progbits
; Kernel info:
; codeLenInByte = 1388
; TotalNumSgprs: 16
; NumVgprs: 52
; ScratchSize: 0
; MemoryBound: 0
; FloatMode: 240
; IeeeMode: 1
; LDSByteSize: 0 bytes/workgroup (compile time only)
; SGPRBlocks: 0
; VGPRBlocks: 6
; NumSGPRsForWavesPerEU: 16
; NumVGPRsForWavesPerEU: 52
; Occupancy: 16
; WaveLimiterHint : 1
; COMPUTE_PGM_RSRC2:SCRATCH_EN: 0
; COMPUTE_PGM_RSRC2:USER_SGPR: 6
; COMPUTE_PGM_RSRC2:TRAP_HANDLER: 0
; COMPUTE_PGM_RSRC2:TGID_X_EN: 1
; COMPUTE_PGM_RSRC2:TGID_Y_EN: 0
; COMPUTE_PGM_RSRC2:TGID_Z_EN: 0
; COMPUTE_PGM_RSRC2:TIDIG_COMP_CNT: 0
	.section	.text._ZN9rocsparseL19gebsrmvn_1xn_kernelILj128ELj9ELj8EdEEvi20rocsparse_direction_NS_24const_host_device_scalarIT2_EEPKiS6_PKS3_S8_S4_PS3_21rocsparse_index_base_b,"axG",@progbits,_ZN9rocsparseL19gebsrmvn_1xn_kernelILj128ELj9ELj8EdEEvi20rocsparse_direction_NS_24const_host_device_scalarIT2_EEPKiS6_PKS3_S8_S4_PS3_21rocsparse_index_base_b,comdat
	.globl	_ZN9rocsparseL19gebsrmvn_1xn_kernelILj128ELj9ELj8EdEEvi20rocsparse_direction_NS_24const_host_device_scalarIT2_EEPKiS6_PKS3_S8_S4_PS3_21rocsparse_index_base_b ; -- Begin function _ZN9rocsparseL19gebsrmvn_1xn_kernelILj128ELj9ELj8EdEEvi20rocsparse_direction_NS_24const_host_device_scalarIT2_EEPKiS6_PKS3_S8_S4_PS3_21rocsparse_index_base_b
	.p2align	8
	.type	_ZN9rocsparseL19gebsrmvn_1xn_kernelILj128ELj9ELj8EdEEvi20rocsparse_direction_NS_24const_host_device_scalarIT2_EEPKiS6_PKS3_S8_S4_PS3_21rocsparse_index_base_b,@function
_ZN9rocsparseL19gebsrmvn_1xn_kernelILj128ELj9ELj8EdEEvi20rocsparse_direction_NS_24const_host_device_scalarIT2_EEPKiS6_PKS3_S8_S4_PS3_21rocsparse_index_base_b: ; @_ZN9rocsparseL19gebsrmvn_1xn_kernelILj128ELj9ELj8EdEEvi20rocsparse_direction_NS_24const_host_device_scalarIT2_EEPKiS6_PKS3_S8_S4_PS3_21rocsparse_index_base_b
; %bb.0:
	s_clause 0x2
	s_load_dwordx2 s[12:13], s[4:5], 0x40
	s_load_dwordx2 s[2:3], s[4:5], 0x8
	;; [unrolled: 1-line block ×3, first 2 shown]
	s_waitcnt lgkmcnt(0)
	s_bitcmp1_b32 s13, 0
	v_mov_b32_e32 v4, s3
	v_mov_b32_e32 v3, s2
	s_cselect_b32 s7, -1, 0
	s_and_b32 vcc_lo, exec_lo, s7
	s_xor_b32 s7, s7, -1
	s_cbranch_vccnz .LBB112_2
; %bb.1:
	v_mov_b32_e32 v1, s2
	v_mov_b32_e32 v2, s3
	flat_load_dwordx2 v[3:4], v[1:2]
.LBB112_2:
	v_mov_b32_e32 v2, s1
	v_mov_b32_e32 v1, s0
	s_andn2_b32 vcc_lo, exec_lo, s7
	s_cbranch_vccnz .LBB112_4
; %bb.3:
	v_mov_b32_e32 v2, s1
	v_mov_b32_e32 v1, s0
	flat_load_dwordx2 v[1:2], v[1:2]
.LBB112_4:
	s_waitcnt vmcnt(0) lgkmcnt(0)
	v_cmp_neq_f64_e32 vcc_lo, 0, v[3:4]
	v_cmp_neq_f64_e64 s0, 1.0, v[1:2]
	s_or_b32 s0, vcc_lo, s0
	s_and_saveexec_b32 s1, s0
	s_cbranch_execz .LBB112_15
; %bb.5:
	s_load_dword s0, s[4:5], 0x0
	v_lshrrev_b32_e32 v5, 3, v0
	v_lshl_or_b32 v5, s6, 4, v5
	s_waitcnt lgkmcnt(0)
	v_cmp_gt_i32_e32 vcc_lo, s0, v5
	s_and_b32 exec_lo, exec_lo, vcc_lo
	s_cbranch_execz .LBB112_15
; %bb.6:
	s_clause 0x1
	s_load_dwordx2 s[0:1], s[4:5], 0x10
	s_load_dwordx2 s[2:3], s[4:5], 0x38
	v_ashrrev_i32_e32 v6, 31, v5
	v_and_b32_e32 v0, 7, v0
	v_lshlrev_b64 v[7:8], 2, v[5:6]
	v_subrev_nc_u32_e32 v9, s12, v0
	s_waitcnt lgkmcnt(0)
	v_add_co_u32 v7, vcc_lo, s0, v7
	v_add_co_ci_u32_e64 v8, null, s1, v8, vcc_lo
	s_mov_b32 s1, exec_lo
	global_load_dwordx2 v[7:8], v[7:8], off
	s_waitcnt vmcnt(0)
	v_subrev_nc_u32_e32 v14, s12, v8
	v_add_nc_u32_e32 v9, v7, v9
	v_mov_b32_e32 v7, 0
	v_mov_b32_e32 v8, 0
	v_cmpx_lt_i32_e64 v9, v14
	s_cbranch_execz .LBB112_10
; %bb.7:
	s_clause 0x1
	s_load_dwordx4 s[8:11], s[4:5], 0x18
	s_load_dwordx2 s[4:5], s[4:5], 0x28
	v_mad_u64_u32 v[11:12], null, v9, 9, 8
	v_mov_b32_e32 v7, 0
	v_mov_b32_e32 v8, 0
	;; [unrolled: 1-line block ×3, first 2 shown]
	s_mov_b32 s6, 0
.LBB112_8:                              ; =>This Inner Loop Header: Depth=1
	v_ashrrev_i32_e32 v10, 31, v9
	v_add_nc_u32_e32 v12, -8, v11
	v_lshlrev_b64 v[15:16], 2, v[9:10]
	v_lshlrev_b64 v[17:18], 3, v[12:13]
	v_add_nc_u32_e32 v12, -7, v11
	v_add_nc_u32_e32 v9, 8, v9
	s_waitcnt lgkmcnt(0)
	v_add_co_u32 v15, vcc_lo, s8, v15
	v_add_co_ci_u32_e64 v16, null, s9, v16, vcc_lo
	v_lshlrev_b64 v[19:20], 3, v[12:13]
	v_add_co_u32 v17, vcc_lo, s10, v17
	global_load_dword v10, v[15:16], off
	v_mov_b32_e32 v16, v13
	v_add_co_ci_u32_e64 v18, null, s11, v18, vcc_lo
	v_add_co_u32 v19, vcc_lo, s10, v19
	v_add_co_ci_u32_e64 v20, null, s11, v20, vcc_lo
	s_waitcnt vmcnt(0)
	v_subrev_nc_u32_e32 v10, s12, v10
	v_lshl_add_u32 v15, v10, 3, v10
	v_lshlrev_b64 v[21:22], 3, v[15:16]
	v_add_nc_u32_e32 v12, 1, v15
	v_add_co_u32 v21, s0, s4, v21
	v_add_co_ci_u32_e64 v22, null, s5, v22, s0
	s_clause 0x1
	global_load_dwordx2 v[16:17], v[17:18], off
	global_load_dwordx2 v[18:19], v[19:20], off
	;; [unrolled: 1-line block ×3, first 2 shown]
	v_lshlrev_b64 v[22:23], 3, v[12:13]
	v_add_nc_u32_e32 v12, -6, v11
	v_lshlrev_b64 v[24:25], 3, v[12:13]
	v_add_co_u32 v22, vcc_lo, s4, v22
	v_add_co_ci_u32_e64 v23, null, s5, v23, vcc_lo
	v_add_nc_u32_e32 v12, 2, v15
	v_add_co_u32 v24, vcc_lo, s10, v24
	global_load_dwordx2 v[22:23], v[22:23], off
	v_add_co_ci_u32_e64 v25, null, s11, v25, vcc_lo
	v_lshlrev_b64 v[26:27], 3, v[12:13]
	v_add_nc_u32_e32 v12, -5, v11
	v_add_co_u32 v26, vcc_lo, s4, v26
	v_add_co_ci_u32_e64 v27, null, s5, v27, vcc_lo
	global_load_dwordx2 v[24:25], v[24:25], off
	global_load_dwordx2 v[26:27], v[26:27], off
	v_lshlrev_b64 v[28:29], 3, v[12:13]
	v_add_nc_u32_e32 v12, 3, v15
	v_lshlrev_b64 v[30:31], 3, v[12:13]
	v_add_co_u32 v28, vcc_lo, s10, v28
	v_add_co_ci_u32_e64 v29, null, s11, v29, vcc_lo
	v_add_nc_u32_e32 v12, -4, v11
	v_add_co_u32 v30, vcc_lo, s4, v30
	v_add_co_ci_u32_e64 v31, null, s5, v31, vcc_lo
	global_load_dwordx2 v[28:29], v[28:29], off
	global_load_dwordx2 v[30:31], v[30:31], off
	v_lshlrev_b64 v[32:33], 3, v[12:13]
	v_add_nc_u32_e32 v12, 4, v15
	v_lshlrev_b64 v[34:35], 3, v[12:13]
	v_add_co_u32 v32, vcc_lo, s10, v32
	v_add_co_ci_u32_e64 v33, null, s11, v33, vcc_lo
	;; [unrolled: 10-line block ×5, first 2 shown]
	v_mov_b32_e32 v12, v13
	v_add_co_u32 v46, vcc_lo, s4, v46
	v_add_co_ci_u32_e64 v47, null, s5, v47, vcc_lo
	global_load_dwordx2 v[44:45], v[44:45], off
	global_load_dwordx2 v[46:47], v[46:47], off
	v_lshlrev_b64 v[48:49], 3, v[11:12]
	v_add_nc_u32_e32 v12, 8, v15
	v_add_nc_u32_e32 v11, 0x48, v11
	v_lshlrev_b64 v[50:51], 3, v[12:13]
	v_add_co_u32 v48, vcc_lo, s10, v48
	v_add_co_ci_u32_e64 v49, null, s11, v49, vcc_lo
	v_add_co_u32 v50, vcc_lo, s4, v50
	v_add_co_ci_u32_e64 v51, null, s5, v51, vcc_lo
	global_load_dwordx2 v[48:49], v[48:49], off
	global_load_dwordx2 v[50:51], v[50:51], off
	v_cmp_ge_i32_e32 vcc_lo, v9, v14
	s_or_b32 s6, vcc_lo, s6
	s_waitcnt vmcnt(15)
	v_fma_f64 v[7:8], v[16:17], v[20:21], v[7:8]
	s_waitcnt vmcnt(14)
	v_fma_f64 v[7:8], v[18:19], v[22:23], v[7:8]
	;; [unrolled: 2-line block ×9, first 2 shown]
	s_andn2_b32 exec_lo, exec_lo, s6
	s_cbranch_execnz .LBB112_8
; %bb.9:
	s_or_b32 exec_lo, exec_lo, s6
.LBB112_10:
	s_or_b32 exec_lo, exec_lo, s1
	v_mbcnt_lo_u32_b32 v11, -1, 0
	v_xor_b32_e32 v9, 4, v11
	v_cmp_gt_i32_e32 vcc_lo, 32, v9
	v_cndmask_b32_e32 v9, v11, v9, vcc_lo
	v_lshlrev_b32_e32 v10, 2, v9
	ds_bpermute_b32 v9, v10, v7
	ds_bpermute_b32 v10, v10, v8
	s_waitcnt lgkmcnt(0)
	v_add_f64 v[7:8], v[7:8], v[9:10]
	v_xor_b32_e32 v9, 2, v11
	v_cmp_gt_i32_e32 vcc_lo, 32, v9
	v_cndmask_b32_e32 v9, v11, v9, vcc_lo
	v_lshlrev_b32_e32 v10, 2, v9
	ds_bpermute_b32 v9, v10, v7
	ds_bpermute_b32 v10, v10, v8
	s_waitcnt lgkmcnt(0)
	v_add_f64 v[7:8], v[7:8], v[9:10]
	v_xor_b32_e32 v9, 1, v11
	v_cmp_gt_i32_e32 vcc_lo, 32, v9
	v_cndmask_b32_e32 v9, v11, v9, vcc_lo
	v_cmp_eq_u32_e32 vcc_lo, 7, v0
	v_lshlrev_b32_e32 v10, 2, v9
	ds_bpermute_b32 v9, v10, v7
	ds_bpermute_b32 v10, v10, v8
	s_and_b32 exec_lo, exec_lo, vcc_lo
	s_cbranch_execz .LBB112_15
; %bb.11:
	s_waitcnt lgkmcnt(0)
	v_add_f64 v[7:8], v[7:8], v[9:10]
	v_lshlrev_b64 v[5:6], 3, v[5:6]
	s_mov_b32 s0, exec_lo
	v_mul_f64 v[3:4], v[3:4], v[7:8]
	v_cmpx_eq_f64_e32 0, v[1:2]
	s_xor_b32 s0, exec_lo, s0
	s_cbranch_execz .LBB112_13
; %bb.12:
	v_add_co_u32 v0, vcc_lo, s2, v5
	v_add_co_ci_u32_e64 v1, null, s3, v6, vcc_lo
                                        ; implicit-def: $vgpr5_vgpr6
	global_store_dwordx2 v[0:1], v[3:4], off
                                        ; implicit-def: $vgpr1_vgpr2
                                        ; implicit-def: $vgpr3_vgpr4
.LBB112_13:
	s_andn2_saveexec_b32 s0, s0
	s_cbranch_execz .LBB112_15
; %bb.14:
	v_add_co_u32 v5, vcc_lo, s2, v5
	v_add_co_ci_u32_e64 v6, null, s3, v6, vcc_lo
	global_load_dwordx2 v[7:8], v[5:6], off
	s_waitcnt vmcnt(0)
	v_fma_f64 v[0:1], v[1:2], v[7:8], v[3:4]
	global_store_dwordx2 v[5:6], v[0:1], off
.LBB112_15:
	s_endpgm
	.section	.rodata,"a",@progbits
	.p2align	6, 0x0
	.amdhsa_kernel _ZN9rocsparseL19gebsrmvn_1xn_kernelILj128ELj9ELj8EdEEvi20rocsparse_direction_NS_24const_host_device_scalarIT2_EEPKiS6_PKS3_S8_S4_PS3_21rocsparse_index_base_b
		.amdhsa_group_segment_fixed_size 0
		.amdhsa_private_segment_fixed_size 0
		.amdhsa_kernarg_size 72
		.amdhsa_user_sgpr_count 6
		.amdhsa_user_sgpr_private_segment_buffer 1
		.amdhsa_user_sgpr_dispatch_ptr 0
		.amdhsa_user_sgpr_queue_ptr 0
		.amdhsa_user_sgpr_kernarg_segment_ptr 1
		.amdhsa_user_sgpr_dispatch_id 0
		.amdhsa_user_sgpr_flat_scratch_init 0
		.amdhsa_user_sgpr_private_segment_size 0
		.amdhsa_wavefront_size32 1
		.amdhsa_uses_dynamic_stack 0
		.amdhsa_system_sgpr_private_segment_wavefront_offset 0
		.amdhsa_system_sgpr_workgroup_id_x 1
		.amdhsa_system_sgpr_workgroup_id_y 0
		.amdhsa_system_sgpr_workgroup_id_z 0
		.amdhsa_system_sgpr_workgroup_info 0
		.amdhsa_system_vgpr_workitem_id 0
		.amdhsa_next_free_vgpr 52
		.amdhsa_next_free_sgpr 14
		.amdhsa_reserve_vcc 1
		.amdhsa_reserve_flat_scratch 0
		.amdhsa_float_round_mode_32 0
		.amdhsa_float_round_mode_16_64 0
		.amdhsa_float_denorm_mode_32 3
		.amdhsa_float_denorm_mode_16_64 3
		.amdhsa_dx10_clamp 1
		.amdhsa_ieee_mode 1
		.amdhsa_fp16_overflow 0
		.amdhsa_workgroup_processor_mode 1
		.amdhsa_memory_ordered 1
		.amdhsa_forward_progress 1
		.amdhsa_shared_vgpr_count 0
		.amdhsa_exception_fp_ieee_invalid_op 0
		.amdhsa_exception_fp_denorm_src 0
		.amdhsa_exception_fp_ieee_div_zero 0
		.amdhsa_exception_fp_ieee_overflow 0
		.amdhsa_exception_fp_ieee_underflow 0
		.amdhsa_exception_fp_ieee_inexact 0
		.amdhsa_exception_int_div_zero 0
	.end_amdhsa_kernel
	.section	.text._ZN9rocsparseL19gebsrmvn_1xn_kernelILj128ELj9ELj8EdEEvi20rocsparse_direction_NS_24const_host_device_scalarIT2_EEPKiS6_PKS3_S8_S4_PS3_21rocsparse_index_base_b,"axG",@progbits,_ZN9rocsparseL19gebsrmvn_1xn_kernelILj128ELj9ELj8EdEEvi20rocsparse_direction_NS_24const_host_device_scalarIT2_EEPKiS6_PKS3_S8_S4_PS3_21rocsparse_index_base_b,comdat
.Lfunc_end112:
	.size	_ZN9rocsparseL19gebsrmvn_1xn_kernelILj128ELj9ELj8EdEEvi20rocsparse_direction_NS_24const_host_device_scalarIT2_EEPKiS6_PKS3_S8_S4_PS3_21rocsparse_index_base_b, .Lfunc_end112-_ZN9rocsparseL19gebsrmvn_1xn_kernelILj128ELj9ELj8EdEEvi20rocsparse_direction_NS_24const_host_device_scalarIT2_EEPKiS6_PKS3_S8_S4_PS3_21rocsparse_index_base_b
                                        ; -- End function
	.set _ZN9rocsparseL19gebsrmvn_1xn_kernelILj128ELj9ELj8EdEEvi20rocsparse_direction_NS_24const_host_device_scalarIT2_EEPKiS6_PKS3_S8_S4_PS3_21rocsparse_index_base_b.num_vgpr, 52
	.set _ZN9rocsparseL19gebsrmvn_1xn_kernelILj128ELj9ELj8EdEEvi20rocsparse_direction_NS_24const_host_device_scalarIT2_EEPKiS6_PKS3_S8_S4_PS3_21rocsparse_index_base_b.num_agpr, 0
	.set _ZN9rocsparseL19gebsrmvn_1xn_kernelILj128ELj9ELj8EdEEvi20rocsparse_direction_NS_24const_host_device_scalarIT2_EEPKiS6_PKS3_S8_S4_PS3_21rocsparse_index_base_b.numbered_sgpr, 14
	.set _ZN9rocsparseL19gebsrmvn_1xn_kernelILj128ELj9ELj8EdEEvi20rocsparse_direction_NS_24const_host_device_scalarIT2_EEPKiS6_PKS3_S8_S4_PS3_21rocsparse_index_base_b.num_named_barrier, 0
	.set _ZN9rocsparseL19gebsrmvn_1xn_kernelILj128ELj9ELj8EdEEvi20rocsparse_direction_NS_24const_host_device_scalarIT2_EEPKiS6_PKS3_S8_S4_PS3_21rocsparse_index_base_b.private_seg_size, 0
	.set _ZN9rocsparseL19gebsrmvn_1xn_kernelILj128ELj9ELj8EdEEvi20rocsparse_direction_NS_24const_host_device_scalarIT2_EEPKiS6_PKS3_S8_S4_PS3_21rocsparse_index_base_b.uses_vcc, 1
	.set _ZN9rocsparseL19gebsrmvn_1xn_kernelILj128ELj9ELj8EdEEvi20rocsparse_direction_NS_24const_host_device_scalarIT2_EEPKiS6_PKS3_S8_S4_PS3_21rocsparse_index_base_b.uses_flat_scratch, 0
	.set _ZN9rocsparseL19gebsrmvn_1xn_kernelILj128ELj9ELj8EdEEvi20rocsparse_direction_NS_24const_host_device_scalarIT2_EEPKiS6_PKS3_S8_S4_PS3_21rocsparse_index_base_b.has_dyn_sized_stack, 0
	.set _ZN9rocsparseL19gebsrmvn_1xn_kernelILj128ELj9ELj8EdEEvi20rocsparse_direction_NS_24const_host_device_scalarIT2_EEPKiS6_PKS3_S8_S4_PS3_21rocsparse_index_base_b.has_recursion, 0
	.set _ZN9rocsparseL19gebsrmvn_1xn_kernelILj128ELj9ELj8EdEEvi20rocsparse_direction_NS_24const_host_device_scalarIT2_EEPKiS6_PKS3_S8_S4_PS3_21rocsparse_index_base_b.has_indirect_call, 0
	.section	.AMDGPU.csdata,"",@progbits
; Kernel info:
; codeLenInByte = 1436
; TotalNumSgprs: 16
; NumVgprs: 52
; ScratchSize: 0
; MemoryBound: 0
; FloatMode: 240
; IeeeMode: 1
; LDSByteSize: 0 bytes/workgroup (compile time only)
; SGPRBlocks: 0
; VGPRBlocks: 6
; NumSGPRsForWavesPerEU: 16
; NumVGPRsForWavesPerEU: 52
; Occupancy: 16
; WaveLimiterHint : 1
; COMPUTE_PGM_RSRC2:SCRATCH_EN: 0
; COMPUTE_PGM_RSRC2:USER_SGPR: 6
; COMPUTE_PGM_RSRC2:TRAP_HANDLER: 0
; COMPUTE_PGM_RSRC2:TGID_X_EN: 1
; COMPUTE_PGM_RSRC2:TGID_Y_EN: 0
; COMPUTE_PGM_RSRC2:TGID_Z_EN: 0
; COMPUTE_PGM_RSRC2:TIDIG_COMP_CNT: 0
	.section	.text._ZN9rocsparseL19gebsrmvn_1xn_kernelILj128ELj9ELj16EdEEvi20rocsparse_direction_NS_24const_host_device_scalarIT2_EEPKiS6_PKS3_S8_S4_PS3_21rocsparse_index_base_b,"axG",@progbits,_ZN9rocsparseL19gebsrmvn_1xn_kernelILj128ELj9ELj16EdEEvi20rocsparse_direction_NS_24const_host_device_scalarIT2_EEPKiS6_PKS3_S8_S4_PS3_21rocsparse_index_base_b,comdat
	.globl	_ZN9rocsparseL19gebsrmvn_1xn_kernelILj128ELj9ELj16EdEEvi20rocsparse_direction_NS_24const_host_device_scalarIT2_EEPKiS6_PKS3_S8_S4_PS3_21rocsparse_index_base_b ; -- Begin function _ZN9rocsparseL19gebsrmvn_1xn_kernelILj128ELj9ELj16EdEEvi20rocsparse_direction_NS_24const_host_device_scalarIT2_EEPKiS6_PKS3_S8_S4_PS3_21rocsparse_index_base_b
	.p2align	8
	.type	_ZN9rocsparseL19gebsrmvn_1xn_kernelILj128ELj9ELj16EdEEvi20rocsparse_direction_NS_24const_host_device_scalarIT2_EEPKiS6_PKS3_S8_S4_PS3_21rocsparse_index_base_b,@function
_ZN9rocsparseL19gebsrmvn_1xn_kernelILj128ELj9ELj16EdEEvi20rocsparse_direction_NS_24const_host_device_scalarIT2_EEPKiS6_PKS3_S8_S4_PS3_21rocsparse_index_base_b: ; @_ZN9rocsparseL19gebsrmvn_1xn_kernelILj128ELj9ELj16EdEEvi20rocsparse_direction_NS_24const_host_device_scalarIT2_EEPKiS6_PKS3_S8_S4_PS3_21rocsparse_index_base_b
; %bb.0:
	s_clause 0x2
	s_load_dwordx2 s[12:13], s[4:5], 0x40
	s_load_dwordx2 s[2:3], s[4:5], 0x8
	;; [unrolled: 1-line block ×3, first 2 shown]
	s_waitcnt lgkmcnt(0)
	s_bitcmp1_b32 s13, 0
	v_mov_b32_e32 v4, s3
	v_mov_b32_e32 v3, s2
	s_cselect_b32 s7, -1, 0
	s_and_b32 vcc_lo, exec_lo, s7
	s_xor_b32 s7, s7, -1
	s_cbranch_vccnz .LBB113_2
; %bb.1:
	v_mov_b32_e32 v1, s2
	v_mov_b32_e32 v2, s3
	flat_load_dwordx2 v[3:4], v[1:2]
.LBB113_2:
	v_mov_b32_e32 v2, s1
	v_mov_b32_e32 v1, s0
	s_andn2_b32 vcc_lo, exec_lo, s7
	s_cbranch_vccnz .LBB113_4
; %bb.3:
	v_mov_b32_e32 v2, s1
	v_mov_b32_e32 v1, s0
	flat_load_dwordx2 v[1:2], v[1:2]
.LBB113_4:
	s_waitcnt vmcnt(0) lgkmcnt(0)
	v_cmp_neq_f64_e32 vcc_lo, 0, v[3:4]
	v_cmp_neq_f64_e64 s0, 1.0, v[1:2]
	s_or_b32 s0, vcc_lo, s0
	s_and_saveexec_b32 s1, s0
	s_cbranch_execz .LBB113_15
; %bb.5:
	s_load_dword s0, s[4:5], 0x0
	v_lshrrev_b32_e32 v5, 4, v0
	v_lshl_or_b32 v5, s6, 3, v5
	s_waitcnt lgkmcnt(0)
	v_cmp_gt_i32_e32 vcc_lo, s0, v5
	s_and_b32 exec_lo, exec_lo, vcc_lo
	s_cbranch_execz .LBB113_15
; %bb.6:
	s_clause 0x1
	s_load_dwordx2 s[0:1], s[4:5], 0x10
	s_load_dwordx2 s[2:3], s[4:5], 0x38
	v_ashrrev_i32_e32 v6, 31, v5
	v_and_b32_e32 v0, 15, v0
	v_lshlrev_b64 v[7:8], 2, v[5:6]
	v_subrev_nc_u32_e32 v9, s12, v0
	s_waitcnt lgkmcnt(0)
	v_add_co_u32 v7, vcc_lo, s0, v7
	v_add_co_ci_u32_e64 v8, null, s1, v8, vcc_lo
	s_mov_b32 s1, exec_lo
	global_load_dwordx2 v[7:8], v[7:8], off
	s_waitcnt vmcnt(0)
	v_subrev_nc_u32_e32 v14, s12, v8
	v_add_nc_u32_e32 v9, v7, v9
	v_mov_b32_e32 v7, 0
	v_mov_b32_e32 v8, 0
	v_cmpx_lt_i32_e64 v9, v14
	s_cbranch_execz .LBB113_10
; %bb.7:
	s_clause 0x1
	s_load_dwordx4 s[8:11], s[4:5], 0x18
	s_load_dwordx2 s[4:5], s[4:5], 0x28
	v_mad_u64_u32 v[11:12], null, v9, 9, 8
	v_mov_b32_e32 v7, 0
	v_mov_b32_e32 v8, 0
	;; [unrolled: 1-line block ×3, first 2 shown]
	s_mov_b32 s6, 0
.LBB113_8:                              ; =>This Inner Loop Header: Depth=1
	v_ashrrev_i32_e32 v10, 31, v9
	v_add_nc_u32_e32 v12, -8, v11
	v_lshlrev_b64 v[15:16], 2, v[9:10]
	v_lshlrev_b64 v[17:18], 3, v[12:13]
	v_add_nc_u32_e32 v12, -7, v11
	v_add_nc_u32_e32 v9, 16, v9
	s_waitcnt lgkmcnt(0)
	v_add_co_u32 v15, vcc_lo, s8, v15
	v_add_co_ci_u32_e64 v16, null, s9, v16, vcc_lo
	v_lshlrev_b64 v[19:20], 3, v[12:13]
	v_add_co_u32 v17, vcc_lo, s10, v17
	global_load_dword v10, v[15:16], off
	v_mov_b32_e32 v16, v13
	v_add_co_ci_u32_e64 v18, null, s11, v18, vcc_lo
	v_add_co_u32 v19, vcc_lo, s10, v19
	v_add_co_ci_u32_e64 v20, null, s11, v20, vcc_lo
	s_waitcnt vmcnt(0)
	v_subrev_nc_u32_e32 v10, s12, v10
	v_lshl_add_u32 v15, v10, 3, v10
	v_lshlrev_b64 v[21:22], 3, v[15:16]
	v_add_nc_u32_e32 v12, 1, v15
	v_add_co_u32 v21, s0, s4, v21
	v_add_co_ci_u32_e64 v22, null, s5, v22, s0
	s_clause 0x1
	global_load_dwordx2 v[16:17], v[17:18], off
	global_load_dwordx2 v[18:19], v[19:20], off
	;; [unrolled: 1-line block ×3, first 2 shown]
	v_lshlrev_b64 v[22:23], 3, v[12:13]
	v_add_nc_u32_e32 v12, -6, v11
	v_lshlrev_b64 v[24:25], 3, v[12:13]
	v_add_co_u32 v22, vcc_lo, s4, v22
	v_add_co_ci_u32_e64 v23, null, s5, v23, vcc_lo
	v_add_nc_u32_e32 v12, 2, v15
	v_add_co_u32 v24, vcc_lo, s10, v24
	global_load_dwordx2 v[22:23], v[22:23], off
	v_add_co_ci_u32_e64 v25, null, s11, v25, vcc_lo
	v_lshlrev_b64 v[26:27], 3, v[12:13]
	v_add_nc_u32_e32 v12, -5, v11
	v_add_co_u32 v26, vcc_lo, s4, v26
	v_add_co_ci_u32_e64 v27, null, s5, v27, vcc_lo
	global_load_dwordx2 v[24:25], v[24:25], off
	global_load_dwordx2 v[26:27], v[26:27], off
	v_lshlrev_b64 v[28:29], 3, v[12:13]
	v_add_nc_u32_e32 v12, 3, v15
	v_lshlrev_b64 v[30:31], 3, v[12:13]
	v_add_co_u32 v28, vcc_lo, s10, v28
	v_add_co_ci_u32_e64 v29, null, s11, v29, vcc_lo
	v_add_nc_u32_e32 v12, -4, v11
	v_add_co_u32 v30, vcc_lo, s4, v30
	v_add_co_ci_u32_e64 v31, null, s5, v31, vcc_lo
	global_load_dwordx2 v[28:29], v[28:29], off
	global_load_dwordx2 v[30:31], v[30:31], off
	v_lshlrev_b64 v[32:33], 3, v[12:13]
	v_add_nc_u32_e32 v12, 4, v15
	v_lshlrev_b64 v[34:35], 3, v[12:13]
	v_add_co_u32 v32, vcc_lo, s10, v32
	v_add_co_ci_u32_e64 v33, null, s11, v33, vcc_lo
	;; [unrolled: 10-line block ×5, first 2 shown]
	v_mov_b32_e32 v12, v13
	v_add_co_u32 v46, vcc_lo, s4, v46
	v_add_co_ci_u32_e64 v47, null, s5, v47, vcc_lo
	global_load_dwordx2 v[44:45], v[44:45], off
	global_load_dwordx2 v[46:47], v[46:47], off
	v_lshlrev_b64 v[48:49], 3, v[11:12]
	v_add_nc_u32_e32 v12, 8, v15
	v_add_nc_u32_e32 v11, 0x90, v11
	v_lshlrev_b64 v[50:51], 3, v[12:13]
	v_add_co_u32 v48, vcc_lo, s10, v48
	v_add_co_ci_u32_e64 v49, null, s11, v49, vcc_lo
	v_add_co_u32 v50, vcc_lo, s4, v50
	v_add_co_ci_u32_e64 v51, null, s5, v51, vcc_lo
	global_load_dwordx2 v[48:49], v[48:49], off
	global_load_dwordx2 v[50:51], v[50:51], off
	v_cmp_ge_i32_e32 vcc_lo, v9, v14
	s_or_b32 s6, vcc_lo, s6
	s_waitcnt vmcnt(15)
	v_fma_f64 v[7:8], v[16:17], v[20:21], v[7:8]
	s_waitcnt vmcnt(14)
	v_fma_f64 v[7:8], v[18:19], v[22:23], v[7:8]
	;; [unrolled: 2-line block ×9, first 2 shown]
	s_andn2_b32 exec_lo, exec_lo, s6
	s_cbranch_execnz .LBB113_8
; %bb.9:
	s_or_b32 exec_lo, exec_lo, s6
.LBB113_10:
	s_or_b32 exec_lo, exec_lo, s1
	v_mbcnt_lo_u32_b32 v11, -1, 0
	v_xor_b32_e32 v9, 8, v11
	v_cmp_gt_i32_e32 vcc_lo, 32, v9
	v_cndmask_b32_e32 v9, v11, v9, vcc_lo
	v_lshlrev_b32_e32 v10, 2, v9
	ds_bpermute_b32 v9, v10, v7
	ds_bpermute_b32 v10, v10, v8
	s_waitcnt lgkmcnt(0)
	v_add_f64 v[7:8], v[7:8], v[9:10]
	v_xor_b32_e32 v9, 4, v11
	v_cmp_gt_i32_e32 vcc_lo, 32, v9
	v_cndmask_b32_e32 v9, v11, v9, vcc_lo
	v_lshlrev_b32_e32 v10, 2, v9
	ds_bpermute_b32 v9, v10, v7
	ds_bpermute_b32 v10, v10, v8
	s_waitcnt lgkmcnt(0)
	v_add_f64 v[7:8], v[7:8], v[9:10]
	;; [unrolled: 8-line block ×3, first 2 shown]
	v_xor_b32_e32 v9, 1, v11
	v_cmp_gt_i32_e32 vcc_lo, 32, v9
	v_cndmask_b32_e32 v9, v11, v9, vcc_lo
	v_cmp_eq_u32_e32 vcc_lo, 15, v0
	v_lshlrev_b32_e32 v10, 2, v9
	ds_bpermute_b32 v9, v10, v7
	ds_bpermute_b32 v10, v10, v8
	s_and_b32 exec_lo, exec_lo, vcc_lo
	s_cbranch_execz .LBB113_15
; %bb.11:
	s_waitcnt lgkmcnt(0)
	v_add_f64 v[7:8], v[7:8], v[9:10]
	v_lshlrev_b64 v[5:6], 3, v[5:6]
	s_mov_b32 s0, exec_lo
	v_mul_f64 v[3:4], v[3:4], v[7:8]
	v_cmpx_eq_f64_e32 0, v[1:2]
	s_xor_b32 s0, exec_lo, s0
	s_cbranch_execz .LBB113_13
; %bb.12:
	v_add_co_u32 v0, vcc_lo, s2, v5
	v_add_co_ci_u32_e64 v1, null, s3, v6, vcc_lo
                                        ; implicit-def: $vgpr5_vgpr6
	global_store_dwordx2 v[0:1], v[3:4], off
                                        ; implicit-def: $vgpr1_vgpr2
                                        ; implicit-def: $vgpr3_vgpr4
.LBB113_13:
	s_andn2_saveexec_b32 s0, s0
	s_cbranch_execz .LBB113_15
; %bb.14:
	v_add_co_u32 v5, vcc_lo, s2, v5
	v_add_co_ci_u32_e64 v6, null, s3, v6, vcc_lo
	global_load_dwordx2 v[7:8], v[5:6], off
	s_waitcnt vmcnt(0)
	v_fma_f64 v[0:1], v[1:2], v[7:8], v[3:4]
	global_store_dwordx2 v[5:6], v[0:1], off
.LBB113_15:
	s_endpgm
	.section	.rodata,"a",@progbits
	.p2align	6, 0x0
	.amdhsa_kernel _ZN9rocsparseL19gebsrmvn_1xn_kernelILj128ELj9ELj16EdEEvi20rocsparse_direction_NS_24const_host_device_scalarIT2_EEPKiS6_PKS3_S8_S4_PS3_21rocsparse_index_base_b
		.amdhsa_group_segment_fixed_size 0
		.amdhsa_private_segment_fixed_size 0
		.amdhsa_kernarg_size 72
		.amdhsa_user_sgpr_count 6
		.amdhsa_user_sgpr_private_segment_buffer 1
		.amdhsa_user_sgpr_dispatch_ptr 0
		.amdhsa_user_sgpr_queue_ptr 0
		.amdhsa_user_sgpr_kernarg_segment_ptr 1
		.amdhsa_user_sgpr_dispatch_id 0
		.amdhsa_user_sgpr_flat_scratch_init 0
		.amdhsa_user_sgpr_private_segment_size 0
		.amdhsa_wavefront_size32 1
		.amdhsa_uses_dynamic_stack 0
		.amdhsa_system_sgpr_private_segment_wavefront_offset 0
		.amdhsa_system_sgpr_workgroup_id_x 1
		.amdhsa_system_sgpr_workgroup_id_y 0
		.amdhsa_system_sgpr_workgroup_id_z 0
		.amdhsa_system_sgpr_workgroup_info 0
		.amdhsa_system_vgpr_workitem_id 0
		.amdhsa_next_free_vgpr 52
		.amdhsa_next_free_sgpr 14
		.amdhsa_reserve_vcc 1
		.amdhsa_reserve_flat_scratch 0
		.amdhsa_float_round_mode_32 0
		.amdhsa_float_round_mode_16_64 0
		.amdhsa_float_denorm_mode_32 3
		.amdhsa_float_denorm_mode_16_64 3
		.amdhsa_dx10_clamp 1
		.amdhsa_ieee_mode 1
		.amdhsa_fp16_overflow 0
		.amdhsa_workgroup_processor_mode 1
		.amdhsa_memory_ordered 1
		.amdhsa_forward_progress 1
		.amdhsa_shared_vgpr_count 0
		.amdhsa_exception_fp_ieee_invalid_op 0
		.amdhsa_exception_fp_denorm_src 0
		.amdhsa_exception_fp_ieee_div_zero 0
		.amdhsa_exception_fp_ieee_overflow 0
		.amdhsa_exception_fp_ieee_underflow 0
		.amdhsa_exception_fp_ieee_inexact 0
		.amdhsa_exception_int_div_zero 0
	.end_amdhsa_kernel
	.section	.text._ZN9rocsparseL19gebsrmvn_1xn_kernelILj128ELj9ELj16EdEEvi20rocsparse_direction_NS_24const_host_device_scalarIT2_EEPKiS6_PKS3_S8_S4_PS3_21rocsparse_index_base_b,"axG",@progbits,_ZN9rocsparseL19gebsrmvn_1xn_kernelILj128ELj9ELj16EdEEvi20rocsparse_direction_NS_24const_host_device_scalarIT2_EEPKiS6_PKS3_S8_S4_PS3_21rocsparse_index_base_b,comdat
.Lfunc_end113:
	.size	_ZN9rocsparseL19gebsrmvn_1xn_kernelILj128ELj9ELj16EdEEvi20rocsparse_direction_NS_24const_host_device_scalarIT2_EEPKiS6_PKS3_S8_S4_PS3_21rocsparse_index_base_b, .Lfunc_end113-_ZN9rocsparseL19gebsrmvn_1xn_kernelILj128ELj9ELj16EdEEvi20rocsparse_direction_NS_24const_host_device_scalarIT2_EEPKiS6_PKS3_S8_S4_PS3_21rocsparse_index_base_b
                                        ; -- End function
	.set _ZN9rocsparseL19gebsrmvn_1xn_kernelILj128ELj9ELj16EdEEvi20rocsparse_direction_NS_24const_host_device_scalarIT2_EEPKiS6_PKS3_S8_S4_PS3_21rocsparse_index_base_b.num_vgpr, 52
	.set _ZN9rocsparseL19gebsrmvn_1xn_kernelILj128ELj9ELj16EdEEvi20rocsparse_direction_NS_24const_host_device_scalarIT2_EEPKiS6_PKS3_S8_S4_PS3_21rocsparse_index_base_b.num_agpr, 0
	.set _ZN9rocsparseL19gebsrmvn_1xn_kernelILj128ELj9ELj16EdEEvi20rocsparse_direction_NS_24const_host_device_scalarIT2_EEPKiS6_PKS3_S8_S4_PS3_21rocsparse_index_base_b.numbered_sgpr, 14
	.set _ZN9rocsparseL19gebsrmvn_1xn_kernelILj128ELj9ELj16EdEEvi20rocsparse_direction_NS_24const_host_device_scalarIT2_EEPKiS6_PKS3_S8_S4_PS3_21rocsparse_index_base_b.num_named_barrier, 0
	.set _ZN9rocsparseL19gebsrmvn_1xn_kernelILj128ELj9ELj16EdEEvi20rocsparse_direction_NS_24const_host_device_scalarIT2_EEPKiS6_PKS3_S8_S4_PS3_21rocsparse_index_base_b.private_seg_size, 0
	.set _ZN9rocsparseL19gebsrmvn_1xn_kernelILj128ELj9ELj16EdEEvi20rocsparse_direction_NS_24const_host_device_scalarIT2_EEPKiS6_PKS3_S8_S4_PS3_21rocsparse_index_base_b.uses_vcc, 1
	.set _ZN9rocsparseL19gebsrmvn_1xn_kernelILj128ELj9ELj16EdEEvi20rocsparse_direction_NS_24const_host_device_scalarIT2_EEPKiS6_PKS3_S8_S4_PS3_21rocsparse_index_base_b.uses_flat_scratch, 0
	.set _ZN9rocsparseL19gebsrmvn_1xn_kernelILj128ELj9ELj16EdEEvi20rocsparse_direction_NS_24const_host_device_scalarIT2_EEPKiS6_PKS3_S8_S4_PS3_21rocsparse_index_base_b.has_dyn_sized_stack, 0
	.set _ZN9rocsparseL19gebsrmvn_1xn_kernelILj128ELj9ELj16EdEEvi20rocsparse_direction_NS_24const_host_device_scalarIT2_EEPKiS6_PKS3_S8_S4_PS3_21rocsparse_index_base_b.has_recursion, 0
	.set _ZN9rocsparseL19gebsrmvn_1xn_kernelILj128ELj9ELj16EdEEvi20rocsparse_direction_NS_24const_host_device_scalarIT2_EEPKiS6_PKS3_S8_S4_PS3_21rocsparse_index_base_b.has_indirect_call, 0
	.section	.AMDGPU.csdata,"",@progbits
; Kernel info:
; codeLenInByte = 1480
; TotalNumSgprs: 16
; NumVgprs: 52
; ScratchSize: 0
; MemoryBound: 0
; FloatMode: 240
; IeeeMode: 1
; LDSByteSize: 0 bytes/workgroup (compile time only)
; SGPRBlocks: 0
; VGPRBlocks: 6
; NumSGPRsForWavesPerEU: 16
; NumVGPRsForWavesPerEU: 52
; Occupancy: 16
; WaveLimiterHint : 1
; COMPUTE_PGM_RSRC2:SCRATCH_EN: 0
; COMPUTE_PGM_RSRC2:USER_SGPR: 6
; COMPUTE_PGM_RSRC2:TRAP_HANDLER: 0
; COMPUTE_PGM_RSRC2:TGID_X_EN: 1
; COMPUTE_PGM_RSRC2:TGID_Y_EN: 0
; COMPUTE_PGM_RSRC2:TGID_Z_EN: 0
; COMPUTE_PGM_RSRC2:TIDIG_COMP_CNT: 0
	.section	.text._ZN9rocsparseL19gebsrmvn_1xn_kernelILj128ELj9ELj32EdEEvi20rocsparse_direction_NS_24const_host_device_scalarIT2_EEPKiS6_PKS3_S8_S4_PS3_21rocsparse_index_base_b,"axG",@progbits,_ZN9rocsparseL19gebsrmvn_1xn_kernelILj128ELj9ELj32EdEEvi20rocsparse_direction_NS_24const_host_device_scalarIT2_EEPKiS6_PKS3_S8_S4_PS3_21rocsparse_index_base_b,comdat
	.globl	_ZN9rocsparseL19gebsrmvn_1xn_kernelILj128ELj9ELj32EdEEvi20rocsparse_direction_NS_24const_host_device_scalarIT2_EEPKiS6_PKS3_S8_S4_PS3_21rocsparse_index_base_b ; -- Begin function _ZN9rocsparseL19gebsrmvn_1xn_kernelILj128ELj9ELj32EdEEvi20rocsparse_direction_NS_24const_host_device_scalarIT2_EEPKiS6_PKS3_S8_S4_PS3_21rocsparse_index_base_b
	.p2align	8
	.type	_ZN9rocsparseL19gebsrmvn_1xn_kernelILj128ELj9ELj32EdEEvi20rocsparse_direction_NS_24const_host_device_scalarIT2_EEPKiS6_PKS3_S8_S4_PS3_21rocsparse_index_base_b,@function
_ZN9rocsparseL19gebsrmvn_1xn_kernelILj128ELj9ELj32EdEEvi20rocsparse_direction_NS_24const_host_device_scalarIT2_EEPKiS6_PKS3_S8_S4_PS3_21rocsparse_index_base_b: ; @_ZN9rocsparseL19gebsrmvn_1xn_kernelILj128ELj9ELj32EdEEvi20rocsparse_direction_NS_24const_host_device_scalarIT2_EEPKiS6_PKS3_S8_S4_PS3_21rocsparse_index_base_b
; %bb.0:
	s_clause 0x2
	s_load_dwordx2 s[12:13], s[4:5], 0x40
	s_load_dwordx2 s[2:3], s[4:5], 0x8
	;; [unrolled: 1-line block ×3, first 2 shown]
	s_waitcnt lgkmcnt(0)
	s_bitcmp1_b32 s13, 0
	v_mov_b32_e32 v4, s3
	v_mov_b32_e32 v3, s2
	s_cselect_b32 s7, -1, 0
	s_and_b32 vcc_lo, exec_lo, s7
	s_xor_b32 s7, s7, -1
	s_cbranch_vccnz .LBB114_2
; %bb.1:
	v_mov_b32_e32 v1, s2
	v_mov_b32_e32 v2, s3
	flat_load_dwordx2 v[3:4], v[1:2]
.LBB114_2:
	v_mov_b32_e32 v2, s1
	v_mov_b32_e32 v1, s0
	s_andn2_b32 vcc_lo, exec_lo, s7
	s_cbranch_vccnz .LBB114_4
; %bb.3:
	v_mov_b32_e32 v2, s1
	v_mov_b32_e32 v1, s0
	flat_load_dwordx2 v[1:2], v[1:2]
.LBB114_4:
	s_waitcnt vmcnt(0) lgkmcnt(0)
	v_cmp_neq_f64_e32 vcc_lo, 0, v[3:4]
	v_cmp_neq_f64_e64 s0, 1.0, v[1:2]
	s_or_b32 s0, vcc_lo, s0
	s_and_saveexec_b32 s1, s0
	s_cbranch_execz .LBB114_15
; %bb.5:
	s_load_dword s0, s[4:5], 0x0
	v_lshrrev_b32_e32 v5, 5, v0
	v_lshl_or_b32 v5, s6, 2, v5
	s_waitcnt lgkmcnt(0)
	v_cmp_gt_i32_e32 vcc_lo, s0, v5
	s_and_b32 exec_lo, exec_lo, vcc_lo
	s_cbranch_execz .LBB114_15
; %bb.6:
	s_clause 0x1
	s_load_dwordx2 s[0:1], s[4:5], 0x10
	s_load_dwordx2 s[2:3], s[4:5], 0x38
	v_ashrrev_i32_e32 v6, 31, v5
	v_and_b32_e32 v0, 31, v0
	v_lshlrev_b64 v[7:8], 2, v[5:6]
	v_subrev_nc_u32_e32 v9, s12, v0
	s_waitcnt lgkmcnt(0)
	v_add_co_u32 v7, vcc_lo, s0, v7
	v_add_co_ci_u32_e64 v8, null, s1, v8, vcc_lo
	s_mov_b32 s1, exec_lo
	global_load_dwordx2 v[7:8], v[7:8], off
	s_waitcnt vmcnt(0)
	v_subrev_nc_u32_e32 v14, s12, v8
	v_add_nc_u32_e32 v9, v7, v9
	v_mov_b32_e32 v7, 0
	v_mov_b32_e32 v8, 0
	v_cmpx_lt_i32_e64 v9, v14
	s_cbranch_execz .LBB114_10
; %bb.7:
	s_clause 0x1
	s_load_dwordx4 s[8:11], s[4:5], 0x18
	s_load_dwordx2 s[4:5], s[4:5], 0x28
	v_mad_u64_u32 v[11:12], null, v9, 9, 8
	v_mov_b32_e32 v7, 0
	v_mov_b32_e32 v8, 0
	;; [unrolled: 1-line block ×3, first 2 shown]
	s_mov_b32 s6, 0
.LBB114_8:                              ; =>This Inner Loop Header: Depth=1
	v_ashrrev_i32_e32 v10, 31, v9
	v_add_nc_u32_e32 v12, -8, v11
	v_lshlrev_b64 v[15:16], 2, v[9:10]
	v_lshlrev_b64 v[17:18], 3, v[12:13]
	v_add_nc_u32_e32 v12, -7, v11
	v_add_nc_u32_e32 v9, 32, v9
	s_waitcnt lgkmcnt(0)
	v_add_co_u32 v15, vcc_lo, s8, v15
	v_add_co_ci_u32_e64 v16, null, s9, v16, vcc_lo
	v_lshlrev_b64 v[19:20], 3, v[12:13]
	v_add_co_u32 v17, vcc_lo, s10, v17
	global_load_dword v10, v[15:16], off
	v_mov_b32_e32 v16, v13
	v_add_co_ci_u32_e64 v18, null, s11, v18, vcc_lo
	v_add_co_u32 v19, vcc_lo, s10, v19
	v_add_co_ci_u32_e64 v20, null, s11, v20, vcc_lo
	s_waitcnt vmcnt(0)
	v_subrev_nc_u32_e32 v10, s12, v10
	v_lshl_add_u32 v15, v10, 3, v10
	v_lshlrev_b64 v[21:22], 3, v[15:16]
	v_add_nc_u32_e32 v12, 1, v15
	v_add_co_u32 v21, s0, s4, v21
	v_add_co_ci_u32_e64 v22, null, s5, v22, s0
	s_clause 0x1
	global_load_dwordx2 v[16:17], v[17:18], off
	global_load_dwordx2 v[18:19], v[19:20], off
	;; [unrolled: 1-line block ×3, first 2 shown]
	v_lshlrev_b64 v[22:23], 3, v[12:13]
	v_add_nc_u32_e32 v12, -6, v11
	v_lshlrev_b64 v[24:25], 3, v[12:13]
	v_add_co_u32 v22, vcc_lo, s4, v22
	v_add_co_ci_u32_e64 v23, null, s5, v23, vcc_lo
	v_add_nc_u32_e32 v12, 2, v15
	v_add_co_u32 v24, vcc_lo, s10, v24
	global_load_dwordx2 v[22:23], v[22:23], off
	v_add_co_ci_u32_e64 v25, null, s11, v25, vcc_lo
	v_lshlrev_b64 v[26:27], 3, v[12:13]
	v_add_nc_u32_e32 v12, -5, v11
	v_add_co_u32 v26, vcc_lo, s4, v26
	v_add_co_ci_u32_e64 v27, null, s5, v27, vcc_lo
	global_load_dwordx2 v[24:25], v[24:25], off
	global_load_dwordx2 v[26:27], v[26:27], off
	v_lshlrev_b64 v[28:29], 3, v[12:13]
	v_add_nc_u32_e32 v12, 3, v15
	v_lshlrev_b64 v[30:31], 3, v[12:13]
	v_add_co_u32 v28, vcc_lo, s10, v28
	v_add_co_ci_u32_e64 v29, null, s11, v29, vcc_lo
	v_add_nc_u32_e32 v12, -4, v11
	v_add_co_u32 v30, vcc_lo, s4, v30
	v_add_co_ci_u32_e64 v31, null, s5, v31, vcc_lo
	global_load_dwordx2 v[28:29], v[28:29], off
	global_load_dwordx2 v[30:31], v[30:31], off
	v_lshlrev_b64 v[32:33], 3, v[12:13]
	v_add_nc_u32_e32 v12, 4, v15
	v_lshlrev_b64 v[34:35], 3, v[12:13]
	v_add_co_u32 v32, vcc_lo, s10, v32
	v_add_co_ci_u32_e64 v33, null, s11, v33, vcc_lo
	;; [unrolled: 10-line block ×5, first 2 shown]
	v_mov_b32_e32 v12, v13
	v_add_co_u32 v46, vcc_lo, s4, v46
	v_add_co_ci_u32_e64 v47, null, s5, v47, vcc_lo
	global_load_dwordx2 v[44:45], v[44:45], off
	global_load_dwordx2 v[46:47], v[46:47], off
	v_lshlrev_b64 v[48:49], 3, v[11:12]
	v_add_nc_u32_e32 v12, 8, v15
	v_add_nc_u32_e32 v11, 0x120, v11
	v_lshlrev_b64 v[50:51], 3, v[12:13]
	v_add_co_u32 v48, vcc_lo, s10, v48
	v_add_co_ci_u32_e64 v49, null, s11, v49, vcc_lo
	v_add_co_u32 v50, vcc_lo, s4, v50
	v_add_co_ci_u32_e64 v51, null, s5, v51, vcc_lo
	global_load_dwordx2 v[48:49], v[48:49], off
	global_load_dwordx2 v[50:51], v[50:51], off
	v_cmp_ge_i32_e32 vcc_lo, v9, v14
	s_or_b32 s6, vcc_lo, s6
	s_waitcnt vmcnt(15)
	v_fma_f64 v[7:8], v[16:17], v[20:21], v[7:8]
	s_waitcnt vmcnt(14)
	v_fma_f64 v[7:8], v[18:19], v[22:23], v[7:8]
	;; [unrolled: 2-line block ×9, first 2 shown]
	s_andn2_b32 exec_lo, exec_lo, s6
	s_cbranch_execnz .LBB114_8
; %bb.9:
	s_or_b32 exec_lo, exec_lo, s6
.LBB114_10:
	s_or_b32 exec_lo, exec_lo, s1
	v_mbcnt_lo_u32_b32 v11, -1, 0
	v_xor_b32_e32 v9, 16, v11
	v_cmp_gt_i32_e32 vcc_lo, 32, v9
	v_cndmask_b32_e32 v9, v11, v9, vcc_lo
	v_lshlrev_b32_e32 v10, 2, v9
	ds_bpermute_b32 v9, v10, v7
	ds_bpermute_b32 v10, v10, v8
	s_waitcnt lgkmcnt(0)
	v_add_f64 v[7:8], v[7:8], v[9:10]
	v_xor_b32_e32 v9, 8, v11
	v_cmp_gt_i32_e32 vcc_lo, 32, v9
	v_cndmask_b32_e32 v9, v11, v9, vcc_lo
	v_lshlrev_b32_e32 v10, 2, v9
	ds_bpermute_b32 v9, v10, v7
	ds_bpermute_b32 v10, v10, v8
	s_waitcnt lgkmcnt(0)
	v_add_f64 v[7:8], v[7:8], v[9:10]
	;; [unrolled: 8-line block ×4, first 2 shown]
	v_xor_b32_e32 v9, 1, v11
	v_cmp_gt_i32_e32 vcc_lo, 32, v9
	v_cndmask_b32_e32 v9, v11, v9, vcc_lo
	v_cmp_eq_u32_e32 vcc_lo, 31, v0
	v_lshlrev_b32_e32 v10, 2, v9
	ds_bpermute_b32 v9, v10, v7
	ds_bpermute_b32 v10, v10, v8
	s_and_b32 exec_lo, exec_lo, vcc_lo
	s_cbranch_execz .LBB114_15
; %bb.11:
	s_waitcnt lgkmcnt(0)
	v_add_f64 v[7:8], v[7:8], v[9:10]
	v_lshlrev_b64 v[5:6], 3, v[5:6]
	s_mov_b32 s0, exec_lo
	v_mul_f64 v[3:4], v[3:4], v[7:8]
	v_cmpx_eq_f64_e32 0, v[1:2]
	s_xor_b32 s0, exec_lo, s0
	s_cbranch_execz .LBB114_13
; %bb.12:
	v_add_co_u32 v0, vcc_lo, s2, v5
	v_add_co_ci_u32_e64 v1, null, s3, v6, vcc_lo
                                        ; implicit-def: $vgpr5_vgpr6
	global_store_dwordx2 v[0:1], v[3:4], off
                                        ; implicit-def: $vgpr1_vgpr2
                                        ; implicit-def: $vgpr3_vgpr4
.LBB114_13:
	s_andn2_saveexec_b32 s0, s0
	s_cbranch_execz .LBB114_15
; %bb.14:
	v_add_co_u32 v5, vcc_lo, s2, v5
	v_add_co_ci_u32_e64 v6, null, s3, v6, vcc_lo
	global_load_dwordx2 v[7:8], v[5:6], off
	s_waitcnt vmcnt(0)
	v_fma_f64 v[0:1], v[1:2], v[7:8], v[3:4]
	global_store_dwordx2 v[5:6], v[0:1], off
.LBB114_15:
	s_endpgm
	.section	.rodata,"a",@progbits
	.p2align	6, 0x0
	.amdhsa_kernel _ZN9rocsparseL19gebsrmvn_1xn_kernelILj128ELj9ELj32EdEEvi20rocsparse_direction_NS_24const_host_device_scalarIT2_EEPKiS6_PKS3_S8_S4_PS3_21rocsparse_index_base_b
		.amdhsa_group_segment_fixed_size 0
		.amdhsa_private_segment_fixed_size 0
		.amdhsa_kernarg_size 72
		.amdhsa_user_sgpr_count 6
		.amdhsa_user_sgpr_private_segment_buffer 1
		.amdhsa_user_sgpr_dispatch_ptr 0
		.amdhsa_user_sgpr_queue_ptr 0
		.amdhsa_user_sgpr_kernarg_segment_ptr 1
		.amdhsa_user_sgpr_dispatch_id 0
		.amdhsa_user_sgpr_flat_scratch_init 0
		.amdhsa_user_sgpr_private_segment_size 0
		.amdhsa_wavefront_size32 1
		.amdhsa_uses_dynamic_stack 0
		.amdhsa_system_sgpr_private_segment_wavefront_offset 0
		.amdhsa_system_sgpr_workgroup_id_x 1
		.amdhsa_system_sgpr_workgroup_id_y 0
		.amdhsa_system_sgpr_workgroup_id_z 0
		.amdhsa_system_sgpr_workgroup_info 0
		.amdhsa_system_vgpr_workitem_id 0
		.amdhsa_next_free_vgpr 52
		.amdhsa_next_free_sgpr 14
		.amdhsa_reserve_vcc 1
		.amdhsa_reserve_flat_scratch 0
		.amdhsa_float_round_mode_32 0
		.amdhsa_float_round_mode_16_64 0
		.amdhsa_float_denorm_mode_32 3
		.amdhsa_float_denorm_mode_16_64 3
		.amdhsa_dx10_clamp 1
		.amdhsa_ieee_mode 1
		.amdhsa_fp16_overflow 0
		.amdhsa_workgroup_processor_mode 1
		.amdhsa_memory_ordered 1
		.amdhsa_forward_progress 1
		.amdhsa_shared_vgpr_count 0
		.amdhsa_exception_fp_ieee_invalid_op 0
		.amdhsa_exception_fp_denorm_src 0
		.amdhsa_exception_fp_ieee_div_zero 0
		.amdhsa_exception_fp_ieee_overflow 0
		.amdhsa_exception_fp_ieee_underflow 0
		.amdhsa_exception_fp_ieee_inexact 0
		.amdhsa_exception_int_div_zero 0
	.end_amdhsa_kernel
	.section	.text._ZN9rocsparseL19gebsrmvn_1xn_kernelILj128ELj9ELj32EdEEvi20rocsparse_direction_NS_24const_host_device_scalarIT2_EEPKiS6_PKS3_S8_S4_PS3_21rocsparse_index_base_b,"axG",@progbits,_ZN9rocsparseL19gebsrmvn_1xn_kernelILj128ELj9ELj32EdEEvi20rocsparse_direction_NS_24const_host_device_scalarIT2_EEPKiS6_PKS3_S8_S4_PS3_21rocsparse_index_base_b,comdat
.Lfunc_end114:
	.size	_ZN9rocsparseL19gebsrmvn_1xn_kernelILj128ELj9ELj32EdEEvi20rocsparse_direction_NS_24const_host_device_scalarIT2_EEPKiS6_PKS3_S8_S4_PS3_21rocsparse_index_base_b, .Lfunc_end114-_ZN9rocsparseL19gebsrmvn_1xn_kernelILj128ELj9ELj32EdEEvi20rocsparse_direction_NS_24const_host_device_scalarIT2_EEPKiS6_PKS3_S8_S4_PS3_21rocsparse_index_base_b
                                        ; -- End function
	.set _ZN9rocsparseL19gebsrmvn_1xn_kernelILj128ELj9ELj32EdEEvi20rocsparse_direction_NS_24const_host_device_scalarIT2_EEPKiS6_PKS3_S8_S4_PS3_21rocsparse_index_base_b.num_vgpr, 52
	.set _ZN9rocsparseL19gebsrmvn_1xn_kernelILj128ELj9ELj32EdEEvi20rocsparse_direction_NS_24const_host_device_scalarIT2_EEPKiS6_PKS3_S8_S4_PS3_21rocsparse_index_base_b.num_agpr, 0
	.set _ZN9rocsparseL19gebsrmvn_1xn_kernelILj128ELj9ELj32EdEEvi20rocsparse_direction_NS_24const_host_device_scalarIT2_EEPKiS6_PKS3_S8_S4_PS3_21rocsparse_index_base_b.numbered_sgpr, 14
	.set _ZN9rocsparseL19gebsrmvn_1xn_kernelILj128ELj9ELj32EdEEvi20rocsparse_direction_NS_24const_host_device_scalarIT2_EEPKiS6_PKS3_S8_S4_PS3_21rocsparse_index_base_b.num_named_barrier, 0
	.set _ZN9rocsparseL19gebsrmvn_1xn_kernelILj128ELj9ELj32EdEEvi20rocsparse_direction_NS_24const_host_device_scalarIT2_EEPKiS6_PKS3_S8_S4_PS3_21rocsparse_index_base_b.private_seg_size, 0
	.set _ZN9rocsparseL19gebsrmvn_1xn_kernelILj128ELj9ELj32EdEEvi20rocsparse_direction_NS_24const_host_device_scalarIT2_EEPKiS6_PKS3_S8_S4_PS3_21rocsparse_index_base_b.uses_vcc, 1
	.set _ZN9rocsparseL19gebsrmvn_1xn_kernelILj128ELj9ELj32EdEEvi20rocsparse_direction_NS_24const_host_device_scalarIT2_EEPKiS6_PKS3_S8_S4_PS3_21rocsparse_index_base_b.uses_flat_scratch, 0
	.set _ZN9rocsparseL19gebsrmvn_1xn_kernelILj128ELj9ELj32EdEEvi20rocsparse_direction_NS_24const_host_device_scalarIT2_EEPKiS6_PKS3_S8_S4_PS3_21rocsparse_index_base_b.has_dyn_sized_stack, 0
	.set _ZN9rocsparseL19gebsrmvn_1xn_kernelILj128ELj9ELj32EdEEvi20rocsparse_direction_NS_24const_host_device_scalarIT2_EEPKiS6_PKS3_S8_S4_PS3_21rocsparse_index_base_b.has_recursion, 0
	.set _ZN9rocsparseL19gebsrmvn_1xn_kernelILj128ELj9ELj32EdEEvi20rocsparse_direction_NS_24const_host_device_scalarIT2_EEPKiS6_PKS3_S8_S4_PS3_21rocsparse_index_base_b.has_indirect_call, 0
	.section	.AMDGPU.csdata,"",@progbits
; Kernel info:
; codeLenInByte = 1524
; TotalNumSgprs: 16
; NumVgprs: 52
; ScratchSize: 0
; MemoryBound: 0
; FloatMode: 240
; IeeeMode: 1
; LDSByteSize: 0 bytes/workgroup (compile time only)
; SGPRBlocks: 0
; VGPRBlocks: 6
; NumSGPRsForWavesPerEU: 16
; NumVGPRsForWavesPerEU: 52
; Occupancy: 16
; WaveLimiterHint : 1
; COMPUTE_PGM_RSRC2:SCRATCH_EN: 0
; COMPUTE_PGM_RSRC2:USER_SGPR: 6
; COMPUTE_PGM_RSRC2:TRAP_HANDLER: 0
; COMPUTE_PGM_RSRC2:TGID_X_EN: 1
; COMPUTE_PGM_RSRC2:TGID_Y_EN: 0
; COMPUTE_PGM_RSRC2:TGID_Z_EN: 0
; COMPUTE_PGM_RSRC2:TIDIG_COMP_CNT: 0
	.section	.text._ZN9rocsparseL19gebsrmvn_1xn_kernelILj128ELj9ELj64EdEEvi20rocsparse_direction_NS_24const_host_device_scalarIT2_EEPKiS6_PKS3_S8_S4_PS3_21rocsparse_index_base_b,"axG",@progbits,_ZN9rocsparseL19gebsrmvn_1xn_kernelILj128ELj9ELj64EdEEvi20rocsparse_direction_NS_24const_host_device_scalarIT2_EEPKiS6_PKS3_S8_S4_PS3_21rocsparse_index_base_b,comdat
	.globl	_ZN9rocsparseL19gebsrmvn_1xn_kernelILj128ELj9ELj64EdEEvi20rocsparse_direction_NS_24const_host_device_scalarIT2_EEPKiS6_PKS3_S8_S4_PS3_21rocsparse_index_base_b ; -- Begin function _ZN9rocsparseL19gebsrmvn_1xn_kernelILj128ELj9ELj64EdEEvi20rocsparse_direction_NS_24const_host_device_scalarIT2_EEPKiS6_PKS3_S8_S4_PS3_21rocsparse_index_base_b
	.p2align	8
	.type	_ZN9rocsparseL19gebsrmvn_1xn_kernelILj128ELj9ELj64EdEEvi20rocsparse_direction_NS_24const_host_device_scalarIT2_EEPKiS6_PKS3_S8_S4_PS3_21rocsparse_index_base_b,@function
_ZN9rocsparseL19gebsrmvn_1xn_kernelILj128ELj9ELj64EdEEvi20rocsparse_direction_NS_24const_host_device_scalarIT2_EEPKiS6_PKS3_S8_S4_PS3_21rocsparse_index_base_b: ; @_ZN9rocsparseL19gebsrmvn_1xn_kernelILj128ELj9ELj64EdEEvi20rocsparse_direction_NS_24const_host_device_scalarIT2_EEPKiS6_PKS3_S8_S4_PS3_21rocsparse_index_base_b
; %bb.0:
	s_clause 0x2
	s_load_dwordx2 s[12:13], s[4:5], 0x40
	s_load_dwordx2 s[2:3], s[4:5], 0x8
	;; [unrolled: 1-line block ×3, first 2 shown]
	s_waitcnt lgkmcnt(0)
	s_bitcmp1_b32 s13, 0
	v_mov_b32_e32 v4, s3
	v_mov_b32_e32 v3, s2
	s_cselect_b32 s7, -1, 0
	s_and_b32 vcc_lo, exec_lo, s7
	s_xor_b32 s7, s7, -1
	s_cbranch_vccnz .LBB115_2
; %bb.1:
	v_mov_b32_e32 v1, s2
	v_mov_b32_e32 v2, s3
	flat_load_dwordx2 v[3:4], v[1:2]
.LBB115_2:
	v_mov_b32_e32 v2, s1
	v_mov_b32_e32 v1, s0
	s_andn2_b32 vcc_lo, exec_lo, s7
	s_cbranch_vccnz .LBB115_4
; %bb.3:
	v_mov_b32_e32 v2, s1
	v_mov_b32_e32 v1, s0
	flat_load_dwordx2 v[1:2], v[1:2]
.LBB115_4:
	s_waitcnt vmcnt(0) lgkmcnt(0)
	v_cmp_neq_f64_e32 vcc_lo, 0, v[3:4]
	v_cmp_neq_f64_e64 s0, 1.0, v[1:2]
	s_or_b32 s0, vcc_lo, s0
	s_and_saveexec_b32 s1, s0
	s_cbranch_execz .LBB115_15
; %bb.5:
	s_load_dword s0, s[4:5], 0x0
	v_lshrrev_b32_e32 v5, 6, v0
	v_lshl_or_b32 v5, s6, 1, v5
	s_waitcnt lgkmcnt(0)
	v_cmp_gt_i32_e32 vcc_lo, s0, v5
	s_and_b32 exec_lo, exec_lo, vcc_lo
	s_cbranch_execz .LBB115_15
; %bb.6:
	s_clause 0x1
	s_load_dwordx2 s[0:1], s[4:5], 0x10
	s_load_dwordx2 s[2:3], s[4:5], 0x38
	v_ashrrev_i32_e32 v6, 31, v5
	v_and_b32_e32 v0, 63, v0
	v_lshlrev_b64 v[7:8], 2, v[5:6]
	v_subrev_nc_u32_e32 v9, s12, v0
	s_waitcnt lgkmcnt(0)
	v_add_co_u32 v7, vcc_lo, s0, v7
	v_add_co_ci_u32_e64 v8, null, s1, v8, vcc_lo
	s_mov_b32 s1, exec_lo
	global_load_dwordx2 v[7:8], v[7:8], off
	s_waitcnt vmcnt(0)
	v_subrev_nc_u32_e32 v14, s12, v8
	v_add_nc_u32_e32 v9, v7, v9
	v_mov_b32_e32 v7, 0
	v_mov_b32_e32 v8, 0
	v_cmpx_lt_i32_e64 v9, v14
	s_cbranch_execz .LBB115_10
; %bb.7:
	s_clause 0x1
	s_load_dwordx4 s[8:11], s[4:5], 0x18
	s_load_dwordx2 s[4:5], s[4:5], 0x28
	v_mad_u64_u32 v[11:12], null, v9, 9, 8
	v_mov_b32_e32 v7, 0
	v_mov_b32_e32 v8, 0
	;; [unrolled: 1-line block ×3, first 2 shown]
	s_mov_b32 s6, 0
.LBB115_8:                              ; =>This Inner Loop Header: Depth=1
	v_ashrrev_i32_e32 v10, 31, v9
	v_add_nc_u32_e32 v12, -8, v11
	v_lshlrev_b64 v[15:16], 2, v[9:10]
	v_lshlrev_b64 v[17:18], 3, v[12:13]
	v_add_nc_u32_e32 v12, -7, v11
	v_add_nc_u32_e32 v9, 64, v9
	s_waitcnt lgkmcnt(0)
	v_add_co_u32 v15, vcc_lo, s8, v15
	v_add_co_ci_u32_e64 v16, null, s9, v16, vcc_lo
	v_lshlrev_b64 v[19:20], 3, v[12:13]
	v_add_co_u32 v17, vcc_lo, s10, v17
	global_load_dword v10, v[15:16], off
	v_mov_b32_e32 v16, v13
	v_add_co_ci_u32_e64 v18, null, s11, v18, vcc_lo
	v_add_co_u32 v19, vcc_lo, s10, v19
	v_add_co_ci_u32_e64 v20, null, s11, v20, vcc_lo
	s_waitcnt vmcnt(0)
	v_subrev_nc_u32_e32 v10, s12, v10
	v_lshl_add_u32 v15, v10, 3, v10
	v_lshlrev_b64 v[21:22], 3, v[15:16]
	v_add_nc_u32_e32 v12, 1, v15
	v_add_co_u32 v21, s0, s4, v21
	v_add_co_ci_u32_e64 v22, null, s5, v22, s0
	s_clause 0x1
	global_load_dwordx2 v[16:17], v[17:18], off
	global_load_dwordx2 v[18:19], v[19:20], off
	;; [unrolled: 1-line block ×3, first 2 shown]
	v_lshlrev_b64 v[22:23], 3, v[12:13]
	v_add_nc_u32_e32 v12, -6, v11
	v_lshlrev_b64 v[24:25], 3, v[12:13]
	v_add_co_u32 v22, vcc_lo, s4, v22
	v_add_co_ci_u32_e64 v23, null, s5, v23, vcc_lo
	v_add_nc_u32_e32 v12, 2, v15
	v_add_co_u32 v24, vcc_lo, s10, v24
	global_load_dwordx2 v[22:23], v[22:23], off
	v_add_co_ci_u32_e64 v25, null, s11, v25, vcc_lo
	v_lshlrev_b64 v[26:27], 3, v[12:13]
	v_add_nc_u32_e32 v12, -5, v11
	v_add_co_u32 v26, vcc_lo, s4, v26
	v_add_co_ci_u32_e64 v27, null, s5, v27, vcc_lo
	global_load_dwordx2 v[24:25], v[24:25], off
	global_load_dwordx2 v[26:27], v[26:27], off
	v_lshlrev_b64 v[28:29], 3, v[12:13]
	v_add_nc_u32_e32 v12, 3, v15
	v_lshlrev_b64 v[30:31], 3, v[12:13]
	v_add_co_u32 v28, vcc_lo, s10, v28
	v_add_co_ci_u32_e64 v29, null, s11, v29, vcc_lo
	v_add_nc_u32_e32 v12, -4, v11
	v_add_co_u32 v30, vcc_lo, s4, v30
	v_add_co_ci_u32_e64 v31, null, s5, v31, vcc_lo
	global_load_dwordx2 v[28:29], v[28:29], off
	global_load_dwordx2 v[30:31], v[30:31], off
	v_lshlrev_b64 v[32:33], 3, v[12:13]
	v_add_nc_u32_e32 v12, 4, v15
	v_lshlrev_b64 v[34:35], 3, v[12:13]
	v_add_co_u32 v32, vcc_lo, s10, v32
	v_add_co_ci_u32_e64 v33, null, s11, v33, vcc_lo
	v_add_nc_u32_e32 v12, -3, v11
	v_add_co_u32 v34, vcc_lo, s4, v34
	v_add_co_ci_u32_e64 v35, null, s5, v35, vcc_lo
	global_load_dwordx2 v[32:33], v[32:33], off
	global_load_dwordx2 v[34:35], v[34:35], off
	v_lshlrev_b64 v[36:37], 3, v[12:13]
	v_add_nc_u32_e32 v12, 5, v15
	v_lshlrev_b64 v[38:39], 3, v[12:13]
	v_add_co_u32 v36, vcc_lo, s10, v36
	v_add_co_ci_u32_e64 v37, null, s11, v37, vcc_lo
	v_add_nc_u32_e32 v12, -2, v11
	v_add_co_u32 v38, vcc_lo, s4, v38
	v_add_co_ci_u32_e64 v39, null, s5, v39, vcc_lo
	global_load_dwordx2 v[36:37], v[36:37], off
	global_load_dwordx2 v[38:39], v[38:39], off
	v_lshlrev_b64 v[40:41], 3, v[12:13]
	v_add_nc_u32_e32 v12, 6, v15
	v_lshlrev_b64 v[42:43], 3, v[12:13]
	v_add_co_u32 v40, vcc_lo, s10, v40
	v_add_co_ci_u32_e64 v41, null, s11, v41, vcc_lo
	v_add_nc_u32_e32 v12, -1, v11
	v_add_co_u32 v42, vcc_lo, s4, v42
	v_add_co_ci_u32_e64 v43, null, s5, v43, vcc_lo
	global_load_dwordx2 v[40:41], v[40:41], off
	global_load_dwordx2 v[42:43], v[42:43], off
	v_lshlrev_b64 v[44:45], 3, v[12:13]
	v_add_nc_u32_e32 v12, 7, v15
	v_lshlrev_b64 v[46:47], 3, v[12:13]
	v_add_co_u32 v44, vcc_lo, s10, v44
	v_add_co_ci_u32_e64 v45, null, s11, v45, vcc_lo
	v_mov_b32_e32 v12, v13
	v_add_co_u32 v46, vcc_lo, s4, v46
	v_add_co_ci_u32_e64 v47, null, s5, v47, vcc_lo
	global_load_dwordx2 v[44:45], v[44:45], off
	global_load_dwordx2 v[46:47], v[46:47], off
	v_lshlrev_b64 v[48:49], 3, v[11:12]
	v_add_nc_u32_e32 v12, 8, v15
	v_add_nc_u32_e32 v11, 0x240, v11
	v_lshlrev_b64 v[50:51], 3, v[12:13]
	v_add_co_u32 v48, vcc_lo, s10, v48
	v_add_co_ci_u32_e64 v49, null, s11, v49, vcc_lo
	v_add_co_u32 v50, vcc_lo, s4, v50
	v_add_co_ci_u32_e64 v51, null, s5, v51, vcc_lo
	global_load_dwordx2 v[48:49], v[48:49], off
	global_load_dwordx2 v[50:51], v[50:51], off
	v_cmp_ge_i32_e32 vcc_lo, v9, v14
	s_or_b32 s6, vcc_lo, s6
	s_waitcnt vmcnt(15)
	v_fma_f64 v[7:8], v[16:17], v[20:21], v[7:8]
	s_waitcnt vmcnt(14)
	v_fma_f64 v[7:8], v[18:19], v[22:23], v[7:8]
	;; [unrolled: 2-line block ×9, first 2 shown]
	s_andn2_b32 exec_lo, exec_lo, s6
	s_cbranch_execnz .LBB115_8
; %bb.9:
	s_or_b32 exec_lo, exec_lo, s6
.LBB115_10:
	s_or_b32 exec_lo, exec_lo, s1
	v_mbcnt_lo_u32_b32 v11, -1, 0
	v_or_b32_e32 v9, 32, v11
	v_cmp_gt_i32_e32 vcc_lo, 32, v9
	v_cndmask_b32_e32 v9, v11, v9, vcc_lo
	v_lshlrev_b32_e32 v10, 2, v9
	ds_bpermute_b32 v9, v10, v7
	ds_bpermute_b32 v10, v10, v8
	s_waitcnt lgkmcnt(0)
	v_add_f64 v[7:8], v[7:8], v[9:10]
	v_xor_b32_e32 v9, 16, v11
	v_cmp_gt_i32_e32 vcc_lo, 32, v9
	v_cndmask_b32_e32 v9, v11, v9, vcc_lo
	v_lshlrev_b32_e32 v10, 2, v9
	ds_bpermute_b32 v9, v10, v7
	ds_bpermute_b32 v10, v10, v8
	s_waitcnt lgkmcnt(0)
	v_add_f64 v[7:8], v[7:8], v[9:10]
	v_xor_b32_e32 v9, 8, v11
	;; [unrolled: 8-line block ×5, first 2 shown]
	v_cmp_gt_i32_e32 vcc_lo, 32, v9
	v_cndmask_b32_e32 v9, v11, v9, vcc_lo
	v_cmp_eq_u32_e32 vcc_lo, 63, v0
	v_lshlrev_b32_e32 v10, 2, v9
	ds_bpermute_b32 v9, v10, v7
	ds_bpermute_b32 v10, v10, v8
	s_and_b32 exec_lo, exec_lo, vcc_lo
	s_cbranch_execz .LBB115_15
; %bb.11:
	s_waitcnt lgkmcnt(0)
	v_add_f64 v[7:8], v[7:8], v[9:10]
	v_lshlrev_b64 v[5:6], 3, v[5:6]
	s_mov_b32 s0, exec_lo
	v_mul_f64 v[3:4], v[3:4], v[7:8]
	v_cmpx_eq_f64_e32 0, v[1:2]
	s_xor_b32 s0, exec_lo, s0
	s_cbranch_execz .LBB115_13
; %bb.12:
	v_add_co_u32 v0, vcc_lo, s2, v5
	v_add_co_ci_u32_e64 v1, null, s3, v6, vcc_lo
                                        ; implicit-def: $vgpr5_vgpr6
	global_store_dwordx2 v[0:1], v[3:4], off
                                        ; implicit-def: $vgpr1_vgpr2
                                        ; implicit-def: $vgpr3_vgpr4
.LBB115_13:
	s_andn2_saveexec_b32 s0, s0
	s_cbranch_execz .LBB115_15
; %bb.14:
	v_add_co_u32 v5, vcc_lo, s2, v5
	v_add_co_ci_u32_e64 v6, null, s3, v6, vcc_lo
	global_load_dwordx2 v[7:8], v[5:6], off
	s_waitcnt vmcnt(0)
	v_fma_f64 v[0:1], v[1:2], v[7:8], v[3:4]
	global_store_dwordx2 v[5:6], v[0:1], off
.LBB115_15:
	s_endpgm
	.section	.rodata,"a",@progbits
	.p2align	6, 0x0
	.amdhsa_kernel _ZN9rocsparseL19gebsrmvn_1xn_kernelILj128ELj9ELj64EdEEvi20rocsparse_direction_NS_24const_host_device_scalarIT2_EEPKiS6_PKS3_S8_S4_PS3_21rocsparse_index_base_b
		.amdhsa_group_segment_fixed_size 0
		.amdhsa_private_segment_fixed_size 0
		.amdhsa_kernarg_size 72
		.amdhsa_user_sgpr_count 6
		.amdhsa_user_sgpr_private_segment_buffer 1
		.amdhsa_user_sgpr_dispatch_ptr 0
		.amdhsa_user_sgpr_queue_ptr 0
		.amdhsa_user_sgpr_kernarg_segment_ptr 1
		.amdhsa_user_sgpr_dispatch_id 0
		.amdhsa_user_sgpr_flat_scratch_init 0
		.amdhsa_user_sgpr_private_segment_size 0
		.amdhsa_wavefront_size32 1
		.amdhsa_uses_dynamic_stack 0
		.amdhsa_system_sgpr_private_segment_wavefront_offset 0
		.amdhsa_system_sgpr_workgroup_id_x 1
		.amdhsa_system_sgpr_workgroup_id_y 0
		.amdhsa_system_sgpr_workgroup_id_z 0
		.amdhsa_system_sgpr_workgroup_info 0
		.amdhsa_system_vgpr_workitem_id 0
		.amdhsa_next_free_vgpr 52
		.amdhsa_next_free_sgpr 14
		.amdhsa_reserve_vcc 1
		.amdhsa_reserve_flat_scratch 0
		.amdhsa_float_round_mode_32 0
		.amdhsa_float_round_mode_16_64 0
		.amdhsa_float_denorm_mode_32 3
		.amdhsa_float_denorm_mode_16_64 3
		.amdhsa_dx10_clamp 1
		.amdhsa_ieee_mode 1
		.amdhsa_fp16_overflow 0
		.amdhsa_workgroup_processor_mode 1
		.amdhsa_memory_ordered 1
		.amdhsa_forward_progress 1
		.amdhsa_shared_vgpr_count 0
		.amdhsa_exception_fp_ieee_invalid_op 0
		.amdhsa_exception_fp_denorm_src 0
		.amdhsa_exception_fp_ieee_div_zero 0
		.amdhsa_exception_fp_ieee_overflow 0
		.amdhsa_exception_fp_ieee_underflow 0
		.amdhsa_exception_fp_ieee_inexact 0
		.amdhsa_exception_int_div_zero 0
	.end_amdhsa_kernel
	.section	.text._ZN9rocsparseL19gebsrmvn_1xn_kernelILj128ELj9ELj64EdEEvi20rocsparse_direction_NS_24const_host_device_scalarIT2_EEPKiS6_PKS3_S8_S4_PS3_21rocsparse_index_base_b,"axG",@progbits,_ZN9rocsparseL19gebsrmvn_1xn_kernelILj128ELj9ELj64EdEEvi20rocsparse_direction_NS_24const_host_device_scalarIT2_EEPKiS6_PKS3_S8_S4_PS3_21rocsparse_index_base_b,comdat
.Lfunc_end115:
	.size	_ZN9rocsparseL19gebsrmvn_1xn_kernelILj128ELj9ELj64EdEEvi20rocsparse_direction_NS_24const_host_device_scalarIT2_EEPKiS6_PKS3_S8_S4_PS3_21rocsparse_index_base_b, .Lfunc_end115-_ZN9rocsparseL19gebsrmvn_1xn_kernelILj128ELj9ELj64EdEEvi20rocsparse_direction_NS_24const_host_device_scalarIT2_EEPKiS6_PKS3_S8_S4_PS3_21rocsparse_index_base_b
                                        ; -- End function
	.set _ZN9rocsparseL19gebsrmvn_1xn_kernelILj128ELj9ELj64EdEEvi20rocsparse_direction_NS_24const_host_device_scalarIT2_EEPKiS6_PKS3_S8_S4_PS3_21rocsparse_index_base_b.num_vgpr, 52
	.set _ZN9rocsparseL19gebsrmvn_1xn_kernelILj128ELj9ELj64EdEEvi20rocsparse_direction_NS_24const_host_device_scalarIT2_EEPKiS6_PKS3_S8_S4_PS3_21rocsparse_index_base_b.num_agpr, 0
	.set _ZN9rocsparseL19gebsrmvn_1xn_kernelILj128ELj9ELj64EdEEvi20rocsparse_direction_NS_24const_host_device_scalarIT2_EEPKiS6_PKS3_S8_S4_PS3_21rocsparse_index_base_b.numbered_sgpr, 14
	.set _ZN9rocsparseL19gebsrmvn_1xn_kernelILj128ELj9ELj64EdEEvi20rocsparse_direction_NS_24const_host_device_scalarIT2_EEPKiS6_PKS3_S8_S4_PS3_21rocsparse_index_base_b.num_named_barrier, 0
	.set _ZN9rocsparseL19gebsrmvn_1xn_kernelILj128ELj9ELj64EdEEvi20rocsparse_direction_NS_24const_host_device_scalarIT2_EEPKiS6_PKS3_S8_S4_PS3_21rocsparse_index_base_b.private_seg_size, 0
	.set _ZN9rocsparseL19gebsrmvn_1xn_kernelILj128ELj9ELj64EdEEvi20rocsparse_direction_NS_24const_host_device_scalarIT2_EEPKiS6_PKS3_S8_S4_PS3_21rocsparse_index_base_b.uses_vcc, 1
	.set _ZN9rocsparseL19gebsrmvn_1xn_kernelILj128ELj9ELj64EdEEvi20rocsparse_direction_NS_24const_host_device_scalarIT2_EEPKiS6_PKS3_S8_S4_PS3_21rocsparse_index_base_b.uses_flat_scratch, 0
	.set _ZN9rocsparseL19gebsrmvn_1xn_kernelILj128ELj9ELj64EdEEvi20rocsparse_direction_NS_24const_host_device_scalarIT2_EEPKiS6_PKS3_S8_S4_PS3_21rocsparse_index_base_b.has_dyn_sized_stack, 0
	.set _ZN9rocsparseL19gebsrmvn_1xn_kernelILj128ELj9ELj64EdEEvi20rocsparse_direction_NS_24const_host_device_scalarIT2_EEPKiS6_PKS3_S8_S4_PS3_21rocsparse_index_base_b.has_recursion, 0
	.set _ZN9rocsparseL19gebsrmvn_1xn_kernelILj128ELj9ELj64EdEEvi20rocsparse_direction_NS_24const_host_device_scalarIT2_EEPKiS6_PKS3_S8_S4_PS3_21rocsparse_index_base_b.has_indirect_call, 0
	.section	.AMDGPU.csdata,"",@progbits
; Kernel info:
; codeLenInByte = 1568
; TotalNumSgprs: 16
; NumVgprs: 52
; ScratchSize: 0
; MemoryBound: 0
; FloatMode: 240
; IeeeMode: 1
; LDSByteSize: 0 bytes/workgroup (compile time only)
; SGPRBlocks: 0
; VGPRBlocks: 6
; NumSGPRsForWavesPerEU: 16
; NumVGPRsForWavesPerEU: 52
; Occupancy: 16
; WaveLimiterHint : 1
; COMPUTE_PGM_RSRC2:SCRATCH_EN: 0
; COMPUTE_PGM_RSRC2:USER_SGPR: 6
; COMPUTE_PGM_RSRC2:TRAP_HANDLER: 0
; COMPUTE_PGM_RSRC2:TGID_X_EN: 1
; COMPUTE_PGM_RSRC2:TGID_Y_EN: 0
; COMPUTE_PGM_RSRC2:TGID_Z_EN: 0
; COMPUTE_PGM_RSRC2:TIDIG_COMP_CNT: 0
	.section	.text._ZN9rocsparseL19gebsrmvn_1xn_kernelILj128ELj10ELj4EdEEvi20rocsparse_direction_NS_24const_host_device_scalarIT2_EEPKiS6_PKS3_S8_S4_PS3_21rocsparse_index_base_b,"axG",@progbits,_ZN9rocsparseL19gebsrmvn_1xn_kernelILj128ELj10ELj4EdEEvi20rocsparse_direction_NS_24const_host_device_scalarIT2_EEPKiS6_PKS3_S8_S4_PS3_21rocsparse_index_base_b,comdat
	.globl	_ZN9rocsparseL19gebsrmvn_1xn_kernelILj128ELj10ELj4EdEEvi20rocsparse_direction_NS_24const_host_device_scalarIT2_EEPKiS6_PKS3_S8_S4_PS3_21rocsparse_index_base_b ; -- Begin function _ZN9rocsparseL19gebsrmvn_1xn_kernelILj128ELj10ELj4EdEEvi20rocsparse_direction_NS_24const_host_device_scalarIT2_EEPKiS6_PKS3_S8_S4_PS3_21rocsparse_index_base_b
	.p2align	8
	.type	_ZN9rocsparseL19gebsrmvn_1xn_kernelILj128ELj10ELj4EdEEvi20rocsparse_direction_NS_24const_host_device_scalarIT2_EEPKiS6_PKS3_S8_S4_PS3_21rocsparse_index_base_b,@function
_ZN9rocsparseL19gebsrmvn_1xn_kernelILj128ELj10ELj4EdEEvi20rocsparse_direction_NS_24const_host_device_scalarIT2_EEPKiS6_PKS3_S8_S4_PS3_21rocsparse_index_base_b: ; @_ZN9rocsparseL19gebsrmvn_1xn_kernelILj128ELj10ELj4EdEEvi20rocsparse_direction_NS_24const_host_device_scalarIT2_EEPKiS6_PKS3_S8_S4_PS3_21rocsparse_index_base_b
; %bb.0:
	s_clause 0x2
	s_load_dwordx2 s[8:9], s[4:5], 0x40
	s_load_dwordx2 s[2:3], s[4:5], 0x8
	;; [unrolled: 1-line block ×3, first 2 shown]
	s_waitcnt lgkmcnt(0)
	s_bitcmp1_b32 s9, 0
	v_mov_b32_e32 v4, s3
	v_mov_b32_e32 v3, s2
	s_cselect_b32 s7, -1, 0
	s_and_b32 vcc_lo, exec_lo, s7
	s_xor_b32 s7, s7, -1
	s_cbranch_vccnz .LBB116_2
; %bb.1:
	v_mov_b32_e32 v1, s2
	v_mov_b32_e32 v2, s3
	flat_load_dwordx2 v[3:4], v[1:2]
.LBB116_2:
	v_mov_b32_e32 v2, s1
	v_mov_b32_e32 v1, s0
	s_andn2_b32 vcc_lo, exec_lo, s7
	s_cbranch_vccnz .LBB116_4
; %bb.3:
	v_mov_b32_e32 v2, s1
	v_mov_b32_e32 v1, s0
	flat_load_dwordx2 v[1:2], v[1:2]
.LBB116_4:
	s_waitcnt vmcnt(0) lgkmcnt(0)
	v_cmp_neq_f64_e32 vcc_lo, 0, v[3:4]
	v_cmp_neq_f64_e64 s0, 1.0, v[1:2]
	s_or_b32 s0, vcc_lo, s0
	s_and_saveexec_b32 s1, s0
	s_cbranch_execz .LBB116_15
; %bb.5:
	s_load_dword s0, s[4:5], 0x0
	v_lshrrev_b32_e32 v5, 2, v0
	v_lshl_or_b32 v5, s6, 5, v5
	s_waitcnt lgkmcnt(0)
	v_cmp_gt_i32_e32 vcc_lo, s0, v5
	s_and_b32 exec_lo, exec_lo, vcc_lo
	s_cbranch_execz .LBB116_15
; %bb.6:
	s_clause 0x1
	s_load_dwordx2 s[0:1], s[4:5], 0x10
	s_load_dwordx2 s[6:7], s[4:5], 0x38
	v_ashrrev_i32_e32 v6, 31, v5
	v_and_b32_e32 v0, 3, v0
	s_mov_b32 s9, exec_lo
	v_lshlrev_b64 v[7:8], 2, v[5:6]
	v_subrev_nc_u32_e32 v9, s8, v0
	s_waitcnt lgkmcnt(0)
	v_add_co_u32 v7, vcc_lo, s0, v7
	v_add_co_ci_u32_e64 v8, null, s1, v8, vcc_lo
	global_load_dwordx2 v[7:8], v[7:8], off
	s_waitcnt vmcnt(0)
	v_add_nc_u32_e32 v7, v7, v9
	v_mov_b32_e32 v9, 0
	v_subrev_nc_u32_e32 v14, s8, v8
	v_mov_b32_e32 v10, 0
	v_cmpx_lt_i32_e64 v7, v14
	s_cbranch_execz .LBB116_10
; %bb.7:
	s_clause 0x1
	s_load_dwordx4 s[0:3], s[4:5], 0x18
	s_load_dwordx2 s[4:5], s[4:5], 0x28
	v_mad_u64_u32 v[11:12], null, v7, 10, 9
	v_mov_b32_e32 v9, 0
	v_mov_b32_e32 v10, 0
	;; [unrolled: 1-line block ×3, first 2 shown]
	s_mov_b32 s10, 0
.LBB116_8:                              ; =>This Inner Loop Header: Depth=1
	v_ashrrev_i32_e32 v8, 31, v7
	v_add_nc_u32_e32 v12, -9, v11
	v_mov_b32_e32 v36, v13
	v_lshlrev_b64 v[15:16], 2, v[7:8]
	v_add_nc_u32_e32 v7, 4, v7
	s_waitcnt lgkmcnt(0)
	v_add_co_u32 v15, vcc_lo, s0, v15
	v_add_co_ci_u32_e64 v16, null, s1, v16, vcc_lo
	global_load_dword v8, v[15:16], off
	v_lshlrev_b64 v[15:16], 3, v[12:13]
	v_add_nc_u32_e32 v12, -7, v11
	v_lshlrev_b64 v[23:24], 3, v[12:13]
	v_add_co_u32 v15, vcc_lo, s2, v15
	v_add_co_ci_u32_e64 v16, null, s3, v16, vcc_lo
	s_waitcnt vmcnt(0)
	v_subrev_nc_u32_e32 v8, s8, v8
	v_mul_lo_u32 v35, v8, 10
	v_lshlrev_b64 v[17:18], 3, v[35:36]
	v_add_nc_u32_e32 v12, 2, v35
	v_lshlrev_b64 v[25:26], 3, v[12:13]
	v_add_co_u32 v19, vcc_lo, s4, v17
	v_add_co_ci_u32_e64 v20, null, s5, v18, vcc_lo
	v_add_co_u32 v23, vcc_lo, s2, v23
	global_load_dwordx4 v[15:18], v[15:16], off
	global_load_dwordx4 v[19:22], v[19:20], off
	v_add_co_ci_u32_e64 v24, null, s3, v24, vcc_lo
	v_add_co_u32 v25, vcc_lo, s4, v25
	v_add_co_ci_u32_e64 v26, null, s5, v26, vcc_lo
	global_load_dwordx2 v[39:40], v[23:24], off
	global_load_dwordx4 v[23:26], v[25:26], off
	v_add_nc_u32_e32 v12, -6, v11
	v_lshlrev_b64 v[27:28], 3, v[12:13]
	v_add_nc_u32_e32 v12, -5, v11
	v_add_co_u32 v27, vcc_lo, s2, v27
	v_add_co_ci_u32_e64 v28, null, s3, v28, vcc_lo
	global_load_dwordx2 v[41:42], v[27:28], off
	v_lshlrev_b64 v[27:28], 3, v[12:13]
	v_add_nc_u32_e32 v12, 4, v35
	v_lshlrev_b64 v[29:30], 3, v[12:13]
	v_add_co_u32 v27, vcc_lo, s2, v27
	v_add_co_ci_u32_e64 v28, null, s3, v28, vcc_lo
	v_add_nc_u32_e32 v12, -4, v11
	v_add_co_u32 v29, vcc_lo, s4, v29
	v_add_co_ci_u32_e64 v30, null, s5, v30, vcc_lo
	global_load_dwordx2 v[43:44], v[27:28], off
	global_load_dwordx4 v[27:30], v[29:30], off
	v_lshlrev_b64 v[31:32], 3, v[12:13]
	v_add_nc_u32_e32 v12, -3, v11
	v_add_co_u32 v31, vcc_lo, s2, v31
	v_add_co_ci_u32_e64 v32, null, s3, v32, vcc_lo
	global_load_dwordx2 v[45:46], v[31:32], off
	v_lshlrev_b64 v[31:32], 3, v[12:13]
	v_add_nc_u32_e32 v12, 6, v35
	v_lshlrev_b64 v[33:34], 3, v[12:13]
	v_add_co_u32 v31, vcc_lo, s2, v31
	v_add_co_ci_u32_e64 v32, null, s3, v32, vcc_lo
	v_add_nc_u32_e32 v12, -2, v11
	v_add_co_u32 v33, vcc_lo, s4, v33
	v_add_co_ci_u32_e64 v34, null, s5, v34, vcc_lo
	global_load_dwordx2 v[47:48], v[31:32], off
	global_load_dwordx4 v[31:34], v[33:34], off
	v_lshlrev_b64 v[36:37], 3, v[12:13]
	v_add_nc_u32_e32 v12, -1, v11
	v_add_co_u32 v36, vcc_lo, s2, v36
	v_add_co_ci_u32_e64 v37, null, s3, v37, vcc_lo
	global_load_dwordx2 v[49:50], v[36:37], off
	v_lshlrev_b64 v[36:37], 3, v[12:13]
	v_add_nc_u32_e32 v12, 8, v35
	v_lshlrev_b64 v[51:52], 3, v[12:13]
	v_add_co_u32 v35, vcc_lo, s2, v36
	v_add_co_ci_u32_e64 v36, null, s3, v37, vcc_lo
	v_mov_b32_e32 v12, v13
	v_add_co_u32 v37, vcc_lo, s4, v51
	v_add_co_ci_u32_e64 v38, null, s5, v52, vcc_lo
	global_load_dwordx2 v[51:52], v[35:36], off
	global_load_dwordx4 v[35:38], v[37:38], off
	v_lshlrev_b64 v[53:54], 3, v[11:12]
	v_add_nc_u32_e32 v11, 40, v11
	v_add_co_u32 v53, vcc_lo, s2, v53
	v_add_co_ci_u32_e64 v54, null, s3, v54, vcc_lo
	v_cmp_ge_i32_e32 vcc_lo, v7, v14
	global_load_dwordx2 v[53:54], v[53:54], off
	s_or_b32 s10, vcc_lo, s10
	s_waitcnt vmcnt(12)
	v_fma_f64 v[8:9], v[15:16], v[19:20], v[9:10]
	v_fma_f64 v[8:9], v[17:18], v[21:22], v[8:9]
	s_waitcnt vmcnt(10)
	v_fma_f64 v[8:9], v[39:40], v[23:24], v[8:9]
	s_waitcnt vmcnt(9)
	;; [unrolled: 2-line block ×8, first 2 shown]
	v_fma_f64 v[9:10], v[53:54], v[37:38], v[8:9]
	s_andn2_b32 exec_lo, exec_lo, s10
	s_cbranch_execnz .LBB116_8
; %bb.9:
	s_or_b32 exec_lo, exec_lo, s10
.LBB116_10:
	s_or_b32 exec_lo, exec_lo, s9
	v_mbcnt_lo_u32_b32 v11, -1, 0
	v_xor_b32_e32 v7, 2, v11
	v_cmp_gt_i32_e32 vcc_lo, 32, v7
	v_cndmask_b32_e32 v7, v11, v7, vcc_lo
	v_lshlrev_b32_e32 v8, 2, v7
	ds_bpermute_b32 v7, v8, v9
	ds_bpermute_b32 v8, v8, v10
	s_waitcnt lgkmcnt(0)
	v_add_f64 v[7:8], v[9:10], v[7:8]
	v_xor_b32_e32 v9, 1, v11
	v_cmp_gt_i32_e32 vcc_lo, 32, v9
	v_cndmask_b32_e32 v9, v11, v9, vcc_lo
	v_cmp_eq_u32_e32 vcc_lo, 3, v0
	v_lshlrev_b32_e32 v10, 2, v9
	ds_bpermute_b32 v9, v10, v7
	ds_bpermute_b32 v10, v10, v8
	s_and_b32 exec_lo, exec_lo, vcc_lo
	s_cbranch_execz .LBB116_15
; %bb.11:
	s_waitcnt lgkmcnt(0)
	v_add_f64 v[7:8], v[7:8], v[9:10]
	v_lshlrev_b64 v[5:6], 3, v[5:6]
	s_mov_b32 s0, exec_lo
	v_mul_f64 v[3:4], v[3:4], v[7:8]
	v_cmpx_eq_f64_e32 0, v[1:2]
	s_xor_b32 s0, exec_lo, s0
	s_cbranch_execz .LBB116_13
; %bb.12:
	v_add_co_u32 v0, vcc_lo, s6, v5
	v_add_co_ci_u32_e64 v1, null, s7, v6, vcc_lo
                                        ; implicit-def: $vgpr5_vgpr6
	global_store_dwordx2 v[0:1], v[3:4], off
                                        ; implicit-def: $vgpr1_vgpr2
                                        ; implicit-def: $vgpr3_vgpr4
.LBB116_13:
	s_andn2_saveexec_b32 s0, s0
	s_cbranch_execz .LBB116_15
; %bb.14:
	v_add_co_u32 v5, vcc_lo, s6, v5
	v_add_co_ci_u32_e64 v6, null, s7, v6, vcc_lo
	global_load_dwordx2 v[7:8], v[5:6], off
	s_waitcnt vmcnt(0)
	v_fma_f64 v[0:1], v[1:2], v[7:8], v[3:4]
	global_store_dwordx2 v[5:6], v[0:1], off
.LBB116_15:
	s_endpgm
	.section	.rodata,"a",@progbits
	.p2align	6, 0x0
	.amdhsa_kernel _ZN9rocsparseL19gebsrmvn_1xn_kernelILj128ELj10ELj4EdEEvi20rocsparse_direction_NS_24const_host_device_scalarIT2_EEPKiS6_PKS3_S8_S4_PS3_21rocsparse_index_base_b
		.amdhsa_group_segment_fixed_size 0
		.amdhsa_private_segment_fixed_size 0
		.amdhsa_kernarg_size 72
		.amdhsa_user_sgpr_count 6
		.amdhsa_user_sgpr_private_segment_buffer 1
		.amdhsa_user_sgpr_dispatch_ptr 0
		.amdhsa_user_sgpr_queue_ptr 0
		.amdhsa_user_sgpr_kernarg_segment_ptr 1
		.amdhsa_user_sgpr_dispatch_id 0
		.amdhsa_user_sgpr_flat_scratch_init 0
		.amdhsa_user_sgpr_private_segment_size 0
		.amdhsa_wavefront_size32 1
		.amdhsa_uses_dynamic_stack 0
		.amdhsa_system_sgpr_private_segment_wavefront_offset 0
		.amdhsa_system_sgpr_workgroup_id_x 1
		.amdhsa_system_sgpr_workgroup_id_y 0
		.amdhsa_system_sgpr_workgroup_id_z 0
		.amdhsa_system_sgpr_workgroup_info 0
		.amdhsa_system_vgpr_workitem_id 0
		.amdhsa_next_free_vgpr 55
		.amdhsa_next_free_sgpr 11
		.amdhsa_reserve_vcc 1
		.amdhsa_reserve_flat_scratch 0
		.amdhsa_float_round_mode_32 0
		.amdhsa_float_round_mode_16_64 0
		.amdhsa_float_denorm_mode_32 3
		.amdhsa_float_denorm_mode_16_64 3
		.amdhsa_dx10_clamp 1
		.amdhsa_ieee_mode 1
		.amdhsa_fp16_overflow 0
		.amdhsa_workgroup_processor_mode 1
		.amdhsa_memory_ordered 1
		.amdhsa_forward_progress 1
		.amdhsa_shared_vgpr_count 0
		.amdhsa_exception_fp_ieee_invalid_op 0
		.amdhsa_exception_fp_denorm_src 0
		.amdhsa_exception_fp_ieee_div_zero 0
		.amdhsa_exception_fp_ieee_overflow 0
		.amdhsa_exception_fp_ieee_underflow 0
		.amdhsa_exception_fp_ieee_inexact 0
		.amdhsa_exception_int_div_zero 0
	.end_amdhsa_kernel
	.section	.text._ZN9rocsparseL19gebsrmvn_1xn_kernelILj128ELj10ELj4EdEEvi20rocsparse_direction_NS_24const_host_device_scalarIT2_EEPKiS6_PKS3_S8_S4_PS3_21rocsparse_index_base_b,"axG",@progbits,_ZN9rocsparseL19gebsrmvn_1xn_kernelILj128ELj10ELj4EdEEvi20rocsparse_direction_NS_24const_host_device_scalarIT2_EEPKiS6_PKS3_S8_S4_PS3_21rocsparse_index_base_b,comdat
.Lfunc_end116:
	.size	_ZN9rocsparseL19gebsrmvn_1xn_kernelILj128ELj10ELj4EdEEvi20rocsparse_direction_NS_24const_host_device_scalarIT2_EEPKiS6_PKS3_S8_S4_PS3_21rocsparse_index_base_b, .Lfunc_end116-_ZN9rocsparseL19gebsrmvn_1xn_kernelILj128ELj10ELj4EdEEvi20rocsparse_direction_NS_24const_host_device_scalarIT2_EEPKiS6_PKS3_S8_S4_PS3_21rocsparse_index_base_b
                                        ; -- End function
	.set _ZN9rocsparseL19gebsrmvn_1xn_kernelILj128ELj10ELj4EdEEvi20rocsparse_direction_NS_24const_host_device_scalarIT2_EEPKiS6_PKS3_S8_S4_PS3_21rocsparse_index_base_b.num_vgpr, 55
	.set _ZN9rocsparseL19gebsrmvn_1xn_kernelILj128ELj10ELj4EdEEvi20rocsparse_direction_NS_24const_host_device_scalarIT2_EEPKiS6_PKS3_S8_S4_PS3_21rocsparse_index_base_b.num_agpr, 0
	.set _ZN9rocsparseL19gebsrmvn_1xn_kernelILj128ELj10ELj4EdEEvi20rocsparse_direction_NS_24const_host_device_scalarIT2_EEPKiS6_PKS3_S8_S4_PS3_21rocsparse_index_base_b.numbered_sgpr, 11
	.set _ZN9rocsparseL19gebsrmvn_1xn_kernelILj128ELj10ELj4EdEEvi20rocsparse_direction_NS_24const_host_device_scalarIT2_EEPKiS6_PKS3_S8_S4_PS3_21rocsparse_index_base_b.num_named_barrier, 0
	.set _ZN9rocsparseL19gebsrmvn_1xn_kernelILj128ELj10ELj4EdEEvi20rocsparse_direction_NS_24const_host_device_scalarIT2_EEPKiS6_PKS3_S8_S4_PS3_21rocsparse_index_base_b.private_seg_size, 0
	.set _ZN9rocsparseL19gebsrmvn_1xn_kernelILj128ELj10ELj4EdEEvi20rocsparse_direction_NS_24const_host_device_scalarIT2_EEPKiS6_PKS3_S8_S4_PS3_21rocsparse_index_base_b.uses_vcc, 1
	.set _ZN9rocsparseL19gebsrmvn_1xn_kernelILj128ELj10ELj4EdEEvi20rocsparse_direction_NS_24const_host_device_scalarIT2_EEPKiS6_PKS3_S8_S4_PS3_21rocsparse_index_base_b.uses_flat_scratch, 0
	.set _ZN9rocsparseL19gebsrmvn_1xn_kernelILj128ELj10ELj4EdEEvi20rocsparse_direction_NS_24const_host_device_scalarIT2_EEPKiS6_PKS3_S8_S4_PS3_21rocsparse_index_base_b.has_dyn_sized_stack, 0
	.set _ZN9rocsparseL19gebsrmvn_1xn_kernelILj128ELj10ELj4EdEEvi20rocsparse_direction_NS_24const_host_device_scalarIT2_EEPKiS6_PKS3_S8_S4_PS3_21rocsparse_index_base_b.has_recursion, 0
	.set _ZN9rocsparseL19gebsrmvn_1xn_kernelILj128ELj10ELj4EdEEvi20rocsparse_direction_NS_24const_host_device_scalarIT2_EEPKiS6_PKS3_S8_S4_PS3_21rocsparse_index_base_b.has_indirect_call, 0
	.section	.AMDGPU.csdata,"",@progbits
; Kernel info:
; codeLenInByte = 1248
; TotalNumSgprs: 13
; NumVgprs: 55
; ScratchSize: 0
; MemoryBound: 0
; FloatMode: 240
; IeeeMode: 1
; LDSByteSize: 0 bytes/workgroup (compile time only)
; SGPRBlocks: 0
; VGPRBlocks: 6
; NumSGPRsForWavesPerEU: 13
; NumVGPRsForWavesPerEU: 55
; Occupancy: 16
; WaveLimiterHint : 1
; COMPUTE_PGM_RSRC2:SCRATCH_EN: 0
; COMPUTE_PGM_RSRC2:USER_SGPR: 6
; COMPUTE_PGM_RSRC2:TRAP_HANDLER: 0
; COMPUTE_PGM_RSRC2:TGID_X_EN: 1
; COMPUTE_PGM_RSRC2:TGID_Y_EN: 0
; COMPUTE_PGM_RSRC2:TGID_Z_EN: 0
; COMPUTE_PGM_RSRC2:TIDIG_COMP_CNT: 0
	.section	.text._ZN9rocsparseL19gebsrmvn_1xn_kernelILj128ELj10ELj8EdEEvi20rocsparse_direction_NS_24const_host_device_scalarIT2_EEPKiS6_PKS3_S8_S4_PS3_21rocsparse_index_base_b,"axG",@progbits,_ZN9rocsparseL19gebsrmvn_1xn_kernelILj128ELj10ELj8EdEEvi20rocsparse_direction_NS_24const_host_device_scalarIT2_EEPKiS6_PKS3_S8_S4_PS3_21rocsparse_index_base_b,comdat
	.globl	_ZN9rocsparseL19gebsrmvn_1xn_kernelILj128ELj10ELj8EdEEvi20rocsparse_direction_NS_24const_host_device_scalarIT2_EEPKiS6_PKS3_S8_S4_PS3_21rocsparse_index_base_b ; -- Begin function _ZN9rocsparseL19gebsrmvn_1xn_kernelILj128ELj10ELj8EdEEvi20rocsparse_direction_NS_24const_host_device_scalarIT2_EEPKiS6_PKS3_S8_S4_PS3_21rocsparse_index_base_b
	.p2align	8
	.type	_ZN9rocsparseL19gebsrmvn_1xn_kernelILj128ELj10ELj8EdEEvi20rocsparse_direction_NS_24const_host_device_scalarIT2_EEPKiS6_PKS3_S8_S4_PS3_21rocsparse_index_base_b,@function
_ZN9rocsparseL19gebsrmvn_1xn_kernelILj128ELj10ELj8EdEEvi20rocsparse_direction_NS_24const_host_device_scalarIT2_EEPKiS6_PKS3_S8_S4_PS3_21rocsparse_index_base_b: ; @_ZN9rocsparseL19gebsrmvn_1xn_kernelILj128ELj10ELj8EdEEvi20rocsparse_direction_NS_24const_host_device_scalarIT2_EEPKiS6_PKS3_S8_S4_PS3_21rocsparse_index_base_b
; %bb.0:
	s_clause 0x2
	s_load_dwordx2 s[8:9], s[4:5], 0x40
	s_load_dwordx2 s[2:3], s[4:5], 0x8
	;; [unrolled: 1-line block ×3, first 2 shown]
	s_waitcnt lgkmcnt(0)
	s_bitcmp1_b32 s9, 0
	v_mov_b32_e32 v4, s3
	v_mov_b32_e32 v3, s2
	s_cselect_b32 s7, -1, 0
	s_and_b32 vcc_lo, exec_lo, s7
	s_xor_b32 s7, s7, -1
	s_cbranch_vccnz .LBB117_2
; %bb.1:
	v_mov_b32_e32 v1, s2
	v_mov_b32_e32 v2, s3
	flat_load_dwordx2 v[3:4], v[1:2]
.LBB117_2:
	v_mov_b32_e32 v2, s1
	v_mov_b32_e32 v1, s0
	s_andn2_b32 vcc_lo, exec_lo, s7
	s_cbranch_vccnz .LBB117_4
; %bb.3:
	v_mov_b32_e32 v2, s1
	v_mov_b32_e32 v1, s0
	flat_load_dwordx2 v[1:2], v[1:2]
.LBB117_4:
	s_waitcnt vmcnt(0) lgkmcnt(0)
	v_cmp_neq_f64_e32 vcc_lo, 0, v[3:4]
	v_cmp_neq_f64_e64 s0, 1.0, v[1:2]
	s_or_b32 s0, vcc_lo, s0
	s_and_saveexec_b32 s1, s0
	s_cbranch_execz .LBB117_15
; %bb.5:
	s_load_dword s0, s[4:5], 0x0
	v_lshrrev_b32_e32 v5, 3, v0
	v_lshl_or_b32 v5, s6, 4, v5
	s_waitcnt lgkmcnt(0)
	v_cmp_gt_i32_e32 vcc_lo, s0, v5
	s_and_b32 exec_lo, exec_lo, vcc_lo
	s_cbranch_execz .LBB117_15
; %bb.6:
	s_clause 0x1
	s_load_dwordx2 s[0:1], s[4:5], 0x10
	s_load_dwordx2 s[6:7], s[4:5], 0x38
	v_ashrrev_i32_e32 v6, 31, v5
	v_and_b32_e32 v0, 7, v0
	s_mov_b32 s9, exec_lo
	v_lshlrev_b64 v[7:8], 2, v[5:6]
	v_subrev_nc_u32_e32 v9, s8, v0
	s_waitcnt lgkmcnt(0)
	v_add_co_u32 v7, vcc_lo, s0, v7
	v_add_co_ci_u32_e64 v8, null, s1, v8, vcc_lo
	global_load_dwordx2 v[7:8], v[7:8], off
	s_waitcnt vmcnt(0)
	v_add_nc_u32_e32 v7, v7, v9
	v_mov_b32_e32 v9, 0
	v_subrev_nc_u32_e32 v14, s8, v8
	v_mov_b32_e32 v10, 0
	v_cmpx_lt_i32_e64 v7, v14
	s_cbranch_execz .LBB117_10
; %bb.7:
	s_clause 0x1
	s_load_dwordx4 s[0:3], s[4:5], 0x18
	s_load_dwordx2 s[4:5], s[4:5], 0x28
	v_mad_u64_u32 v[11:12], null, v7, 10, 9
	v_mov_b32_e32 v9, 0
	v_mov_b32_e32 v10, 0
	;; [unrolled: 1-line block ×3, first 2 shown]
	s_mov_b32 s10, 0
.LBB117_8:                              ; =>This Inner Loop Header: Depth=1
	v_ashrrev_i32_e32 v8, 31, v7
	v_add_nc_u32_e32 v12, -9, v11
	v_mov_b32_e32 v36, v13
	v_lshlrev_b64 v[15:16], 2, v[7:8]
	v_add_nc_u32_e32 v7, 8, v7
	s_waitcnt lgkmcnt(0)
	v_add_co_u32 v15, vcc_lo, s0, v15
	v_add_co_ci_u32_e64 v16, null, s1, v16, vcc_lo
	global_load_dword v8, v[15:16], off
	v_lshlrev_b64 v[15:16], 3, v[12:13]
	v_add_nc_u32_e32 v12, -7, v11
	v_lshlrev_b64 v[23:24], 3, v[12:13]
	v_add_co_u32 v15, vcc_lo, s2, v15
	v_add_co_ci_u32_e64 v16, null, s3, v16, vcc_lo
	s_waitcnt vmcnt(0)
	v_subrev_nc_u32_e32 v8, s8, v8
	v_mul_lo_u32 v35, v8, 10
	v_lshlrev_b64 v[17:18], 3, v[35:36]
	v_add_nc_u32_e32 v12, 2, v35
	v_lshlrev_b64 v[25:26], 3, v[12:13]
	v_add_co_u32 v19, vcc_lo, s4, v17
	v_add_co_ci_u32_e64 v20, null, s5, v18, vcc_lo
	v_add_co_u32 v23, vcc_lo, s2, v23
	global_load_dwordx4 v[15:18], v[15:16], off
	global_load_dwordx4 v[19:22], v[19:20], off
	v_add_co_ci_u32_e64 v24, null, s3, v24, vcc_lo
	v_add_co_u32 v25, vcc_lo, s4, v25
	v_add_co_ci_u32_e64 v26, null, s5, v26, vcc_lo
	global_load_dwordx2 v[39:40], v[23:24], off
	global_load_dwordx4 v[23:26], v[25:26], off
	v_add_nc_u32_e32 v12, -6, v11
	v_lshlrev_b64 v[27:28], 3, v[12:13]
	v_add_nc_u32_e32 v12, -5, v11
	v_add_co_u32 v27, vcc_lo, s2, v27
	v_add_co_ci_u32_e64 v28, null, s3, v28, vcc_lo
	global_load_dwordx2 v[41:42], v[27:28], off
	v_lshlrev_b64 v[27:28], 3, v[12:13]
	v_add_nc_u32_e32 v12, 4, v35
	v_lshlrev_b64 v[29:30], 3, v[12:13]
	v_add_co_u32 v27, vcc_lo, s2, v27
	v_add_co_ci_u32_e64 v28, null, s3, v28, vcc_lo
	v_add_nc_u32_e32 v12, -4, v11
	v_add_co_u32 v29, vcc_lo, s4, v29
	v_add_co_ci_u32_e64 v30, null, s5, v30, vcc_lo
	global_load_dwordx2 v[43:44], v[27:28], off
	global_load_dwordx4 v[27:30], v[29:30], off
	v_lshlrev_b64 v[31:32], 3, v[12:13]
	v_add_nc_u32_e32 v12, -3, v11
	v_add_co_u32 v31, vcc_lo, s2, v31
	v_add_co_ci_u32_e64 v32, null, s3, v32, vcc_lo
	global_load_dwordx2 v[45:46], v[31:32], off
	v_lshlrev_b64 v[31:32], 3, v[12:13]
	v_add_nc_u32_e32 v12, 6, v35
	v_lshlrev_b64 v[33:34], 3, v[12:13]
	v_add_co_u32 v31, vcc_lo, s2, v31
	v_add_co_ci_u32_e64 v32, null, s3, v32, vcc_lo
	v_add_nc_u32_e32 v12, -2, v11
	v_add_co_u32 v33, vcc_lo, s4, v33
	v_add_co_ci_u32_e64 v34, null, s5, v34, vcc_lo
	global_load_dwordx2 v[47:48], v[31:32], off
	global_load_dwordx4 v[31:34], v[33:34], off
	v_lshlrev_b64 v[36:37], 3, v[12:13]
	v_add_nc_u32_e32 v12, -1, v11
	v_add_co_u32 v36, vcc_lo, s2, v36
	v_add_co_ci_u32_e64 v37, null, s3, v37, vcc_lo
	global_load_dwordx2 v[49:50], v[36:37], off
	v_lshlrev_b64 v[36:37], 3, v[12:13]
	v_add_nc_u32_e32 v12, 8, v35
	v_lshlrev_b64 v[51:52], 3, v[12:13]
	v_add_co_u32 v35, vcc_lo, s2, v36
	v_add_co_ci_u32_e64 v36, null, s3, v37, vcc_lo
	v_mov_b32_e32 v12, v13
	v_add_co_u32 v37, vcc_lo, s4, v51
	v_add_co_ci_u32_e64 v38, null, s5, v52, vcc_lo
	global_load_dwordx2 v[51:52], v[35:36], off
	global_load_dwordx4 v[35:38], v[37:38], off
	v_lshlrev_b64 v[53:54], 3, v[11:12]
	v_add_nc_u32_e32 v11, 0x50, v11
	v_add_co_u32 v53, vcc_lo, s2, v53
	v_add_co_ci_u32_e64 v54, null, s3, v54, vcc_lo
	v_cmp_ge_i32_e32 vcc_lo, v7, v14
	global_load_dwordx2 v[53:54], v[53:54], off
	s_or_b32 s10, vcc_lo, s10
	s_waitcnt vmcnt(12)
	v_fma_f64 v[8:9], v[15:16], v[19:20], v[9:10]
	v_fma_f64 v[8:9], v[17:18], v[21:22], v[8:9]
	s_waitcnt vmcnt(10)
	v_fma_f64 v[8:9], v[39:40], v[23:24], v[8:9]
	s_waitcnt vmcnt(9)
	;; [unrolled: 2-line block ×8, first 2 shown]
	v_fma_f64 v[9:10], v[53:54], v[37:38], v[8:9]
	s_andn2_b32 exec_lo, exec_lo, s10
	s_cbranch_execnz .LBB117_8
; %bb.9:
	s_or_b32 exec_lo, exec_lo, s10
.LBB117_10:
	s_or_b32 exec_lo, exec_lo, s9
	v_mbcnt_lo_u32_b32 v11, -1, 0
	v_xor_b32_e32 v7, 4, v11
	v_cmp_gt_i32_e32 vcc_lo, 32, v7
	v_cndmask_b32_e32 v7, v11, v7, vcc_lo
	v_lshlrev_b32_e32 v8, 2, v7
	ds_bpermute_b32 v7, v8, v9
	ds_bpermute_b32 v8, v8, v10
	s_waitcnt lgkmcnt(0)
	v_add_f64 v[7:8], v[9:10], v[7:8]
	v_xor_b32_e32 v9, 2, v11
	v_cmp_gt_i32_e32 vcc_lo, 32, v9
	v_cndmask_b32_e32 v9, v11, v9, vcc_lo
	v_lshlrev_b32_e32 v10, 2, v9
	ds_bpermute_b32 v9, v10, v7
	ds_bpermute_b32 v10, v10, v8
	s_waitcnt lgkmcnt(0)
	v_add_f64 v[7:8], v[7:8], v[9:10]
	v_xor_b32_e32 v9, 1, v11
	v_cmp_gt_i32_e32 vcc_lo, 32, v9
	v_cndmask_b32_e32 v9, v11, v9, vcc_lo
	v_cmp_eq_u32_e32 vcc_lo, 7, v0
	v_lshlrev_b32_e32 v10, 2, v9
	ds_bpermute_b32 v9, v10, v7
	ds_bpermute_b32 v10, v10, v8
	s_and_b32 exec_lo, exec_lo, vcc_lo
	s_cbranch_execz .LBB117_15
; %bb.11:
	s_waitcnt lgkmcnt(0)
	v_add_f64 v[7:8], v[7:8], v[9:10]
	v_lshlrev_b64 v[5:6], 3, v[5:6]
	s_mov_b32 s0, exec_lo
	v_mul_f64 v[3:4], v[3:4], v[7:8]
	v_cmpx_eq_f64_e32 0, v[1:2]
	s_xor_b32 s0, exec_lo, s0
	s_cbranch_execz .LBB117_13
; %bb.12:
	v_add_co_u32 v0, vcc_lo, s6, v5
	v_add_co_ci_u32_e64 v1, null, s7, v6, vcc_lo
                                        ; implicit-def: $vgpr5_vgpr6
	global_store_dwordx2 v[0:1], v[3:4], off
                                        ; implicit-def: $vgpr1_vgpr2
                                        ; implicit-def: $vgpr3_vgpr4
.LBB117_13:
	s_andn2_saveexec_b32 s0, s0
	s_cbranch_execz .LBB117_15
; %bb.14:
	v_add_co_u32 v5, vcc_lo, s6, v5
	v_add_co_ci_u32_e64 v6, null, s7, v6, vcc_lo
	global_load_dwordx2 v[7:8], v[5:6], off
	s_waitcnt vmcnt(0)
	v_fma_f64 v[0:1], v[1:2], v[7:8], v[3:4]
	global_store_dwordx2 v[5:6], v[0:1], off
.LBB117_15:
	s_endpgm
	.section	.rodata,"a",@progbits
	.p2align	6, 0x0
	.amdhsa_kernel _ZN9rocsparseL19gebsrmvn_1xn_kernelILj128ELj10ELj8EdEEvi20rocsparse_direction_NS_24const_host_device_scalarIT2_EEPKiS6_PKS3_S8_S4_PS3_21rocsparse_index_base_b
		.amdhsa_group_segment_fixed_size 0
		.amdhsa_private_segment_fixed_size 0
		.amdhsa_kernarg_size 72
		.amdhsa_user_sgpr_count 6
		.amdhsa_user_sgpr_private_segment_buffer 1
		.amdhsa_user_sgpr_dispatch_ptr 0
		.amdhsa_user_sgpr_queue_ptr 0
		.amdhsa_user_sgpr_kernarg_segment_ptr 1
		.amdhsa_user_sgpr_dispatch_id 0
		.amdhsa_user_sgpr_flat_scratch_init 0
		.amdhsa_user_sgpr_private_segment_size 0
		.amdhsa_wavefront_size32 1
		.amdhsa_uses_dynamic_stack 0
		.amdhsa_system_sgpr_private_segment_wavefront_offset 0
		.amdhsa_system_sgpr_workgroup_id_x 1
		.amdhsa_system_sgpr_workgroup_id_y 0
		.amdhsa_system_sgpr_workgroup_id_z 0
		.amdhsa_system_sgpr_workgroup_info 0
		.amdhsa_system_vgpr_workitem_id 0
		.amdhsa_next_free_vgpr 55
		.amdhsa_next_free_sgpr 11
		.amdhsa_reserve_vcc 1
		.amdhsa_reserve_flat_scratch 0
		.amdhsa_float_round_mode_32 0
		.amdhsa_float_round_mode_16_64 0
		.amdhsa_float_denorm_mode_32 3
		.amdhsa_float_denorm_mode_16_64 3
		.amdhsa_dx10_clamp 1
		.amdhsa_ieee_mode 1
		.amdhsa_fp16_overflow 0
		.amdhsa_workgroup_processor_mode 1
		.amdhsa_memory_ordered 1
		.amdhsa_forward_progress 1
		.amdhsa_shared_vgpr_count 0
		.amdhsa_exception_fp_ieee_invalid_op 0
		.amdhsa_exception_fp_denorm_src 0
		.amdhsa_exception_fp_ieee_div_zero 0
		.amdhsa_exception_fp_ieee_overflow 0
		.amdhsa_exception_fp_ieee_underflow 0
		.amdhsa_exception_fp_ieee_inexact 0
		.amdhsa_exception_int_div_zero 0
	.end_amdhsa_kernel
	.section	.text._ZN9rocsparseL19gebsrmvn_1xn_kernelILj128ELj10ELj8EdEEvi20rocsparse_direction_NS_24const_host_device_scalarIT2_EEPKiS6_PKS3_S8_S4_PS3_21rocsparse_index_base_b,"axG",@progbits,_ZN9rocsparseL19gebsrmvn_1xn_kernelILj128ELj10ELj8EdEEvi20rocsparse_direction_NS_24const_host_device_scalarIT2_EEPKiS6_PKS3_S8_S4_PS3_21rocsparse_index_base_b,comdat
.Lfunc_end117:
	.size	_ZN9rocsparseL19gebsrmvn_1xn_kernelILj128ELj10ELj8EdEEvi20rocsparse_direction_NS_24const_host_device_scalarIT2_EEPKiS6_PKS3_S8_S4_PS3_21rocsparse_index_base_b, .Lfunc_end117-_ZN9rocsparseL19gebsrmvn_1xn_kernelILj128ELj10ELj8EdEEvi20rocsparse_direction_NS_24const_host_device_scalarIT2_EEPKiS6_PKS3_S8_S4_PS3_21rocsparse_index_base_b
                                        ; -- End function
	.set _ZN9rocsparseL19gebsrmvn_1xn_kernelILj128ELj10ELj8EdEEvi20rocsparse_direction_NS_24const_host_device_scalarIT2_EEPKiS6_PKS3_S8_S4_PS3_21rocsparse_index_base_b.num_vgpr, 55
	.set _ZN9rocsparseL19gebsrmvn_1xn_kernelILj128ELj10ELj8EdEEvi20rocsparse_direction_NS_24const_host_device_scalarIT2_EEPKiS6_PKS3_S8_S4_PS3_21rocsparse_index_base_b.num_agpr, 0
	.set _ZN9rocsparseL19gebsrmvn_1xn_kernelILj128ELj10ELj8EdEEvi20rocsparse_direction_NS_24const_host_device_scalarIT2_EEPKiS6_PKS3_S8_S4_PS3_21rocsparse_index_base_b.numbered_sgpr, 11
	.set _ZN9rocsparseL19gebsrmvn_1xn_kernelILj128ELj10ELj8EdEEvi20rocsparse_direction_NS_24const_host_device_scalarIT2_EEPKiS6_PKS3_S8_S4_PS3_21rocsparse_index_base_b.num_named_barrier, 0
	.set _ZN9rocsparseL19gebsrmvn_1xn_kernelILj128ELj10ELj8EdEEvi20rocsparse_direction_NS_24const_host_device_scalarIT2_EEPKiS6_PKS3_S8_S4_PS3_21rocsparse_index_base_b.private_seg_size, 0
	.set _ZN9rocsparseL19gebsrmvn_1xn_kernelILj128ELj10ELj8EdEEvi20rocsparse_direction_NS_24const_host_device_scalarIT2_EEPKiS6_PKS3_S8_S4_PS3_21rocsparse_index_base_b.uses_vcc, 1
	.set _ZN9rocsparseL19gebsrmvn_1xn_kernelILj128ELj10ELj8EdEEvi20rocsparse_direction_NS_24const_host_device_scalarIT2_EEPKiS6_PKS3_S8_S4_PS3_21rocsparse_index_base_b.uses_flat_scratch, 0
	.set _ZN9rocsparseL19gebsrmvn_1xn_kernelILj128ELj10ELj8EdEEvi20rocsparse_direction_NS_24const_host_device_scalarIT2_EEPKiS6_PKS3_S8_S4_PS3_21rocsparse_index_base_b.has_dyn_sized_stack, 0
	.set _ZN9rocsparseL19gebsrmvn_1xn_kernelILj128ELj10ELj8EdEEvi20rocsparse_direction_NS_24const_host_device_scalarIT2_EEPKiS6_PKS3_S8_S4_PS3_21rocsparse_index_base_b.has_recursion, 0
	.set _ZN9rocsparseL19gebsrmvn_1xn_kernelILj128ELj10ELj8EdEEvi20rocsparse_direction_NS_24const_host_device_scalarIT2_EEPKiS6_PKS3_S8_S4_PS3_21rocsparse_index_base_b.has_indirect_call, 0
	.section	.AMDGPU.csdata,"",@progbits
; Kernel info:
; codeLenInByte = 1296
; TotalNumSgprs: 13
; NumVgprs: 55
; ScratchSize: 0
; MemoryBound: 0
; FloatMode: 240
; IeeeMode: 1
; LDSByteSize: 0 bytes/workgroup (compile time only)
; SGPRBlocks: 0
; VGPRBlocks: 6
; NumSGPRsForWavesPerEU: 13
; NumVGPRsForWavesPerEU: 55
; Occupancy: 16
; WaveLimiterHint : 1
; COMPUTE_PGM_RSRC2:SCRATCH_EN: 0
; COMPUTE_PGM_RSRC2:USER_SGPR: 6
; COMPUTE_PGM_RSRC2:TRAP_HANDLER: 0
; COMPUTE_PGM_RSRC2:TGID_X_EN: 1
; COMPUTE_PGM_RSRC2:TGID_Y_EN: 0
; COMPUTE_PGM_RSRC2:TGID_Z_EN: 0
; COMPUTE_PGM_RSRC2:TIDIG_COMP_CNT: 0
	.section	.text._ZN9rocsparseL19gebsrmvn_1xn_kernelILj128ELj10ELj16EdEEvi20rocsparse_direction_NS_24const_host_device_scalarIT2_EEPKiS6_PKS3_S8_S4_PS3_21rocsparse_index_base_b,"axG",@progbits,_ZN9rocsparseL19gebsrmvn_1xn_kernelILj128ELj10ELj16EdEEvi20rocsparse_direction_NS_24const_host_device_scalarIT2_EEPKiS6_PKS3_S8_S4_PS3_21rocsparse_index_base_b,comdat
	.globl	_ZN9rocsparseL19gebsrmvn_1xn_kernelILj128ELj10ELj16EdEEvi20rocsparse_direction_NS_24const_host_device_scalarIT2_EEPKiS6_PKS3_S8_S4_PS3_21rocsparse_index_base_b ; -- Begin function _ZN9rocsparseL19gebsrmvn_1xn_kernelILj128ELj10ELj16EdEEvi20rocsparse_direction_NS_24const_host_device_scalarIT2_EEPKiS6_PKS3_S8_S4_PS3_21rocsparse_index_base_b
	.p2align	8
	.type	_ZN9rocsparseL19gebsrmvn_1xn_kernelILj128ELj10ELj16EdEEvi20rocsparse_direction_NS_24const_host_device_scalarIT2_EEPKiS6_PKS3_S8_S4_PS3_21rocsparse_index_base_b,@function
_ZN9rocsparseL19gebsrmvn_1xn_kernelILj128ELj10ELj16EdEEvi20rocsparse_direction_NS_24const_host_device_scalarIT2_EEPKiS6_PKS3_S8_S4_PS3_21rocsparse_index_base_b: ; @_ZN9rocsparseL19gebsrmvn_1xn_kernelILj128ELj10ELj16EdEEvi20rocsparse_direction_NS_24const_host_device_scalarIT2_EEPKiS6_PKS3_S8_S4_PS3_21rocsparse_index_base_b
; %bb.0:
	s_clause 0x2
	s_load_dwordx2 s[8:9], s[4:5], 0x40
	s_load_dwordx2 s[2:3], s[4:5], 0x8
	;; [unrolled: 1-line block ×3, first 2 shown]
	s_waitcnt lgkmcnt(0)
	s_bitcmp1_b32 s9, 0
	v_mov_b32_e32 v4, s3
	v_mov_b32_e32 v3, s2
	s_cselect_b32 s7, -1, 0
	s_and_b32 vcc_lo, exec_lo, s7
	s_xor_b32 s7, s7, -1
	s_cbranch_vccnz .LBB118_2
; %bb.1:
	v_mov_b32_e32 v1, s2
	v_mov_b32_e32 v2, s3
	flat_load_dwordx2 v[3:4], v[1:2]
.LBB118_2:
	v_mov_b32_e32 v2, s1
	v_mov_b32_e32 v1, s0
	s_andn2_b32 vcc_lo, exec_lo, s7
	s_cbranch_vccnz .LBB118_4
; %bb.3:
	v_mov_b32_e32 v2, s1
	v_mov_b32_e32 v1, s0
	flat_load_dwordx2 v[1:2], v[1:2]
.LBB118_4:
	s_waitcnt vmcnt(0) lgkmcnt(0)
	v_cmp_neq_f64_e32 vcc_lo, 0, v[3:4]
	v_cmp_neq_f64_e64 s0, 1.0, v[1:2]
	s_or_b32 s0, vcc_lo, s0
	s_and_saveexec_b32 s1, s0
	s_cbranch_execz .LBB118_15
; %bb.5:
	s_load_dword s0, s[4:5], 0x0
	v_lshrrev_b32_e32 v5, 4, v0
	v_lshl_or_b32 v5, s6, 3, v5
	s_waitcnt lgkmcnt(0)
	v_cmp_gt_i32_e32 vcc_lo, s0, v5
	s_and_b32 exec_lo, exec_lo, vcc_lo
	s_cbranch_execz .LBB118_15
; %bb.6:
	s_clause 0x1
	s_load_dwordx2 s[0:1], s[4:5], 0x10
	s_load_dwordx2 s[6:7], s[4:5], 0x38
	v_ashrrev_i32_e32 v6, 31, v5
	v_and_b32_e32 v0, 15, v0
	s_mov_b32 s9, exec_lo
	v_lshlrev_b64 v[7:8], 2, v[5:6]
	v_subrev_nc_u32_e32 v9, s8, v0
	s_waitcnt lgkmcnt(0)
	v_add_co_u32 v7, vcc_lo, s0, v7
	v_add_co_ci_u32_e64 v8, null, s1, v8, vcc_lo
	global_load_dwordx2 v[7:8], v[7:8], off
	s_waitcnt vmcnt(0)
	v_add_nc_u32_e32 v7, v7, v9
	v_mov_b32_e32 v9, 0
	v_subrev_nc_u32_e32 v14, s8, v8
	v_mov_b32_e32 v10, 0
	v_cmpx_lt_i32_e64 v7, v14
	s_cbranch_execz .LBB118_10
; %bb.7:
	s_clause 0x1
	s_load_dwordx4 s[0:3], s[4:5], 0x18
	s_load_dwordx2 s[4:5], s[4:5], 0x28
	v_mad_u64_u32 v[11:12], null, v7, 10, 9
	v_mov_b32_e32 v9, 0
	v_mov_b32_e32 v10, 0
	;; [unrolled: 1-line block ×3, first 2 shown]
	s_mov_b32 s10, 0
.LBB118_8:                              ; =>This Inner Loop Header: Depth=1
	v_ashrrev_i32_e32 v8, 31, v7
	v_add_nc_u32_e32 v12, -9, v11
	v_mov_b32_e32 v36, v13
	v_lshlrev_b64 v[15:16], 2, v[7:8]
	v_add_nc_u32_e32 v7, 16, v7
	s_waitcnt lgkmcnt(0)
	v_add_co_u32 v15, vcc_lo, s0, v15
	v_add_co_ci_u32_e64 v16, null, s1, v16, vcc_lo
	global_load_dword v8, v[15:16], off
	v_lshlrev_b64 v[15:16], 3, v[12:13]
	v_add_nc_u32_e32 v12, -7, v11
	v_lshlrev_b64 v[23:24], 3, v[12:13]
	v_add_co_u32 v15, vcc_lo, s2, v15
	v_add_co_ci_u32_e64 v16, null, s3, v16, vcc_lo
	s_waitcnt vmcnt(0)
	v_subrev_nc_u32_e32 v8, s8, v8
	v_mul_lo_u32 v35, v8, 10
	v_lshlrev_b64 v[17:18], 3, v[35:36]
	v_add_nc_u32_e32 v12, 2, v35
	v_lshlrev_b64 v[25:26], 3, v[12:13]
	v_add_co_u32 v19, vcc_lo, s4, v17
	v_add_co_ci_u32_e64 v20, null, s5, v18, vcc_lo
	v_add_co_u32 v23, vcc_lo, s2, v23
	global_load_dwordx4 v[15:18], v[15:16], off
	global_load_dwordx4 v[19:22], v[19:20], off
	v_add_co_ci_u32_e64 v24, null, s3, v24, vcc_lo
	v_add_co_u32 v25, vcc_lo, s4, v25
	v_add_co_ci_u32_e64 v26, null, s5, v26, vcc_lo
	global_load_dwordx2 v[39:40], v[23:24], off
	global_load_dwordx4 v[23:26], v[25:26], off
	v_add_nc_u32_e32 v12, -6, v11
	v_lshlrev_b64 v[27:28], 3, v[12:13]
	v_add_nc_u32_e32 v12, -5, v11
	v_add_co_u32 v27, vcc_lo, s2, v27
	v_add_co_ci_u32_e64 v28, null, s3, v28, vcc_lo
	global_load_dwordx2 v[41:42], v[27:28], off
	v_lshlrev_b64 v[27:28], 3, v[12:13]
	v_add_nc_u32_e32 v12, 4, v35
	v_lshlrev_b64 v[29:30], 3, v[12:13]
	v_add_co_u32 v27, vcc_lo, s2, v27
	v_add_co_ci_u32_e64 v28, null, s3, v28, vcc_lo
	v_add_nc_u32_e32 v12, -4, v11
	v_add_co_u32 v29, vcc_lo, s4, v29
	v_add_co_ci_u32_e64 v30, null, s5, v30, vcc_lo
	global_load_dwordx2 v[43:44], v[27:28], off
	global_load_dwordx4 v[27:30], v[29:30], off
	v_lshlrev_b64 v[31:32], 3, v[12:13]
	v_add_nc_u32_e32 v12, -3, v11
	v_add_co_u32 v31, vcc_lo, s2, v31
	v_add_co_ci_u32_e64 v32, null, s3, v32, vcc_lo
	global_load_dwordx2 v[45:46], v[31:32], off
	v_lshlrev_b64 v[31:32], 3, v[12:13]
	v_add_nc_u32_e32 v12, 6, v35
	v_lshlrev_b64 v[33:34], 3, v[12:13]
	v_add_co_u32 v31, vcc_lo, s2, v31
	v_add_co_ci_u32_e64 v32, null, s3, v32, vcc_lo
	v_add_nc_u32_e32 v12, -2, v11
	v_add_co_u32 v33, vcc_lo, s4, v33
	v_add_co_ci_u32_e64 v34, null, s5, v34, vcc_lo
	global_load_dwordx2 v[47:48], v[31:32], off
	global_load_dwordx4 v[31:34], v[33:34], off
	v_lshlrev_b64 v[36:37], 3, v[12:13]
	v_add_nc_u32_e32 v12, -1, v11
	v_add_co_u32 v36, vcc_lo, s2, v36
	v_add_co_ci_u32_e64 v37, null, s3, v37, vcc_lo
	global_load_dwordx2 v[49:50], v[36:37], off
	v_lshlrev_b64 v[36:37], 3, v[12:13]
	v_add_nc_u32_e32 v12, 8, v35
	v_lshlrev_b64 v[51:52], 3, v[12:13]
	v_add_co_u32 v35, vcc_lo, s2, v36
	v_add_co_ci_u32_e64 v36, null, s3, v37, vcc_lo
	v_mov_b32_e32 v12, v13
	v_add_co_u32 v37, vcc_lo, s4, v51
	v_add_co_ci_u32_e64 v38, null, s5, v52, vcc_lo
	global_load_dwordx2 v[51:52], v[35:36], off
	global_load_dwordx4 v[35:38], v[37:38], off
	v_lshlrev_b64 v[53:54], 3, v[11:12]
	v_add_nc_u32_e32 v11, 0xa0, v11
	v_add_co_u32 v53, vcc_lo, s2, v53
	v_add_co_ci_u32_e64 v54, null, s3, v54, vcc_lo
	v_cmp_ge_i32_e32 vcc_lo, v7, v14
	global_load_dwordx2 v[53:54], v[53:54], off
	s_or_b32 s10, vcc_lo, s10
	s_waitcnt vmcnt(12)
	v_fma_f64 v[8:9], v[15:16], v[19:20], v[9:10]
	v_fma_f64 v[8:9], v[17:18], v[21:22], v[8:9]
	s_waitcnt vmcnt(10)
	v_fma_f64 v[8:9], v[39:40], v[23:24], v[8:9]
	s_waitcnt vmcnt(9)
	;; [unrolled: 2-line block ×8, first 2 shown]
	v_fma_f64 v[9:10], v[53:54], v[37:38], v[8:9]
	s_andn2_b32 exec_lo, exec_lo, s10
	s_cbranch_execnz .LBB118_8
; %bb.9:
	s_or_b32 exec_lo, exec_lo, s10
.LBB118_10:
	s_or_b32 exec_lo, exec_lo, s9
	v_mbcnt_lo_u32_b32 v11, -1, 0
	v_xor_b32_e32 v7, 8, v11
	v_cmp_gt_i32_e32 vcc_lo, 32, v7
	v_cndmask_b32_e32 v7, v11, v7, vcc_lo
	v_lshlrev_b32_e32 v8, 2, v7
	ds_bpermute_b32 v7, v8, v9
	ds_bpermute_b32 v8, v8, v10
	s_waitcnt lgkmcnt(0)
	v_add_f64 v[7:8], v[9:10], v[7:8]
	v_xor_b32_e32 v9, 4, v11
	v_cmp_gt_i32_e32 vcc_lo, 32, v9
	v_cndmask_b32_e32 v9, v11, v9, vcc_lo
	v_lshlrev_b32_e32 v10, 2, v9
	ds_bpermute_b32 v9, v10, v7
	ds_bpermute_b32 v10, v10, v8
	s_waitcnt lgkmcnt(0)
	v_add_f64 v[7:8], v[7:8], v[9:10]
	;; [unrolled: 8-line block ×3, first 2 shown]
	v_xor_b32_e32 v9, 1, v11
	v_cmp_gt_i32_e32 vcc_lo, 32, v9
	v_cndmask_b32_e32 v9, v11, v9, vcc_lo
	v_cmp_eq_u32_e32 vcc_lo, 15, v0
	v_lshlrev_b32_e32 v10, 2, v9
	ds_bpermute_b32 v9, v10, v7
	ds_bpermute_b32 v10, v10, v8
	s_and_b32 exec_lo, exec_lo, vcc_lo
	s_cbranch_execz .LBB118_15
; %bb.11:
	s_waitcnt lgkmcnt(0)
	v_add_f64 v[7:8], v[7:8], v[9:10]
	v_lshlrev_b64 v[5:6], 3, v[5:6]
	s_mov_b32 s0, exec_lo
	v_mul_f64 v[3:4], v[3:4], v[7:8]
	v_cmpx_eq_f64_e32 0, v[1:2]
	s_xor_b32 s0, exec_lo, s0
	s_cbranch_execz .LBB118_13
; %bb.12:
	v_add_co_u32 v0, vcc_lo, s6, v5
	v_add_co_ci_u32_e64 v1, null, s7, v6, vcc_lo
                                        ; implicit-def: $vgpr5_vgpr6
	global_store_dwordx2 v[0:1], v[3:4], off
                                        ; implicit-def: $vgpr1_vgpr2
                                        ; implicit-def: $vgpr3_vgpr4
.LBB118_13:
	s_andn2_saveexec_b32 s0, s0
	s_cbranch_execz .LBB118_15
; %bb.14:
	v_add_co_u32 v5, vcc_lo, s6, v5
	v_add_co_ci_u32_e64 v6, null, s7, v6, vcc_lo
	global_load_dwordx2 v[7:8], v[5:6], off
	s_waitcnt vmcnt(0)
	v_fma_f64 v[0:1], v[1:2], v[7:8], v[3:4]
	global_store_dwordx2 v[5:6], v[0:1], off
.LBB118_15:
	s_endpgm
	.section	.rodata,"a",@progbits
	.p2align	6, 0x0
	.amdhsa_kernel _ZN9rocsparseL19gebsrmvn_1xn_kernelILj128ELj10ELj16EdEEvi20rocsparse_direction_NS_24const_host_device_scalarIT2_EEPKiS6_PKS3_S8_S4_PS3_21rocsparse_index_base_b
		.amdhsa_group_segment_fixed_size 0
		.amdhsa_private_segment_fixed_size 0
		.amdhsa_kernarg_size 72
		.amdhsa_user_sgpr_count 6
		.amdhsa_user_sgpr_private_segment_buffer 1
		.amdhsa_user_sgpr_dispatch_ptr 0
		.amdhsa_user_sgpr_queue_ptr 0
		.amdhsa_user_sgpr_kernarg_segment_ptr 1
		.amdhsa_user_sgpr_dispatch_id 0
		.amdhsa_user_sgpr_flat_scratch_init 0
		.amdhsa_user_sgpr_private_segment_size 0
		.amdhsa_wavefront_size32 1
		.amdhsa_uses_dynamic_stack 0
		.amdhsa_system_sgpr_private_segment_wavefront_offset 0
		.amdhsa_system_sgpr_workgroup_id_x 1
		.amdhsa_system_sgpr_workgroup_id_y 0
		.amdhsa_system_sgpr_workgroup_id_z 0
		.amdhsa_system_sgpr_workgroup_info 0
		.amdhsa_system_vgpr_workitem_id 0
		.amdhsa_next_free_vgpr 55
		.amdhsa_next_free_sgpr 11
		.amdhsa_reserve_vcc 1
		.amdhsa_reserve_flat_scratch 0
		.amdhsa_float_round_mode_32 0
		.amdhsa_float_round_mode_16_64 0
		.amdhsa_float_denorm_mode_32 3
		.amdhsa_float_denorm_mode_16_64 3
		.amdhsa_dx10_clamp 1
		.amdhsa_ieee_mode 1
		.amdhsa_fp16_overflow 0
		.amdhsa_workgroup_processor_mode 1
		.amdhsa_memory_ordered 1
		.amdhsa_forward_progress 1
		.amdhsa_shared_vgpr_count 0
		.amdhsa_exception_fp_ieee_invalid_op 0
		.amdhsa_exception_fp_denorm_src 0
		.amdhsa_exception_fp_ieee_div_zero 0
		.amdhsa_exception_fp_ieee_overflow 0
		.amdhsa_exception_fp_ieee_underflow 0
		.amdhsa_exception_fp_ieee_inexact 0
		.amdhsa_exception_int_div_zero 0
	.end_amdhsa_kernel
	.section	.text._ZN9rocsparseL19gebsrmvn_1xn_kernelILj128ELj10ELj16EdEEvi20rocsparse_direction_NS_24const_host_device_scalarIT2_EEPKiS6_PKS3_S8_S4_PS3_21rocsparse_index_base_b,"axG",@progbits,_ZN9rocsparseL19gebsrmvn_1xn_kernelILj128ELj10ELj16EdEEvi20rocsparse_direction_NS_24const_host_device_scalarIT2_EEPKiS6_PKS3_S8_S4_PS3_21rocsparse_index_base_b,comdat
.Lfunc_end118:
	.size	_ZN9rocsparseL19gebsrmvn_1xn_kernelILj128ELj10ELj16EdEEvi20rocsparse_direction_NS_24const_host_device_scalarIT2_EEPKiS6_PKS3_S8_S4_PS3_21rocsparse_index_base_b, .Lfunc_end118-_ZN9rocsparseL19gebsrmvn_1xn_kernelILj128ELj10ELj16EdEEvi20rocsparse_direction_NS_24const_host_device_scalarIT2_EEPKiS6_PKS3_S8_S4_PS3_21rocsparse_index_base_b
                                        ; -- End function
	.set _ZN9rocsparseL19gebsrmvn_1xn_kernelILj128ELj10ELj16EdEEvi20rocsparse_direction_NS_24const_host_device_scalarIT2_EEPKiS6_PKS3_S8_S4_PS3_21rocsparse_index_base_b.num_vgpr, 55
	.set _ZN9rocsparseL19gebsrmvn_1xn_kernelILj128ELj10ELj16EdEEvi20rocsparse_direction_NS_24const_host_device_scalarIT2_EEPKiS6_PKS3_S8_S4_PS3_21rocsparse_index_base_b.num_agpr, 0
	.set _ZN9rocsparseL19gebsrmvn_1xn_kernelILj128ELj10ELj16EdEEvi20rocsparse_direction_NS_24const_host_device_scalarIT2_EEPKiS6_PKS3_S8_S4_PS3_21rocsparse_index_base_b.numbered_sgpr, 11
	.set _ZN9rocsparseL19gebsrmvn_1xn_kernelILj128ELj10ELj16EdEEvi20rocsparse_direction_NS_24const_host_device_scalarIT2_EEPKiS6_PKS3_S8_S4_PS3_21rocsparse_index_base_b.num_named_barrier, 0
	.set _ZN9rocsparseL19gebsrmvn_1xn_kernelILj128ELj10ELj16EdEEvi20rocsparse_direction_NS_24const_host_device_scalarIT2_EEPKiS6_PKS3_S8_S4_PS3_21rocsparse_index_base_b.private_seg_size, 0
	.set _ZN9rocsparseL19gebsrmvn_1xn_kernelILj128ELj10ELj16EdEEvi20rocsparse_direction_NS_24const_host_device_scalarIT2_EEPKiS6_PKS3_S8_S4_PS3_21rocsparse_index_base_b.uses_vcc, 1
	.set _ZN9rocsparseL19gebsrmvn_1xn_kernelILj128ELj10ELj16EdEEvi20rocsparse_direction_NS_24const_host_device_scalarIT2_EEPKiS6_PKS3_S8_S4_PS3_21rocsparse_index_base_b.uses_flat_scratch, 0
	.set _ZN9rocsparseL19gebsrmvn_1xn_kernelILj128ELj10ELj16EdEEvi20rocsparse_direction_NS_24const_host_device_scalarIT2_EEPKiS6_PKS3_S8_S4_PS3_21rocsparse_index_base_b.has_dyn_sized_stack, 0
	.set _ZN9rocsparseL19gebsrmvn_1xn_kernelILj128ELj10ELj16EdEEvi20rocsparse_direction_NS_24const_host_device_scalarIT2_EEPKiS6_PKS3_S8_S4_PS3_21rocsparse_index_base_b.has_recursion, 0
	.set _ZN9rocsparseL19gebsrmvn_1xn_kernelILj128ELj10ELj16EdEEvi20rocsparse_direction_NS_24const_host_device_scalarIT2_EEPKiS6_PKS3_S8_S4_PS3_21rocsparse_index_base_b.has_indirect_call, 0
	.section	.AMDGPU.csdata,"",@progbits
; Kernel info:
; codeLenInByte = 1340
; TotalNumSgprs: 13
; NumVgprs: 55
; ScratchSize: 0
; MemoryBound: 0
; FloatMode: 240
; IeeeMode: 1
; LDSByteSize: 0 bytes/workgroup (compile time only)
; SGPRBlocks: 0
; VGPRBlocks: 6
; NumSGPRsForWavesPerEU: 13
; NumVGPRsForWavesPerEU: 55
; Occupancy: 16
; WaveLimiterHint : 1
; COMPUTE_PGM_RSRC2:SCRATCH_EN: 0
; COMPUTE_PGM_RSRC2:USER_SGPR: 6
; COMPUTE_PGM_RSRC2:TRAP_HANDLER: 0
; COMPUTE_PGM_RSRC2:TGID_X_EN: 1
; COMPUTE_PGM_RSRC2:TGID_Y_EN: 0
; COMPUTE_PGM_RSRC2:TGID_Z_EN: 0
; COMPUTE_PGM_RSRC2:TIDIG_COMP_CNT: 0
	.section	.text._ZN9rocsparseL19gebsrmvn_1xn_kernelILj128ELj10ELj32EdEEvi20rocsparse_direction_NS_24const_host_device_scalarIT2_EEPKiS6_PKS3_S8_S4_PS3_21rocsparse_index_base_b,"axG",@progbits,_ZN9rocsparseL19gebsrmvn_1xn_kernelILj128ELj10ELj32EdEEvi20rocsparse_direction_NS_24const_host_device_scalarIT2_EEPKiS6_PKS3_S8_S4_PS3_21rocsparse_index_base_b,comdat
	.globl	_ZN9rocsparseL19gebsrmvn_1xn_kernelILj128ELj10ELj32EdEEvi20rocsparse_direction_NS_24const_host_device_scalarIT2_EEPKiS6_PKS3_S8_S4_PS3_21rocsparse_index_base_b ; -- Begin function _ZN9rocsparseL19gebsrmvn_1xn_kernelILj128ELj10ELj32EdEEvi20rocsparse_direction_NS_24const_host_device_scalarIT2_EEPKiS6_PKS3_S8_S4_PS3_21rocsparse_index_base_b
	.p2align	8
	.type	_ZN9rocsparseL19gebsrmvn_1xn_kernelILj128ELj10ELj32EdEEvi20rocsparse_direction_NS_24const_host_device_scalarIT2_EEPKiS6_PKS3_S8_S4_PS3_21rocsparse_index_base_b,@function
_ZN9rocsparseL19gebsrmvn_1xn_kernelILj128ELj10ELj32EdEEvi20rocsparse_direction_NS_24const_host_device_scalarIT2_EEPKiS6_PKS3_S8_S4_PS3_21rocsparse_index_base_b: ; @_ZN9rocsparseL19gebsrmvn_1xn_kernelILj128ELj10ELj32EdEEvi20rocsparse_direction_NS_24const_host_device_scalarIT2_EEPKiS6_PKS3_S8_S4_PS3_21rocsparse_index_base_b
; %bb.0:
	s_clause 0x2
	s_load_dwordx2 s[8:9], s[4:5], 0x40
	s_load_dwordx2 s[2:3], s[4:5], 0x8
	;; [unrolled: 1-line block ×3, first 2 shown]
	s_waitcnt lgkmcnt(0)
	s_bitcmp1_b32 s9, 0
	v_mov_b32_e32 v4, s3
	v_mov_b32_e32 v3, s2
	s_cselect_b32 s7, -1, 0
	s_and_b32 vcc_lo, exec_lo, s7
	s_xor_b32 s7, s7, -1
	s_cbranch_vccnz .LBB119_2
; %bb.1:
	v_mov_b32_e32 v1, s2
	v_mov_b32_e32 v2, s3
	flat_load_dwordx2 v[3:4], v[1:2]
.LBB119_2:
	v_mov_b32_e32 v2, s1
	v_mov_b32_e32 v1, s0
	s_andn2_b32 vcc_lo, exec_lo, s7
	s_cbranch_vccnz .LBB119_4
; %bb.3:
	v_mov_b32_e32 v2, s1
	v_mov_b32_e32 v1, s0
	flat_load_dwordx2 v[1:2], v[1:2]
.LBB119_4:
	s_waitcnt vmcnt(0) lgkmcnt(0)
	v_cmp_neq_f64_e32 vcc_lo, 0, v[3:4]
	v_cmp_neq_f64_e64 s0, 1.0, v[1:2]
	s_or_b32 s0, vcc_lo, s0
	s_and_saveexec_b32 s1, s0
	s_cbranch_execz .LBB119_15
; %bb.5:
	s_load_dword s0, s[4:5], 0x0
	v_lshrrev_b32_e32 v5, 5, v0
	v_lshl_or_b32 v5, s6, 2, v5
	s_waitcnt lgkmcnt(0)
	v_cmp_gt_i32_e32 vcc_lo, s0, v5
	s_and_b32 exec_lo, exec_lo, vcc_lo
	s_cbranch_execz .LBB119_15
; %bb.6:
	s_clause 0x1
	s_load_dwordx2 s[0:1], s[4:5], 0x10
	s_load_dwordx2 s[6:7], s[4:5], 0x38
	v_ashrrev_i32_e32 v6, 31, v5
	v_and_b32_e32 v0, 31, v0
	s_mov_b32 s9, exec_lo
	v_lshlrev_b64 v[7:8], 2, v[5:6]
	v_subrev_nc_u32_e32 v9, s8, v0
	s_waitcnt lgkmcnt(0)
	v_add_co_u32 v7, vcc_lo, s0, v7
	v_add_co_ci_u32_e64 v8, null, s1, v8, vcc_lo
	global_load_dwordx2 v[7:8], v[7:8], off
	s_waitcnt vmcnt(0)
	v_add_nc_u32_e32 v7, v7, v9
	v_mov_b32_e32 v9, 0
	v_subrev_nc_u32_e32 v14, s8, v8
	v_mov_b32_e32 v10, 0
	v_cmpx_lt_i32_e64 v7, v14
	s_cbranch_execz .LBB119_10
; %bb.7:
	s_clause 0x1
	s_load_dwordx4 s[0:3], s[4:5], 0x18
	s_load_dwordx2 s[4:5], s[4:5], 0x28
	v_mad_u64_u32 v[11:12], null, v7, 10, 9
	v_mov_b32_e32 v9, 0
	v_mov_b32_e32 v10, 0
	;; [unrolled: 1-line block ×3, first 2 shown]
	s_mov_b32 s10, 0
.LBB119_8:                              ; =>This Inner Loop Header: Depth=1
	v_ashrrev_i32_e32 v8, 31, v7
	v_add_nc_u32_e32 v12, -9, v11
	v_mov_b32_e32 v36, v13
	v_lshlrev_b64 v[15:16], 2, v[7:8]
	v_add_nc_u32_e32 v7, 32, v7
	s_waitcnt lgkmcnt(0)
	v_add_co_u32 v15, vcc_lo, s0, v15
	v_add_co_ci_u32_e64 v16, null, s1, v16, vcc_lo
	global_load_dword v8, v[15:16], off
	v_lshlrev_b64 v[15:16], 3, v[12:13]
	v_add_nc_u32_e32 v12, -7, v11
	v_lshlrev_b64 v[23:24], 3, v[12:13]
	v_add_co_u32 v15, vcc_lo, s2, v15
	v_add_co_ci_u32_e64 v16, null, s3, v16, vcc_lo
	s_waitcnt vmcnt(0)
	v_subrev_nc_u32_e32 v8, s8, v8
	v_mul_lo_u32 v35, v8, 10
	v_lshlrev_b64 v[17:18], 3, v[35:36]
	v_add_nc_u32_e32 v12, 2, v35
	v_lshlrev_b64 v[25:26], 3, v[12:13]
	v_add_co_u32 v19, vcc_lo, s4, v17
	v_add_co_ci_u32_e64 v20, null, s5, v18, vcc_lo
	v_add_co_u32 v23, vcc_lo, s2, v23
	global_load_dwordx4 v[15:18], v[15:16], off
	global_load_dwordx4 v[19:22], v[19:20], off
	v_add_co_ci_u32_e64 v24, null, s3, v24, vcc_lo
	v_add_co_u32 v25, vcc_lo, s4, v25
	v_add_co_ci_u32_e64 v26, null, s5, v26, vcc_lo
	global_load_dwordx2 v[39:40], v[23:24], off
	global_load_dwordx4 v[23:26], v[25:26], off
	v_add_nc_u32_e32 v12, -6, v11
	v_lshlrev_b64 v[27:28], 3, v[12:13]
	v_add_nc_u32_e32 v12, -5, v11
	v_add_co_u32 v27, vcc_lo, s2, v27
	v_add_co_ci_u32_e64 v28, null, s3, v28, vcc_lo
	global_load_dwordx2 v[41:42], v[27:28], off
	v_lshlrev_b64 v[27:28], 3, v[12:13]
	v_add_nc_u32_e32 v12, 4, v35
	v_lshlrev_b64 v[29:30], 3, v[12:13]
	v_add_co_u32 v27, vcc_lo, s2, v27
	v_add_co_ci_u32_e64 v28, null, s3, v28, vcc_lo
	v_add_nc_u32_e32 v12, -4, v11
	v_add_co_u32 v29, vcc_lo, s4, v29
	v_add_co_ci_u32_e64 v30, null, s5, v30, vcc_lo
	global_load_dwordx2 v[43:44], v[27:28], off
	global_load_dwordx4 v[27:30], v[29:30], off
	v_lshlrev_b64 v[31:32], 3, v[12:13]
	v_add_nc_u32_e32 v12, -3, v11
	v_add_co_u32 v31, vcc_lo, s2, v31
	v_add_co_ci_u32_e64 v32, null, s3, v32, vcc_lo
	global_load_dwordx2 v[45:46], v[31:32], off
	v_lshlrev_b64 v[31:32], 3, v[12:13]
	v_add_nc_u32_e32 v12, 6, v35
	v_lshlrev_b64 v[33:34], 3, v[12:13]
	v_add_co_u32 v31, vcc_lo, s2, v31
	v_add_co_ci_u32_e64 v32, null, s3, v32, vcc_lo
	v_add_nc_u32_e32 v12, -2, v11
	v_add_co_u32 v33, vcc_lo, s4, v33
	v_add_co_ci_u32_e64 v34, null, s5, v34, vcc_lo
	global_load_dwordx2 v[47:48], v[31:32], off
	global_load_dwordx4 v[31:34], v[33:34], off
	v_lshlrev_b64 v[36:37], 3, v[12:13]
	v_add_nc_u32_e32 v12, -1, v11
	v_add_co_u32 v36, vcc_lo, s2, v36
	v_add_co_ci_u32_e64 v37, null, s3, v37, vcc_lo
	global_load_dwordx2 v[49:50], v[36:37], off
	v_lshlrev_b64 v[36:37], 3, v[12:13]
	v_add_nc_u32_e32 v12, 8, v35
	v_lshlrev_b64 v[51:52], 3, v[12:13]
	v_add_co_u32 v35, vcc_lo, s2, v36
	v_add_co_ci_u32_e64 v36, null, s3, v37, vcc_lo
	v_mov_b32_e32 v12, v13
	v_add_co_u32 v37, vcc_lo, s4, v51
	v_add_co_ci_u32_e64 v38, null, s5, v52, vcc_lo
	global_load_dwordx2 v[51:52], v[35:36], off
	global_load_dwordx4 v[35:38], v[37:38], off
	v_lshlrev_b64 v[53:54], 3, v[11:12]
	v_add_nc_u32_e32 v11, 0x140, v11
	v_add_co_u32 v53, vcc_lo, s2, v53
	v_add_co_ci_u32_e64 v54, null, s3, v54, vcc_lo
	v_cmp_ge_i32_e32 vcc_lo, v7, v14
	global_load_dwordx2 v[53:54], v[53:54], off
	s_or_b32 s10, vcc_lo, s10
	s_waitcnt vmcnt(12)
	v_fma_f64 v[8:9], v[15:16], v[19:20], v[9:10]
	v_fma_f64 v[8:9], v[17:18], v[21:22], v[8:9]
	s_waitcnt vmcnt(10)
	v_fma_f64 v[8:9], v[39:40], v[23:24], v[8:9]
	s_waitcnt vmcnt(9)
	;; [unrolled: 2-line block ×8, first 2 shown]
	v_fma_f64 v[9:10], v[53:54], v[37:38], v[8:9]
	s_andn2_b32 exec_lo, exec_lo, s10
	s_cbranch_execnz .LBB119_8
; %bb.9:
	s_or_b32 exec_lo, exec_lo, s10
.LBB119_10:
	s_or_b32 exec_lo, exec_lo, s9
	v_mbcnt_lo_u32_b32 v11, -1, 0
	v_xor_b32_e32 v7, 16, v11
	v_cmp_gt_i32_e32 vcc_lo, 32, v7
	v_cndmask_b32_e32 v7, v11, v7, vcc_lo
	v_lshlrev_b32_e32 v8, 2, v7
	ds_bpermute_b32 v7, v8, v9
	ds_bpermute_b32 v8, v8, v10
	s_waitcnt lgkmcnt(0)
	v_add_f64 v[7:8], v[9:10], v[7:8]
	v_xor_b32_e32 v9, 8, v11
	v_cmp_gt_i32_e32 vcc_lo, 32, v9
	v_cndmask_b32_e32 v9, v11, v9, vcc_lo
	v_lshlrev_b32_e32 v10, 2, v9
	ds_bpermute_b32 v9, v10, v7
	ds_bpermute_b32 v10, v10, v8
	s_waitcnt lgkmcnt(0)
	v_add_f64 v[7:8], v[7:8], v[9:10]
	;; [unrolled: 8-line block ×4, first 2 shown]
	v_xor_b32_e32 v9, 1, v11
	v_cmp_gt_i32_e32 vcc_lo, 32, v9
	v_cndmask_b32_e32 v9, v11, v9, vcc_lo
	v_cmp_eq_u32_e32 vcc_lo, 31, v0
	v_lshlrev_b32_e32 v10, 2, v9
	ds_bpermute_b32 v9, v10, v7
	ds_bpermute_b32 v10, v10, v8
	s_and_b32 exec_lo, exec_lo, vcc_lo
	s_cbranch_execz .LBB119_15
; %bb.11:
	s_waitcnt lgkmcnt(0)
	v_add_f64 v[7:8], v[7:8], v[9:10]
	v_lshlrev_b64 v[5:6], 3, v[5:6]
	s_mov_b32 s0, exec_lo
	v_mul_f64 v[3:4], v[3:4], v[7:8]
	v_cmpx_eq_f64_e32 0, v[1:2]
	s_xor_b32 s0, exec_lo, s0
	s_cbranch_execz .LBB119_13
; %bb.12:
	v_add_co_u32 v0, vcc_lo, s6, v5
	v_add_co_ci_u32_e64 v1, null, s7, v6, vcc_lo
                                        ; implicit-def: $vgpr5_vgpr6
	global_store_dwordx2 v[0:1], v[3:4], off
                                        ; implicit-def: $vgpr1_vgpr2
                                        ; implicit-def: $vgpr3_vgpr4
.LBB119_13:
	s_andn2_saveexec_b32 s0, s0
	s_cbranch_execz .LBB119_15
; %bb.14:
	v_add_co_u32 v5, vcc_lo, s6, v5
	v_add_co_ci_u32_e64 v6, null, s7, v6, vcc_lo
	global_load_dwordx2 v[7:8], v[5:6], off
	s_waitcnt vmcnt(0)
	v_fma_f64 v[0:1], v[1:2], v[7:8], v[3:4]
	global_store_dwordx2 v[5:6], v[0:1], off
.LBB119_15:
	s_endpgm
	.section	.rodata,"a",@progbits
	.p2align	6, 0x0
	.amdhsa_kernel _ZN9rocsparseL19gebsrmvn_1xn_kernelILj128ELj10ELj32EdEEvi20rocsparse_direction_NS_24const_host_device_scalarIT2_EEPKiS6_PKS3_S8_S4_PS3_21rocsparse_index_base_b
		.amdhsa_group_segment_fixed_size 0
		.amdhsa_private_segment_fixed_size 0
		.amdhsa_kernarg_size 72
		.amdhsa_user_sgpr_count 6
		.amdhsa_user_sgpr_private_segment_buffer 1
		.amdhsa_user_sgpr_dispatch_ptr 0
		.amdhsa_user_sgpr_queue_ptr 0
		.amdhsa_user_sgpr_kernarg_segment_ptr 1
		.amdhsa_user_sgpr_dispatch_id 0
		.amdhsa_user_sgpr_flat_scratch_init 0
		.amdhsa_user_sgpr_private_segment_size 0
		.amdhsa_wavefront_size32 1
		.amdhsa_uses_dynamic_stack 0
		.amdhsa_system_sgpr_private_segment_wavefront_offset 0
		.amdhsa_system_sgpr_workgroup_id_x 1
		.amdhsa_system_sgpr_workgroup_id_y 0
		.amdhsa_system_sgpr_workgroup_id_z 0
		.amdhsa_system_sgpr_workgroup_info 0
		.amdhsa_system_vgpr_workitem_id 0
		.amdhsa_next_free_vgpr 55
		.amdhsa_next_free_sgpr 11
		.amdhsa_reserve_vcc 1
		.amdhsa_reserve_flat_scratch 0
		.amdhsa_float_round_mode_32 0
		.amdhsa_float_round_mode_16_64 0
		.amdhsa_float_denorm_mode_32 3
		.amdhsa_float_denorm_mode_16_64 3
		.amdhsa_dx10_clamp 1
		.amdhsa_ieee_mode 1
		.amdhsa_fp16_overflow 0
		.amdhsa_workgroup_processor_mode 1
		.amdhsa_memory_ordered 1
		.amdhsa_forward_progress 1
		.amdhsa_shared_vgpr_count 0
		.amdhsa_exception_fp_ieee_invalid_op 0
		.amdhsa_exception_fp_denorm_src 0
		.amdhsa_exception_fp_ieee_div_zero 0
		.amdhsa_exception_fp_ieee_overflow 0
		.amdhsa_exception_fp_ieee_underflow 0
		.amdhsa_exception_fp_ieee_inexact 0
		.amdhsa_exception_int_div_zero 0
	.end_amdhsa_kernel
	.section	.text._ZN9rocsparseL19gebsrmvn_1xn_kernelILj128ELj10ELj32EdEEvi20rocsparse_direction_NS_24const_host_device_scalarIT2_EEPKiS6_PKS3_S8_S4_PS3_21rocsparse_index_base_b,"axG",@progbits,_ZN9rocsparseL19gebsrmvn_1xn_kernelILj128ELj10ELj32EdEEvi20rocsparse_direction_NS_24const_host_device_scalarIT2_EEPKiS6_PKS3_S8_S4_PS3_21rocsparse_index_base_b,comdat
.Lfunc_end119:
	.size	_ZN9rocsparseL19gebsrmvn_1xn_kernelILj128ELj10ELj32EdEEvi20rocsparse_direction_NS_24const_host_device_scalarIT2_EEPKiS6_PKS3_S8_S4_PS3_21rocsparse_index_base_b, .Lfunc_end119-_ZN9rocsparseL19gebsrmvn_1xn_kernelILj128ELj10ELj32EdEEvi20rocsparse_direction_NS_24const_host_device_scalarIT2_EEPKiS6_PKS3_S8_S4_PS3_21rocsparse_index_base_b
                                        ; -- End function
	.set _ZN9rocsparseL19gebsrmvn_1xn_kernelILj128ELj10ELj32EdEEvi20rocsparse_direction_NS_24const_host_device_scalarIT2_EEPKiS6_PKS3_S8_S4_PS3_21rocsparse_index_base_b.num_vgpr, 55
	.set _ZN9rocsparseL19gebsrmvn_1xn_kernelILj128ELj10ELj32EdEEvi20rocsparse_direction_NS_24const_host_device_scalarIT2_EEPKiS6_PKS3_S8_S4_PS3_21rocsparse_index_base_b.num_agpr, 0
	.set _ZN9rocsparseL19gebsrmvn_1xn_kernelILj128ELj10ELj32EdEEvi20rocsparse_direction_NS_24const_host_device_scalarIT2_EEPKiS6_PKS3_S8_S4_PS3_21rocsparse_index_base_b.numbered_sgpr, 11
	.set _ZN9rocsparseL19gebsrmvn_1xn_kernelILj128ELj10ELj32EdEEvi20rocsparse_direction_NS_24const_host_device_scalarIT2_EEPKiS6_PKS3_S8_S4_PS3_21rocsparse_index_base_b.num_named_barrier, 0
	.set _ZN9rocsparseL19gebsrmvn_1xn_kernelILj128ELj10ELj32EdEEvi20rocsparse_direction_NS_24const_host_device_scalarIT2_EEPKiS6_PKS3_S8_S4_PS3_21rocsparse_index_base_b.private_seg_size, 0
	.set _ZN9rocsparseL19gebsrmvn_1xn_kernelILj128ELj10ELj32EdEEvi20rocsparse_direction_NS_24const_host_device_scalarIT2_EEPKiS6_PKS3_S8_S4_PS3_21rocsparse_index_base_b.uses_vcc, 1
	.set _ZN9rocsparseL19gebsrmvn_1xn_kernelILj128ELj10ELj32EdEEvi20rocsparse_direction_NS_24const_host_device_scalarIT2_EEPKiS6_PKS3_S8_S4_PS3_21rocsparse_index_base_b.uses_flat_scratch, 0
	.set _ZN9rocsparseL19gebsrmvn_1xn_kernelILj128ELj10ELj32EdEEvi20rocsparse_direction_NS_24const_host_device_scalarIT2_EEPKiS6_PKS3_S8_S4_PS3_21rocsparse_index_base_b.has_dyn_sized_stack, 0
	.set _ZN9rocsparseL19gebsrmvn_1xn_kernelILj128ELj10ELj32EdEEvi20rocsparse_direction_NS_24const_host_device_scalarIT2_EEPKiS6_PKS3_S8_S4_PS3_21rocsparse_index_base_b.has_recursion, 0
	.set _ZN9rocsparseL19gebsrmvn_1xn_kernelILj128ELj10ELj32EdEEvi20rocsparse_direction_NS_24const_host_device_scalarIT2_EEPKiS6_PKS3_S8_S4_PS3_21rocsparse_index_base_b.has_indirect_call, 0
	.section	.AMDGPU.csdata,"",@progbits
; Kernel info:
; codeLenInByte = 1384
; TotalNumSgprs: 13
; NumVgprs: 55
; ScratchSize: 0
; MemoryBound: 0
; FloatMode: 240
; IeeeMode: 1
; LDSByteSize: 0 bytes/workgroup (compile time only)
; SGPRBlocks: 0
; VGPRBlocks: 6
; NumSGPRsForWavesPerEU: 13
; NumVGPRsForWavesPerEU: 55
; Occupancy: 16
; WaveLimiterHint : 1
; COMPUTE_PGM_RSRC2:SCRATCH_EN: 0
; COMPUTE_PGM_RSRC2:USER_SGPR: 6
; COMPUTE_PGM_RSRC2:TRAP_HANDLER: 0
; COMPUTE_PGM_RSRC2:TGID_X_EN: 1
; COMPUTE_PGM_RSRC2:TGID_Y_EN: 0
; COMPUTE_PGM_RSRC2:TGID_Z_EN: 0
; COMPUTE_PGM_RSRC2:TIDIG_COMP_CNT: 0
	.section	.text._ZN9rocsparseL19gebsrmvn_1xn_kernelILj128ELj10ELj64EdEEvi20rocsparse_direction_NS_24const_host_device_scalarIT2_EEPKiS6_PKS3_S8_S4_PS3_21rocsparse_index_base_b,"axG",@progbits,_ZN9rocsparseL19gebsrmvn_1xn_kernelILj128ELj10ELj64EdEEvi20rocsparse_direction_NS_24const_host_device_scalarIT2_EEPKiS6_PKS3_S8_S4_PS3_21rocsparse_index_base_b,comdat
	.globl	_ZN9rocsparseL19gebsrmvn_1xn_kernelILj128ELj10ELj64EdEEvi20rocsparse_direction_NS_24const_host_device_scalarIT2_EEPKiS6_PKS3_S8_S4_PS3_21rocsparse_index_base_b ; -- Begin function _ZN9rocsparseL19gebsrmvn_1xn_kernelILj128ELj10ELj64EdEEvi20rocsparse_direction_NS_24const_host_device_scalarIT2_EEPKiS6_PKS3_S8_S4_PS3_21rocsparse_index_base_b
	.p2align	8
	.type	_ZN9rocsparseL19gebsrmvn_1xn_kernelILj128ELj10ELj64EdEEvi20rocsparse_direction_NS_24const_host_device_scalarIT2_EEPKiS6_PKS3_S8_S4_PS3_21rocsparse_index_base_b,@function
_ZN9rocsparseL19gebsrmvn_1xn_kernelILj128ELj10ELj64EdEEvi20rocsparse_direction_NS_24const_host_device_scalarIT2_EEPKiS6_PKS3_S8_S4_PS3_21rocsparse_index_base_b: ; @_ZN9rocsparseL19gebsrmvn_1xn_kernelILj128ELj10ELj64EdEEvi20rocsparse_direction_NS_24const_host_device_scalarIT2_EEPKiS6_PKS3_S8_S4_PS3_21rocsparse_index_base_b
; %bb.0:
	s_clause 0x2
	s_load_dwordx2 s[8:9], s[4:5], 0x40
	s_load_dwordx2 s[2:3], s[4:5], 0x8
	;; [unrolled: 1-line block ×3, first 2 shown]
	s_waitcnt lgkmcnt(0)
	s_bitcmp1_b32 s9, 0
	v_mov_b32_e32 v4, s3
	v_mov_b32_e32 v3, s2
	s_cselect_b32 s7, -1, 0
	s_and_b32 vcc_lo, exec_lo, s7
	s_xor_b32 s7, s7, -1
	s_cbranch_vccnz .LBB120_2
; %bb.1:
	v_mov_b32_e32 v1, s2
	v_mov_b32_e32 v2, s3
	flat_load_dwordx2 v[3:4], v[1:2]
.LBB120_2:
	v_mov_b32_e32 v2, s1
	v_mov_b32_e32 v1, s0
	s_andn2_b32 vcc_lo, exec_lo, s7
	s_cbranch_vccnz .LBB120_4
; %bb.3:
	v_mov_b32_e32 v2, s1
	v_mov_b32_e32 v1, s0
	flat_load_dwordx2 v[1:2], v[1:2]
.LBB120_4:
	s_waitcnt vmcnt(0) lgkmcnt(0)
	v_cmp_neq_f64_e32 vcc_lo, 0, v[3:4]
	v_cmp_neq_f64_e64 s0, 1.0, v[1:2]
	s_or_b32 s0, vcc_lo, s0
	s_and_saveexec_b32 s1, s0
	s_cbranch_execz .LBB120_15
; %bb.5:
	s_load_dword s0, s[4:5], 0x0
	v_lshrrev_b32_e32 v5, 6, v0
	v_lshl_or_b32 v5, s6, 1, v5
	s_waitcnt lgkmcnt(0)
	v_cmp_gt_i32_e32 vcc_lo, s0, v5
	s_and_b32 exec_lo, exec_lo, vcc_lo
	s_cbranch_execz .LBB120_15
; %bb.6:
	s_clause 0x1
	s_load_dwordx2 s[0:1], s[4:5], 0x10
	s_load_dwordx2 s[6:7], s[4:5], 0x38
	v_ashrrev_i32_e32 v6, 31, v5
	v_and_b32_e32 v0, 63, v0
	s_mov_b32 s9, exec_lo
	v_lshlrev_b64 v[7:8], 2, v[5:6]
	v_subrev_nc_u32_e32 v9, s8, v0
	s_waitcnt lgkmcnt(0)
	v_add_co_u32 v7, vcc_lo, s0, v7
	v_add_co_ci_u32_e64 v8, null, s1, v8, vcc_lo
	global_load_dwordx2 v[7:8], v[7:8], off
	s_waitcnt vmcnt(0)
	v_add_nc_u32_e32 v7, v7, v9
	v_mov_b32_e32 v9, 0
	v_subrev_nc_u32_e32 v14, s8, v8
	v_mov_b32_e32 v10, 0
	v_cmpx_lt_i32_e64 v7, v14
	s_cbranch_execz .LBB120_10
; %bb.7:
	s_clause 0x1
	s_load_dwordx4 s[0:3], s[4:5], 0x18
	s_load_dwordx2 s[4:5], s[4:5], 0x28
	v_mad_u64_u32 v[11:12], null, v7, 10, 9
	v_mov_b32_e32 v9, 0
	v_mov_b32_e32 v10, 0
	;; [unrolled: 1-line block ×3, first 2 shown]
	s_mov_b32 s10, 0
.LBB120_8:                              ; =>This Inner Loop Header: Depth=1
	v_ashrrev_i32_e32 v8, 31, v7
	v_add_nc_u32_e32 v12, -9, v11
	v_mov_b32_e32 v36, v13
	v_lshlrev_b64 v[15:16], 2, v[7:8]
	v_add_nc_u32_e32 v7, 64, v7
	s_waitcnt lgkmcnt(0)
	v_add_co_u32 v15, vcc_lo, s0, v15
	v_add_co_ci_u32_e64 v16, null, s1, v16, vcc_lo
	global_load_dword v8, v[15:16], off
	v_lshlrev_b64 v[15:16], 3, v[12:13]
	v_add_nc_u32_e32 v12, -7, v11
	v_lshlrev_b64 v[23:24], 3, v[12:13]
	v_add_co_u32 v15, vcc_lo, s2, v15
	v_add_co_ci_u32_e64 v16, null, s3, v16, vcc_lo
	s_waitcnt vmcnt(0)
	v_subrev_nc_u32_e32 v8, s8, v8
	v_mul_lo_u32 v35, v8, 10
	v_lshlrev_b64 v[17:18], 3, v[35:36]
	v_add_nc_u32_e32 v12, 2, v35
	v_lshlrev_b64 v[25:26], 3, v[12:13]
	v_add_co_u32 v19, vcc_lo, s4, v17
	v_add_co_ci_u32_e64 v20, null, s5, v18, vcc_lo
	v_add_co_u32 v23, vcc_lo, s2, v23
	global_load_dwordx4 v[15:18], v[15:16], off
	global_load_dwordx4 v[19:22], v[19:20], off
	v_add_co_ci_u32_e64 v24, null, s3, v24, vcc_lo
	v_add_co_u32 v25, vcc_lo, s4, v25
	v_add_co_ci_u32_e64 v26, null, s5, v26, vcc_lo
	global_load_dwordx2 v[39:40], v[23:24], off
	global_load_dwordx4 v[23:26], v[25:26], off
	v_add_nc_u32_e32 v12, -6, v11
	v_lshlrev_b64 v[27:28], 3, v[12:13]
	v_add_nc_u32_e32 v12, -5, v11
	v_add_co_u32 v27, vcc_lo, s2, v27
	v_add_co_ci_u32_e64 v28, null, s3, v28, vcc_lo
	global_load_dwordx2 v[41:42], v[27:28], off
	v_lshlrev_b64 v[27:28], 3, v[12:13]
	v_add_nc_u32_e32 v12, 4, v35
	v_lshlrev_b64 v[29:30], 3, v[12:13]
	v_add_co_u32 v27, vcc_lo, s2, v27
	v_add_co_ci_u32_e64 v28, null, s3, v28, vcc_lo
	v_add_nc_u32_e32 v12, -4, v11
	v_add_co_u32 v29, vcc_lo, s4, v29
	v_add_co_ci_u32_e64 v30, null, s5, v30, vcc_lo
	global_load_dwordx2 v[43:44], v[27:28], off
	global_load_dwordx4 v[27:30], v[29:30], off
	v_lshlrev_b64 v[31:32], 3, v[12:13]
	v_add_nc_u32_e32 v12, -3, v11
	v_add_co_u32 v31, vcc_lo, s2, v31
	v_add_co_ci_u32_e64 v32, null, s3, v32, vcc_lo
	global_load_dwordx2 v[45:46], v[31:32], off
	v_lshlrev_b64 v[31:32], 3, v[12:13]
	v_add_nc_u32_e32 v12, 6, v35
	v_lshlrev_b64 v[33:34], 3, v[12:13]
	v_add_co_u32 v31, vcc_lo, s2, v31
	v_add_co_ci_u32_e64 v32, null, s3, v32, vcc_lo
	v_add_nc_u32_e32 v12, -2, v11
	v_add_co_u32 v33, vcc_lo, s4, v33
	v_add_co_ci_u32_e64 v34, null, s5, v34, vcc_lo
	global_load_dwordx2 v[47:48], v[31:32], off
	global_load_dwordx4 v[31:34], v[33:34], off
	v_lshlrev_b64 v[36:37], 3, v[12:13]
	v_add_nc_u32_e32 v12, -1, v11
	v_add_co_u32 v36, vcc_lo, s2, v36
	v_add_co_ci_u32_e64 v37, null, s3, v37, vcc_lo
	global_load_dwordx2 v[49:50], v[36:37], off
	v_lshlrev_b64 v[36:37], 3, v[12:13]
	v_add_nc_u32_e32 v12, 8, v35
	v_lshlrev_b64 v[51:52], 3, v[12:13]
	v_add_co_u32 v35, vcc_lo, s2, v36
	v_add_co_ci_u32_e64 v36, null, s3, v37, vcc_lo
	v_mov_b32_e32 v12, v13
	v_add_co_u32 v37, vcc_lo, s4, v51
	v_add_co_ci_u32_e64 v38, null, s5, v52, vcc_lo
	global_load_dwordx2 v[51:52], v[35:36], off
	global_load_dwordx4 v[35:38], v[37:38], off
	v_lshlrev_b64 v[53:54], 3, v[11:12]
	v_add_nc_u32_e32 v11, 0x280, v11
	v_add_co_u32 v53, vcc_lo, s2, v53
	v_add_co_ci_u32_e64 v54, null, s3, v54, vcc_lo
	v_cmp_ge_i32_e32 vcc_lo, v7, v14
	global_load_dwordx2 v[53:54], v[53:54], off
	s_or_b32 s10, vcc_lo, s10
	s_waitcnt vmcnt(12)
	v_fma_f64 v[8:9], v[15:16], v[19:20], v[9:10]
	v_fma_f64 v[8:9], v[17:18], v[21:22], v[8:9]
	s_waitcnt vmcnt(10)
	v_fma_f64 v[8:9], v[39:40], v[23:24], v[8:9]
	s_waitcnt vmcnt(9)
	;; [unrolled: 2-line block ×8, first 2 shown]
	v_fma_f64 v[9:10], v[53:54], v[37:38], v[8:9]
	s_andn2_b32 exec_lo, exec_lo, s10
	s_cbranch_execnz .LBB120_8
; %bb.9:
	s_or_b32 exec_lo, exec_lo, s10
.LBB120_10:
	s_or_b32 exec_lo, exec_lo, s9
	v_mbcnt_lo_u32_b32 v11, -1, 0
	v_or_b32_e32 v7, 32, v11
	v_cmp_gt_i32_e32 vcc_lo, 32, v7
	v_cndmask_b32_e32 v7, v11, v7, vcc_lo
	v_lshlrev_b32_e32 v8, 2, v7
	ds_bpermute_b32 v7, v8, v9
	ds_bpermute_b32 v8, v8, v10
	s_waitcnt lgkmcnt(0)
	v_add_f64 v[7:8], v[9:10], v[7:8]
	v_xor_b32_e32 v9, 16, v11
	v_cmp_gt_i32_e32 vcc_lo, 32, v9
	v_cndmask_b32_e32 v9, v11, v9, vcc_lo
	v_lshlrev_b32_e32 v10, 2, v9
	ds_bpermute_b32 v9, v10, v7
	ds_bpermute_b32 v10, v10, v8
	s_waitcnt lgkmcnt(0)
	v_add_f64 v[7:8], v[7:8], v[9:10]
	v_xor_b32_e32 v9, 8, v11
	;; [unrolled: 8-line block ×5, first 2 shown]
	v_cmp_gt_i32_e32 vcc_lo, 32, v9
	v_cndmask_b32_e32 v9, v11, v9, vcc_lo
	v_cmp_eq_u32_e32 vcc_lo, 63, v0
	v_lshlrev_b32_e32 v10, 2, v9
	ds_bpermute_b32 v9, v10, v7
	ds_bpermute_b32 v10, v10, v8
	s_and_b32 exec_lo, exec_lo, vcc_lo
	s_cbranch_execz .LBB120_15
; %bb.11:
	s_waitcnt lgkmcnt(0)
	v_add_f64 v[7:8], v[7:8], v[9:10]
	v_lshlrev_b64 v[5:6], 3, v[5:6]
	s_mov_b32 s0, exec_lo
	v_mul_f64 v[3:4], v[3:4], v[7:8]
	v_cmpx_eq_f64_e32 0, v[1:2]
	s_xor_b32 s0, exec_lo, s0
	s_cbranch_execz .LBB120_13
; %bb.12:
	v_add_co_u32 v0, vcc_lo, s6, v5
	v_add_co_ci_u32_e64 v1, null, s7, v6, vcc_lo
                                        ; implicit-def: $vgpr5_vgpr6
	global_store_dwordx2 v[0:1], v[3:4], off
                                        ; implicit-def: $vgpr1_vgpr2
                                        ; implicit-def: $vgpr3_vgpr4
.LBB120_13:
	s_andn2_saveexec_b32 s0, s0
	s_cbranch_execz .LBB120_15
; %bb.14:
	v_add_co_u32 v5, vcc_lo, s6, v5
	v_add_co_ci_u32_e64 v6, null, s7, v6, vcc_lo
	global_load_dwordx2 v[7:8], v[5:6], off
	s_waitcnt vmcnt(0)
	v_fma_f64 v[0:1], v[1:2], v[7:8], v[3:4]
	global_store_dwordx2 v[5:6], v[0:1], off
.LBB120_15:
	s_endpgm
	.section	.rodata,"a",@progbits
	.p2align	6, 0x0
	.amdhsa_kernel _ZN9rocsparseL19gebsrmvn_1xn_kernelILj128ELj10ELj64EdEEvi20rocsparse_direction_NS_24const_host_device_scalarIT2_EEPKiS6_PKS3_S8_S4_PS3_21rocsparse_index_base_b
		.amdhsa_group_segment_fixed_size 0
		.amdhsa_private_segment_fixed_size 0
		.amdhsa_kernarg_size 72
		.amdhsa_user_sgpr_count 6
		.amdhsa_user_sgpr_private_segment_buffer 1
		.amdhsa_user_sgpr_dispatch_ptr 0
		.amdhsa_user_sgpr_queue_ptr 0
		.amdhsa_user_sgpr_kernarg_segment_ptr 1
		.amdhsa_user_sgpr_dispatch_id 0
		.amdhsa_user_sgpr_flat_scratch_init 0
		.amdhsa_user_sgpr_private_segment_size 0
		.amdhsa_wavefront_size32 1
		.amdhsa_uses_dynamic_stack 0
		.amdhsa_system_sgpr_private_segment_wavefront_offset 0
		.amdhsa_system_sgpr_workgroup_id_x 1
		.amdhsa_system_sgpr_workgroup_id_y 0
		.amdhsa_system_sgpr_workgroup_id_z 0
		.amdhsa_system_sgpr_workgroup_info 0
		.amdhsa_system_vgpr_workitem_id 0
		.amdhsa_next_free_vgpr 55
		.amdhsa_next_free_sgpr 11
		.amdhsa_reserve_vcc 1
		.amdhsa_reserve_flat_scratch 0
		.amdhsa_float_round_mode_32 0
		.amdhsa_float_round_mode_16_64 0
		.amdhsa_float_denorm_mode_32 3
		.amdhsa_float_denorm_mode_16_64 3
		.amdhsa_dx10_clamp 1
		.amdhsa_ieee_mode 1
		.amdhsa_fp16_overflow 0
		.amdhsa_workgroup_processor_mode 1
		.amdhsa_memory_ordered 1
		.amdhsa_forward_progress 1
		.amdhsa_shared_vgpr_count 0
		.amdhsa_exception_fp_ieee_invalid_op 0
		.amdhsa_exception_fp_denorm_src 0
		.amdhsa_exception_fp_ieee_div_zero 0
		.amdhsa_exception_fp_ieee_overflow 0
		.amdhsa_exception_fp_ieee_underflow 0
		.amdhsa_exception_fp_ieee_inexact 0
		.amdhsa_exception_int_div_zero 0
	.end_amdhsa_kernel
	.section	.text._ZN9rocsparseL19gebsrmvn_1xn_kernelILj128ELj10ELj64EdEEvi20rocsparse_direction_NS_24const_host_device_scalarIT2_EEPKiS6_PKS3_S8_S4_PS3_21rocsparse_index_base_b,"axG",@progbits,_ZN9rocsparseL19gebsrmvn_1xn_kernelILj128ELj10ELj64EdEEvi20rocsparse_direction_NS_24const_host_device_scalarIT2_EEPKiS6_PKS3_S8_S4_PS3_21rocsparse_index_base_b,comdat
.Lfunc_end120:
	.size	_ZN9rocsparseL19gebsrmvn_1xn_kernelILj128ELj10ELj64EdEEvi20rocsparse_direction_NS_24const_host_device_scalarIT2_EEPKiS6_PKS3_S8_S4_PS3_21rocsparse_index_base_b, .Lfunc_end120-_ZN9rocsparseL19gebsrmvn_1xn_kernelILj128ELj10ELj64EdEEvi20rocsparse_direction_NS_24const_host_device_scalarIT2_EEPKiS6_PKS3_S8_S4_PS3_21rocsparse_index_base_b
                                        ; -- End function
	.set _ZN9rocsparseL19gebsrmvn_1xn_kernelILj128ELj10ELj64EdEEvi20rocsparse_direction_NS_24const_host_device_scalarIT2_EEPKiS6_PKS3_S8_S4_PS3_21rocsparse_index_base_b.num_vgpr, 55
	.set _ZN9rocsparseL19gebsrmvn_1xn_kernelILj128ELj10ELj64EdEEvi20rocsparse_direction_NS_24const_host_device_scalarIT2_EEPKiS6_PKS3_S8_S4_PS3_21rocsparse_index_base_b.num_agpr, 0
	.set _ZN9rocsparseL19gebsrmvn_1xn_kernelILj128ELj10ELj64EdEEvi20rocsparse_direction_NS_24const_host_device_scalarIT2_EEPKiS6_PKS3_S8_S4_PS3_21rocsparse_index_base_b.numbered_sgpr, 11
	.set _ZN9rocsparseL19gebsrmvn_1xn_kernelILj128ELj10ELj64EdEEvi20rocsparse_direction_NS_24const_host_device_scalarIT2_EEPKiS6_PKS3_S8_S4_PS3_21rocsparse_index_base_b.num_named_barrier, 0
	.set _ZN9rocsparseL19gebsrmvn_1xn_kernelILj128ELj10ELj64EdEEvi20rocsparse_direction_NS_24const_host_device_scalarIT2_EEPKiS6_PKS3_S8_S4_PS3_21rocsparse_index_base_b.private_seg_size, 0
	.set _ZN9rocsparseL19gebsrmvn_1xn_kernelILj128ELj10ELj64EdEEvi20rocsparse_direction_NS_24const_host_device_scalarIT2_EEPKiS6_PKS3_S8_S4_PS3_21rocsparse_index_base_b.uses_vcc, 1
	.set _ZN9rocsparseL19gebsrmvn_1xn_kernelILj128ELj10ELj64EdEEvi20rocsparse_direction_NS_24const_host_device_scalarIT2_EEPKiS6_PKS3_S8_S4_PS3_21rocsparse_index_base_b.uses_flat_scratch, 0
	.set _ZN9rocsparseL19gebsrmvn_1xn_kernelILj128ELj10ELj64EdEEvi20rocsparse_direction_NS_24const_host_device_scalarIT2_EEPKiS6_PKS3_S8_S4_PS3_21rocsparse_index_base_b.has_dyn_sized_stack, 0
	.set _ZN9rocsparseL19gebsrmvn_1xn_kernelILj128ELj10ELj64EdEEvi20rocsparse_direction_NS_24const_host_device_scalarIT2_EEPKiS6_PKS3_S8_S4_PS3_21rocsparse_index_base_b.has_recursion, 0
	.set _ZN9rocsparseL19gebsrmvn_1xn_kernelILj128ELj10ELj64EdEEvi20rocsparse_direction_NS_24const_host_device_scalarIT2_EEPKiS6_PKS3_S8_S4_PS3_21rocsparse_index_base_b.has_indirect_call, 0
	.section	.AMDGPU.csdata,"",@progbits
; Kernel info:
; codeLenInByte = 1428
; TotalNumSgprs: 13
; NumVgprs: 55
; ScratchSize: 0
; MemoryBound: 0
; FloatMode: 240
; IeeeMode: 1
; LDSByteSize: 0 bytes/workgroup (compile time only)
; SGPRBlocks: 0
; VGPRBlocks: 6
; NumSGPRsForWavesPerEU: 13
; NumVGPRsForWavesPerEU: 55
; Occupancy: 16
; WaveLimiterHint : 1
; COMPUTE_PGM_RSRC2:SCRATCH_EN: 0
; COMPUTE_PGM_RSRC2:USER_SGPR: 6
; COMPUTE_PGM_RSRC2:TRAP_HANDLER: 0
; COMPUTE_PGM_RSRC2:TGID_X_EN: 1
; COMPUTE_PGM_RSRC2:TGID_Y_EN: 0
; COMPUTE_PGM_RSRC2:TGID_Z_EN: 0
; COMPUTE_PGM_RSRC2:TIDIG_COMP_CNT: 0
	.section	.text._ZN9rocsparseL19gebsrmvn_1xn_kernelILj128ELj11ELj4EdEEvi20rocsparse_direction_NS_24const_host_device_scalarIT2_EEPKiS6_PKS3_S8_S4_PS3_21rocsparse_index_base_b,"axG",@progbits,_ZN9rocsparseL19gebsrmvn_1xn_kernelILj128ELj11ELj4EdEEvi20rocsparse_direction_NS_24const_host_device_scalarIT2_EEPKiS6_PKS3_S8_S4_PS3_21rocsparse_index_base_b,comdat
	.globl	_ZN9rocsparseL19gebsrmvn_1xn_kernelILj128ELj11ELj4EdEEvi20rocsparse_direction_NS_24const_host_device_scalarIT2_EEPKiS6_PKS3_S8_S4_PS3_21rocsparse_index_base_b ; -- Begin function _ZN9rocsparseL19gebsrmvn_1xn_kernelILj128ELj11ELj4EdEEvi20rocsparse_direction_NS_24const_host_device_scalarIT2_EEPKiS6_PKS3_S8_S4_PS3_21rocsparse_index_base_b
	.p2align	8
	.type	_ZN9rocsparseL19gebsrmvn_1xn_kernelILj128ELj11ELj4EdEEvi20rocsparse_direction_NS_24const_host_device_scalarIT2_EEPKiS6_PKS3_S8_S4_PS3_21rocsparse_index_base_b,@function
_ZN9rocsparseL19gebsrmvn_1xn_kernelILj128ELj11ELj4EdEEvi20rocsparse_direction_NS_24const_host_device_scalarIT2_EEPKiS6_PKS3_S8_S4_PS3_21rocsparse_index_base_b: ; @_ZN9rocsparseL19gebsrmvn_1xn_kernelILj128ELj11ELj4EdEEvi20rocsparse_direction_NS_24const_host_device_scalarIT2_EEPKiS6_PKS3_S8_S4_PS3_21rocsparse_index_base_b
; %bb.0:
	s_clause 0x2
	s_load_dwordx2 s[12:13], s[4:5], 0x40
	s_load_dwordx2 s[2:3], s[4:5], 0x8
	s_load_dwordx2 s[0:1], s[4:5], 0x30
	s_waitcnt lgkmcnt(0)
	s_bitcmp1_b32 s13, 0
	v_mov_b32_e32 v4, s3
	v_mov_b32_e32 v3, s2
	s_cselect_b32 s7, -1, 0
	s_and_b32 vcc_lo, exec_lo, s7
	s_xor_b32 s7, s7, -1
	s_cbranch_vccnz .LBB121_2
; %bb.1:
	v_mov_b32_e32 v1, s2
	v_mov_b32_e32 v2, s3
	flat_load_dwordx2 v[3:4], v[1:2]
.LBB121_2:
	v_mov_b32_e32 v2, s1
	v_mov_b32_e32 v1, s0
	s_andn2_b32 vcc_lo, exec_lo, s7
	s_cbranch_vccnz .LBB121_4
; %bb.3:
	v_mov_b32_e32 v2, s1
	v_mov_b32_e32 v1, s0
	flat_load_dwordx2 v[1:2], v[1:2]
.LBB121_4:
	s_waitcnt vmcnt(0) lgkmcnt(0)
	v_cmp_neq_f64_e32 vcc_lo, 0, v[3:4]
	v_cmp_neq_f64_e64 s0, 1.0, v[1:2]
	s_or_b32 s0, vcc_lo, s0
	s_and_saveexec_b32 s1, s0
	s_cbranch_execz .LBB121_15
; %bb.5:
	s_load_dword s0, s[4:5], 0x0
	v_lshrrev_b32_e32 v5, 2, v0
	v_lshl_or_b32 v5, s6, 5, v5
	s_waitcnt lgkmcnt(0)
	v_cmp_gt_i32_e32 vcc_lo, s0, v5
	s_and_b32 exec_lo, exec_lo, vcc_lo
	s_cbranch_execz .LBB121_15
; %bb.6:
	s_clause 0x1
	s_load_dwordx2 s[0:1], s[4:5], 0x10
	s_load_dwordx2 s[2:3], s[4:5], 0x38
	v_ashrrev_i32_e32 v6, 31, v5
	v_and_b32_e32 v0, 3, v0
	v_lshlrev_b64 v[7:8], 2, v[5:6]
	v_subrev_nc_u32_e32 v9, s12, v0
	s_waitcnt lgkmcnt(0)
	v_add_co_u32 v7, vcc_lo, s0, v7
	v_add_co_ci_u32_e64 v8, null, s1, v8, vcc_lo
	s_mov_b32 s1, exec_lo
	global_load_dwordx2 v[7:8], v[7:8], off
	s_waitcnt vmcnt(0)
	v_add_nc_u32_e32 v7, v7, v9
	v_mov_b32_e32 v9, 0
	v_subrev_nc_u32_e32 v14, s12, v8
	v_mov_b32_e32 v10, 0
	v_cmpx_lt_i32_e64 v7, v14
	s_cbranch_execz .LBB121_10
; %bb.7:
	s_clause 0x1
	s_load_dwordx4 s[8:11], s[4:5], 0x18
	s_load_dwordx2 s[4:5], s[4:5], 0x28
	v_mad_u64_u32 v[11:12], null, v7, 11, 10
	v_mov_b32_e32 v9, 0
	v_mov_b32_e32 v10, 0
	v_mov_b32_e32 v13, 0
	s_mov_b32 s6, 0
.LBB121_8:                              ; =>This Inner Loop Header: Depth=1
	v_ashrrev_i32_e32 v8, 31, v7
	v_add_nc_u32_e32 v12, -10, v11
	v_lshlrev_b64 v[15:16], 2, v[7:8]
	v_lshlrev_b64 v[17:18], 3, v[12:13]
	v_add_nc_u32_e32 v12, -9, v11
	v_add_nc_u32_e32 v7, 4, v7
	s_waitcnt lgkmcnt(0)
	v_add_co_u32 v15, vcc_lo, s8, v15
	v_add_co_ci_u32_e64 v16, null, s9, v16, vcc_lo
	v_lshlrev_b64 v[19:20], 3, v[12:13]
	v_add_co_u32 v17, vcc_lo, s10, v17
	global_load_dword v8, v[15:16], off
	v_mov_b32_e32 v16, v13
	v_add_co_ci_u32_e64 v18, null, s11, v18, vcc_lo
	v_add_co_u32 v19, vcc_lo, s10, v19
	v_add_co_ci_u32_e64 v20, null, s11, v20, vcc_lo
	s_waitcnt vmcnt(0)
	v_subrev_nc_u32_e32 v8, s12, v8
	v_mul_lo_u32 v15, v8, 11
	v_lshlrev_b64 v[21:22], 3, v[15:16]
	v_add_nc_u32_e32 v12, 1, v15
	v_add_co_u32 v21, s0, s4, v21
	v_add_co_ci_u32_e64 v22, null, s5, v22, s0
	s_clause 0x1
	global_load_dwordx2 v[16:17], v[17:18], off
	global_load_dwordx2 v[18:19], v[19:20], off
	;; [unrolled: 1-line block ×3, first 2 shown]
	v_lshlrev_b64 v[22:23], 3, v[12:13]
	v_add_nc_u32_e32 v12, -8, v11
	v_lshlrev_b64 v[24:25], 3, v[12:13]
	v_add_co_u32 v22, vcc_lo, s4, v22
	v_add_co_ci_u32_e64 v23, null, s5, v23, vcc_lo
	v_add_nc_u32_e32 v12, 2, v15
	v_add_co_u32 v24, vcc_lo, s10, v24
	global_load_dwordx2 v[22:23], v[22:23], off
	v_add_co_ci_u32_e64 v25, null, s11, v25, vcc_lo
	v_lshlrev_b64 v[26:27], 3, v[12:13]
	v_add_nc_u32_e32 v12, -7, v11
	v_add_co_u32 v26, vcc_lo, s4, v26
	v_add_co_ci_u32_e64 v27, null, s5, v27, vcc_lo
	global_load_dwordx2 v[24:25], v[24:25], off
	global_load_dwordx2 v[26:27], v[26:27], off
	v_lshlrev_b64 v[28:29], 3, v[12:13]
	v_add_nc_u32_e32 v12, 3, v15
	v_lshlrev_b64 v[30:31], 3, v[12:13]
	v_add_co_u32 v28, vcc_lo, s10, v28
	v_add_co_ci_u32_e64 v29, null, s11, v29, vcc_lo
	v_add_nc_u32_e32 v12, -6, v11
	v_add_co_u32 v30, vcc_lo, s4, v30
	v_add_co_ci_u32_e64 v31, null, s5, v31, vcc_lo
	global_load_dwordx2 v[28:29], v[28:29], off
	global_load_dwordx2 v[30:31], v[30:31], off
	v_lshlrev_b64 v[32:33], 3, v[12:13]
	v_add_nc_u32_e32 v12, 4, v15
	v_lshlrev_b64 v[34:35], 3, v[12:13]
	v_add_co_u32 v32, vcc_lo, s10, v32
	v_add_co_ci_u32_e64 v33, null, s11, v33, vcc_lo
	;; [unrolled: 10-line block ×7, first 2 shown]
	v_mov_b32_e32 v12, v13
	v_add_co_u32 v54, vcc_lo, s4, v54
	v_add_co_ci_u32_e64 v55, null, s5, v55, vcc_lo
	global_load_dwordx2 v[52:53], v[52:53], off
	global_load_dwordx2 v[54:55], v[54:55], off
	v_lshlrev_b64 v[56:57], 3, v[11:12]
	v_add_nc_u32_e32 v12, 10, v15
	v_add_nc_u32_e32 v11, 44, v11
	v_lshlrev_b64 v[58:59], 3, v[12:13]
	v_add_co_u32 v56, vcc_lo, s10, v56
	v_add_co_ci_u32_e64 v57, null, s11, v57, vcc_lo
	v_add_co_u32 v58, vcc_lo, s4, v58
	v_add_co_ci_u32_e64 v59, null, s5, v59, vcc_lo
	global_load_dwordx2 v[56:57], v[56:57], off
	global_load_dwordx2 v[58:59], v[58:59], off
	v_cmp_ge_i32_e32 vcc_lo, v7, v14
	s_or_b32 s6, vcc_lo, s6
	s_waitcnt vmcnt(19)
	v_fma_f64 v[8:9], v[16:17], v[20:21], v[9:10]
	s_waitcnt vmcnt(18)
	v_fma_f64 v[8:9], v[18:19], v[22:23], v[8:9]
	;; [unrolled: 2-line block ×11, first 2 shown]
	s_andn2_b32 exec_lo, exec_lo, s6
	s_cbranch_execnz .LBB121_8
; %bb.9:
	s_or_b32 exec_lo, exec_lo, s6
.LBB121_10:
	s_or_b32 exec_lo, exec_lo, s1
	v_mbcnt_lo_u32_b32 v11, -1, 0
	v_xor_b32_e32 v7, 2, v11
	v_cmp_gt_i32_e32 vcc_lo, 32, v7
	v_cndmask_b32_e32 v7, v11, v7, vcc_lo
	v_lshlrev_b32_e32 v8, 2, v7
	ds_bpermute_b32 v7, v8, v9
	ds_bpermute_b32 v8, v8, v10
	s_waitcnt lgkmcnt(0)
	v_add_f64 v[7:8], v[9:10], v[7:8]
	v_xor_b32_e32 v9, 1, v11
	v_cmp_gt_i32_e32 vcc_lo, 32, v9
	v_cndmask_b32_e32 v9, v11, v9, vcc_lo
	v_cmp_eq_u32_e32 vcc_lo, 3, v0
	v_lshlrev_b32_e32 v10, 2, v9
	ds_bpermute_b32 v9, v10, v7
	ds_bpermute_b32 v10, v10, v8
	s_and_b32 exec_lo, exec_lo, vcc_lo
	s_cbranch_execz .LBB121_15
; %bb.11:
	s_waitcnt lgkmcnt(0)
	v_add_f64 v[7:8], v[7:8], v[9:10]
	v_lshlrev_b64 v[5:6], 3, v[5:6]
	s_mov_b32 s0, exec_lo
	v_mul_f64 v[3:4], v[3:4], v[7:8]
	v_cmpx_eq_f64_e32 0, v[1:2]
	s_xor_b32 s0, exec_lo, s0
	s_cbranch_execz .LBB121_13
; %bb.12:
	v_add_co_u32 v0, vcc_lo, s2, v5
	v_add_co_ci_u32_e64 v1, null, s3, v6, vcc_lo
                                        ; implicit-def: $vgpr5_vgpr6
	global_store_dwordx2 v[0:1], v[3:4], off
                                        ; implicit-def: $vgpr1_vgpr2
                                        ; implicit-def: $vgpr3_vgpr4
.LBB121_13:
	s_andn2_saveexec_b32 s0, s0
	s_cbranch_execz .LBB121_15
; %bb.14:
	v_add_co_u32 v5, vcc_lo, s2, v5
	v_add_co_ci_u32_e64 v6, null, s3, v6, vcc_lo
	global_load_dwordx2 v[7:8], v[5:6], off
	s_waitcnt vmcnt(0)
	v_fma_f64 v[0:1], v[1:2], v[7:8], v[3:4]
	global_store_dwordx2 v[5:6], v[0:1], off
.LBB121_15:
	s_endpgm
	.section	.rodata,"a",@progbits
	.p2align	6, 0x0
	.amdhsa_kernel _ZN9rocsparseL19gebsrmvn_1xn_kernelILj128ELj11ELj4EdEEvi20rocsparse_direction_NS_24const_host_device_scalarIT2_EEPKiS6_PKS3_S8_S4_PS3_21rocsparse_index_base_b
		.amdhsa_group_segment_fixed_size 0
		.amdhsa_private_segment_fixed_size 0
		.amdhsa_kernarg_size 72
		.amdhsa_user_sgpr_count 6
		.amdhsa_user_sgpr_private_segment_buffer 1
		.amdhsa_user_sgpr_dispatch_ptr 0
		.amdhsa_user_sgpr_queue_ptr 0
		.amdhsa_user_sgpr_kernarg_segment_ptr 1
		.amdhsa_user_sgpr_dispatch_id 0
		.amdhsa_user_sgpr_flat_scratch_init 0
		.amdhsa_user_sgpr_private_segment_size 0
		.amdhsa_wavefront_size32 1
		.amdhsa_uses_dynamic_stack 0
		.amdhsa_system_sgpr_private_segment_wavefront_offset 0
		.amdhsa_system_sgpr_workgroup_id_x 1
		.amdhsa_system_sgpr_workgroup_id_y 0
		.amdhsa_system_sgpr_workgroup_id_z 0
		.amdhsa_system_sgpr_workgroup_info 0
		.amdhsa_system_vgpr_workitem_id 0
		.amdhsa_next_free_vgpr 60
		.amdhsa_next_free_sgpr 14
		.amdhsa_reserve_vcc 1
		.amdhsa_reserve_flat_scratch 0
		.amdhsa_float_round_mode_32 0
		.amdhsa_float_round_mode_16_64 0
		.amdhsa_float_denorm_mode_32 3
		.amdhsa_float_denorm_mode_16_64 3
		.amdhsa_dx10_clamp 1
		.amdhsa_ieee_mode 1
		.amdhsa_fp16_overflow 0
		.amdhsa_workgroup_processor_mode 1
		.amdhsa_memory_ordered 1
		.amdhsa_forward_progress 1
		.amdhsa_shared_vgpr_count 0
		.amdhsa_exception_fp_ieee_invalid_op 0
		.amdhsa_exception_fp_denorm_src 0
		.amdhsa_exception_fp_ieee_div_zero 0
		.amdhsa_exception_fp_ieee_overflow 0
		.amdhsa_exception_fp_ieee_underflow 0
		.amdhsa_exception_fp_ieee_inexact 0
		.amdhsa_exception_int_div_zero 0
	.end_amdhsa_kernel
	.section	.text._ZN9rocsparseL19gebsrmvn_1xn_kernelILj128ELj11ELj4EdEEvi20rocsparse_direction_NS_24const_host_device_scalarIT2_EEPKiS6_PKS3_S8_S4_PS3_21rocsparse_index_base_b,"axG",@progbits,_ZN9rocsparseL19gebsrmvn_1xn_kernelILj128ELj11ELj4EdEEvi20rocsparse_direction_NS_24const_host_device_scalarIT2_EEPKiS6_PKS3_S8_S4_PS3_21rocsparse_index_base_b,comdat
.Lfunc_end121:
	.size	_ZN9rocsparseL19gebsrmvn_1xn_kernelILj128ELj11ELj4EdEEvi20rocsparse_direction_NS_24const_host_device_scalarIT2_EEPKiS6_PKS3_S8_S4_PS3_21rocsparse_index_base_b, .Lfunc_end121-_ZN9rocsparseL19gebsrmvn_1xn_kernelILj128ELj11ELj4EdEEvi20rocsparse_direction_NS_24const_host_device_scalarIT2_EEPKiS6_PKS3_S8_S4_PS3_21rocsparse_index_base_b
                                        ; -- End function
	.set _ZN9rocsparseL19gebsrmvn_1xn_kernelILj128ELj11ELj4EdEEvi20rocsparse_direction_NS_24const_host_device_scalarIT2_EEPKiS6_PKS3_S8_S4_PS3_21rocsparse_index_base_b.num_vgpr, 60
	.set _ZN9rocsparseL19gebsrmvn_1xn_kernelILj128ELj11ELj4EdEEvi20rocsparse_direction_NS_24const_host_device_scalarIT2_EEPKiS6_PKS3_S8_S4_PS3_21rocsparse_index_base_b.num_agpr, 0
	.set _ZN9rocsparseL19gebsrmvn_1xn_kernelILj128ELj11ELj4EdEEvi20rocsparse_direction_NS_24const_host_device_scalarIT2_EEPKiS6_PKS3_S8_S4_PS3_21rocsparse_index_base_b.numbered_sgpr, 14
	.set _ZN9rocsparseL19gebsrmvn_1xn_kernelILj128ELj11ELj4EdEEvi20rocsparse_direction_NS_24const_host_device_scalarIT2_EEPKiS6_PKS3_S8_S4_PS3_21rocsparse_index_base_b.num_named_barrier, 0
	.set _ZN9rocsparseL19gebsrmvn_1xn_kernelILj128ELj11ELj4EdEEvi20rocsparse_direction_NS_24const_host_device_scalarIT2_EEPKiS6_PKS3_S8_S4_PS3_21rocsparse_index_base_b.private_seg_size, 0
	.set _ZN9rocsparseL19gebsrmvn_1xn_kernelILj128ELj11ELj4EdEEvi20rocsparse_direction_NS_24const_host_device_scalarIT2_EEPKiS6_PKS3_S8_S4_PS3_21rocsparse_index_base_b.uses_vcc, 1
	.set _ZN9rocsparseL19gebsrmvn_1xn_kernelILj128ELj11ELj4EdEEvi20rocsparse_direction_NS_24const_host_device_scalarIT2_EEPKiS6_PKS3_S8_S4_PS3_21rocsparse_index_base_b.uses_flat_scratch, 0
	.set _ZN9rocsparseL19gebsrmvn_1xn_kernelILj128ELj11ELj4EdEEvi20rocsparse_direction_NS_24const_host_device_scalarIT2_EEPKiS6_PKS3_S8_S4_PS3_21rocsparse_index_base_b.has_dyn_sized_stack, 0
	.set _ZN9rocsparseL19gebsrmvn_1xn_kernelILj128ELj11ELj4EdEEvi20rocsparse_direction_NS_24const_host_device_scalarIT2_EEPKiS6_PKS3_S8_S4_PS3_21rocsparse_index_base_b.has_recursion, 0
	.set _ZN9rocsparseL19gebsrmvn_1xn_kernelILj128ELj11ELj4EdEEvi20rocsparse_direction_NS_24const_host_device_scalarIT2_EEPKiS6_PKS3_S8_S4_PS3_21rocsparse_index_base_b.has_indirect_call, 0
	.section	.AMDGPU.csdata,"",@progbits
; Kernel info:
; codeLenInByte = 1556
; TotalNumSgprs: 16
; NumVgprs: 60
; ScratchSize: 0
; MemoryBound: 0
; FloatMode: 240
; IeeeMode: 1
; LDSByteSize: 0 bytes/workgroup (compile time only)
; SGPRBlocks: 0
; VGPRBlocks: 7
; NumSGPRsForWavesPerEU: 16
; NumVGPRsForWavesPerEU: 60
; Occupancy: 16
; WaveLimiterHint : 1
; COMPUTE_PGM_RSRC2:SCRATCH_EN: 0
; COMPUTE_PGM_RSRC2:USER_SGPR: 6
; COMPUTE_PGM_RSRC2:TRAP_HANDLER: 0
; COMPUTE_PGM_RSRC2:TGID_X_EN: 1
; COMPUTE_PGM_RSRC2:TGID_Y_EN: 0
; COMPUTE_PGM_RSRC2:TGID_Z_EN: 0
; COMPUTE_PGM_RSRC2:TIDIG_COMP_CNT: 0
	.section	.text._ZN9rocsparseL19gebsrmvn_1xn_kernelILj128ELj11ELj8EdEEvi20rocsparse_direction_NS_24const_host_device_scalarIT2_EEPKiS6_PKS3_S8_S4_PS3_21rocsparse_index_base_b,"axG",@progbits,_ZN9rocsparseL19gebsrmvn_1xn_kernelILj128ELj11ELj8EdEEvi20rocsparse_direction_NS_24const_host_device_scalarIT2_EEPKiS6_PKS3_S8_S4_PS3_21rocsparse_index_base_b,comdat
	.globl	_ZN9rocsparseL19gebsrmvn_1xn_kernelILj128ELj11ELj8EdEEvi20rocsparse_direction_NS_24const_host_device_scalarIT2_EEPKiS6_PKS3_S8_S4_PS3_21rocsparse_index_base_b ; -- Begin function _ZN9rocsparseL19gebsrmvn_1xn_kernelILj128ELj11ELj8EdEEvi20rocsparse_direction_NS_24const_host_device_scalarIT2_EEPKiS6_PKS3_S8_S4_PS3_21rocsparse_index_base_b
	.p2align	8
	.type	_ZN9rocsparseL19gebsrmvn_1xn_kernelILj128ELj11ELj8EdEEvi20rocsparse_direction_NS_24const_host_device_scalarIT2_EEPKiS6_PKS3_S8_S4_PS3_21rocsparse_index_base_b,@function
_ZN9rocsparseL19gebsrmvn_1xn_kernelILj128ELj11ELj8EdEEvi20rocsparse_direction_NS_24const_host_device_scalarIT2_EEPKiS6_PKS3_S8_S4_PS3_21rocsparse_index_base_b: ; @_ZN9rocsparseL19gebsrmvn_1xn_kernelILj128ELj11ELj8EdEEvi20rocsparse_direction_NS_24const_host_device_scalarIT2_EEPKiS6_PKS3_S8_S4_PS3_21rocsparse_index_base_b
; %bb.0:
	s_clause 0x2
	s_load_dwordx2 s[12:13], s[4:5], 0x40
	s_load_dwordx2 s[2:3], s[4:5], 0x8
	;; [unrolled: 1-line block ×3, first 2 shown]
	s_waitcnt lgkmcnt(0)
	s_bitcmp1_b32 s13, 0
	v_mov_b32_e32 v4, s3
	v_mov_b32_e32 v3, s2
	s_cselect_b32 s7, -1, 0
	s_and_b32 vcc_lo, exec_lo, s7
	s_xor_b32 s7, s7, -1
	s_cbranch_vccnz .LBB122_2
; %bb.1:
	v_mov_b32_e32 v1, s2
	v_mov_b32_e32 v2, s3
	flat_load_dwordx2 v[3:4], v[1:2]
.LBB122_2:
	v_mov_b32_e32 v2, s1
	v_mov_b32_e32 v1, s0
	s_andn2_b32 vcc_lo, exec_lo, s7
	s_cbranch_vccnz .LBB122_4
; %bb.3:
	v_mov_b32_e32 v2, s1
	v_mov_b32_e32 v1, s0
	flat_load_dwordx2 v[1:2], v[1:2]
.LBB122_4:
	s_waitcnt vmcnt(0) lgkmcnt(0)
	v_cmp_neq_f64_e32 vcc_lo, 0, v[3:4]
	v_cmp_neq_f64_e64 s0, 1.0, v[1:2]
	s_or_b32 s0, vcc_lo, s0
	s_and_saveexec_b32 s1, s0
	s_cbranch_execz .LBB122_15
; %bb.5:
	s_load_dword s0, s[4:5], 0x0
	v_lshrrev_b32_e32 v5, 3, v0
	v_lshl_or_b32 v5, s6, 4, v5
	s_waitcnt lgkmcnt(0)
	v_cmp_gt_i32_e32 vcc_lo, s0, v5
	s_and_b32 exec_lo, exec_lo, vcc_lo
	s_cbranch_execz .LBB122_15
; %bb.6:
	s_clause 0x1
	s_load_dwordx2 s[0:1], s[4:5], 0x10
	s_load_dwordx2 s[2:3], s[4:5], 0x38
	v_ashrrev_i32_e32 v6, 31, v5
	v_and_b32_e32 v0, 7, v0
	v_lshlrev_b64 v[7:8], 2, v[5:6]
	v_subrev_nc_u32_e32 v9, s12, v0
	s_waitcnt lgkmcnt(0)
	v_add_co_u32 v7, vcc_lo, s0, v7
	v_add_co_ci_u32_e64 v8, null, s1, v8, vcc_lo
	s_mov_b32 s1, exec_lo
	global_load_dwordx2 v[7:8], v[7:8], off
	s_waitcnt vmcnt(0)
	v_add_nc_u32_e32 v7, v7, v9
	v_mov_b32_e32 v9, 0
	v_subrev_nc_u32_e32 v14, s12, v8
	v_mov_b32_e32 v10, 0
	v_cmpx_lt_i32_e64 v7, v14
	s_cbranch_execz .LBB122_10
; %bb.7:
	s_clause 0x1
	s_load_dwordx4 s[8:11], s[4:5], 0x18
	s_load_dwordx2 s[4:5], s[4:5], 0x28
	v_mad_u64_u32 v[11:12], null, v7, 11, 10
	v_mov_b32_e32 v9, 0
	v_mov_b32_e32 v10, 0
	;; [unrolled: 1-line block ×3, first 2 shown]
	s_mov_b32 s6, 0
.LBB122_8:                              ; =>This Inner Loop Header: Depth=1
	v_ashrrev_i32_e32 v8, 31, v7
	v_add_nc_u32_e32 v12, -10, v11
	v_lshlrev_b64 v[15:16], 2, v[7:8]
	v_lshlrev_b64 v[17:18], 3, v[12:13]
	v_add_nc_u32_e32 v12, -9, v11
	v_add_nc_u32_e32 v7, 8, v7
	s_waitcnt lgkmcnt(0)
	v_add_co_u32 v15, vcc_lo, s8, v15
	v_add_co_ci_u32_e64 v16, null, s9, v16, vcc_lo
	v_lshlrev_b64 v[19:20], 3, v[12:13]
	v_add_co_u32 v17, vcc_lo, s10, v17
	global_load_dword v8, v[15:16], off
	v_mov_b32_e32 v16, v13
	v_add_co_ci_u32_e64 v18, null, s11, v18, vcc_lo
	v_add_co_u32 v19, vcc_lo, s10, v19
	v_add_co_ci_u32_e64 v20, null, s11, v20, vcc_lo
	s_waitcnt vmcnt(0)
	v_subrev_nc_u32_e32 v8, s12, v8
	v_mul_lo_u32 v15, v8, 11
	v_lshlrev_b64 v[21:22], 3, v[15:16]
	v_add_nc_u32_e32 v12, 1, v15
	v_add_co_u32 v21, s0, s4, v21
	v_add_co_ci_u32_e64 v22, null, s5, v22, s0
	s_clause 0x1
	global_load_dwordx2 v[16:17], v[17:18], off
	global_load_dwordx2 v[18:19], v[19:20], off
	;; [unrolled: 1-line block ×3, first 2 shown]
	v_lshlrev_b64 v[22:23], 3, v[12:13]
	v_add_nc_u32_e32 v12, -8, v11
	v_lshlrev_b64 v[24:25], 3, v[12:13]
	v_add_co_u32 v22, vcc_lo, s4, v22
	v_add_co_ci_u32_e64 v23, null, s5, v23, vcc_lo
	v_add_nc_u32_e32 v12, 2, v15
	v_add_co_u32 v24, vcc_lo, s10, v24
	global_load_dwordx2 v[22:23], v[22:23], off
	v_add_co_ci_u32_e64 v25, null, s11, v25, vcc_lo
	v_lshlrev_b64 v[26:27], 3, v[12:13]
	v_add_nc_u32_e32 v12, -7, v11
	v_add_co_u32 v26, vcc_lo, s4, v26
	v_add_co_ci_u32_e64 v27, null, s5, v27, vcc_lo
	global_load_dwordx2 v[24:25], v[24:25], off
	global_load_dwordx2 v[26:27], v[26:27], off
	v_lshlrev_b64 v[28:29], 3, v[12:13]
	v_add_nc_u32_e32 v12, 3, v15
	v_lshlrev_b64 v[30:31], 3, v[12:13]
	v_add_co_u32 v28, vcc_lo, s10, v28
	v_add_co_ci_u32_e64 v29, null, s11, v29, vcc_lo
	v_add_nc_u32_e32 v12, -6, v11
	v_add_co_u32 v30, vcc_lo, s4, v30
	v_add_co_ci_u32_e64 v31, null, s5, v31, vcc_lo
	global_load_dwordx2 v[28:29], v[28:29], off
	global_load_dwordx2 v[30:31], v[30:31], off
	v_lshlrev_b64 v[32:33], 3, v[12:13]
	v_add_nc_u32_e32 v12, 4, v15
	v_lshlrev_b64 v[34:35], 3, v[12:13]
	v_add_co_u32 v32, vcc_lo, s10, v32
	v_add_co_ci_u32_e64 v33, null, s11, v33, vcc_lo
	;; [unrolled: 10-line block ×7, first 2 shown]
	v_mov_b32_e32 v12, v13
	v_add_co_u32 v54, vcc_lo, s4, v54
	v_add_co_ci_u32_e64 v55, null, s5, v55, vcc_lo
	global_load_dwordx2 v[52:53], v[52:53], off
	global_load_dwordx2 v[54:55], v[54:55], off
	v_lshlrev_b64 v[56:57], 3, v[11:12]
	v_add_nc_u32_e32 v12, 10, v15
	v_add_nc_u32_e32 v11, 0x58, v11
	v_lshlrev_b64 v[58:59], 3, v[12:13]
	v_add_co_u32 v56, vcc_lo, s10, v56
	v_add_co_ci_u32_e64 v57, null, s11, v57, vcc_lo
	v_add_co_u32 v58, vcc_lo, s4, v58
	v_add_co_ci_u32_e64 v59, null, s5, v59, vcc_lo
	global_load_dwordx2 v[56:57], v[56:57], off
	global_load_dwordx2 v[58:59], v[58:59], off
	v_cmp_ge_i32_e32 vcc_lo, v7, v14
	s_or_b32 s6, vcc_lo, s6
	s_waitcnt vmcnt(19)
	v_fma_f64 v[8:9], v[16:17], v[20:21], v[9:10]
	s_waitcnt vmcnt(18)
	v_fma_f64 v[8:9], v[18:19], v[22:23], v[8:9]
	;; [unrolled: 2-line block ×11, first 2 shown]
	s_andn2_b32 exec_lo, exec_lo, s6
	s_cbranch_execnz .LBB122_8
; %bb.9:
	s_or_b32 exec_lo, exec_lo, s6
.LBB122_10:
	s_or_b32 exec_lo, exec_lo, s1
	v_mbcnt_lo_u32_b32 v11, -1, 0
	v_xor_b32_e32 v7, 4, v11
	v_cmp_gt_i32_e32 vcc_lo, 32, v7
	v_cndmask_b32_e32 v7, v11, v7, vcc_lo
	v_lshlrev_b32_e32 v8, 2, v7
	ds_bpermute_b32 v7, v8, v9
	ds_bpermute_b32 v8, v8, v10
	s_waitcnt lgkmcnt(0)
	v_add_f64 v[7:8], v[9:10], v[7:8]
	v_xor_b32_e32 v9, 2, v11
	v_cmp_gt_i32_e32 vcc_lo, 32, v9
	v_cndmask_b32_e32 v9, v11, v9, vcc_lo
	v_lshlrev_b32_e32 v10, 2, v9
	ds_bpermute_b32 v9, v10, v7
	ds_bpermute_b32 v10, v10, v8
	s_waitcnt lgkmcnt(0)
	v_add_f64 v[7:8], v[7:8], v[9:10]
	v_xor_b32_e32 v9, 1, v11
	v_cmp_gt_i32_e32 vcc_lo, 32, v9
	v_cndmask_b32_e32 v9, v11, v9, vcc_lo
	v_cmp_eq_u32_e32 vcc_lo, 7, v0
	v_lshlrev_b32_e32 v10, 2, v9
	ds_bpermute_b32 v9, v10, v7
	ds_bpermute_b32 v10, v10, v8
	s_and_b32 exec_lo, exec_lo, vcc_lo
	s_cbranch_execz .LBB122_15
; %bb.11:
	s_waitcnt lgkmcnt(0)
	v_add_f64 v[7:8], v[7:8], v[9:10]
	v_lshlrev_b64 v[5:6], 3, v[5:6]
	s_mov_b32 s0, exec_lo
	v_mul_f64 v[3:4], v[3:4], v[7:8]
	v_cmpx_eq_f64_e32 0, v[1:2]
	s_xor_b32 s0, exec_lo, s0
	s_cbranch_execz .LBB122_13
; %bb.12:
	v_add_co_u32 v0, vcc_lo, s2, v5
	v_add_co_ci_u32_e64 v1, null, s3, v6, vcc_lo
                                        ; implicit-def: $vgpr5_vgpr6
	global_store_dwordx2 v[0:1], v[3:4], off
                                        ; implicit-def: $vgpr1_vgpr2
                                        ; implicit-def: $vgpr3_vgpr4
.LBB122_13:
	s_andn2_saveexec_b32 s0, s0
	s_cbranch_execz .LBB122_15
; %bb.14:
	v_add_co_u32 v5, vcc_lo, s2, v5
	v_add_co_ci_u32_e64 v6, null, s3, v6, vcc_lo
	global_load_dwordx2 v[7:8], v[5:6], off
	s_waitcnt vmcnt(0)
	v_fma_f64 v[0:1], v[1:2], v[7:8], v[3:4]
	global_store_dwordx2 v[5:6], v[0:1], off
.LBB122_15:
	s_endpgm
	.section	.rodata,"a",@progbits
	.p2align	6, 0x0
	.amdhsa_kernel _ZN9rocsparseL19gebsrmvn_1xn_kernelILj128ELj11ELj8EdEEvi20rocsparse_direction_NS_24const_host_device_scalarIT2_EEPKiS6_PKS3_S8_S4_PS3_21rocsparse_index_base_b
		.amdhsa_group_segment_fixed_size 0
		.amdhsa_private_segment_fixed_size 0
		.amdhsa_kernarg_size 72
		.amdhsa_user_sgpr_count 6
		.amdhsa_user_sgpr_private_segment_buffer 1
		.amdhsa_user_sgpr_dispatch_ptr 0
		.amdhsa_user_sgpr_queue_ptr 0
		.amdhsa_user_sgpr_kernarg_segment_ptr 1
		.amdhsa_user_sgpr_dispatch_id 0
		.amdhsa_user_sgpr_flat_scratch_init 0
		.amdhsa_user_sgpr_private_segment_size 0
		.amdhsa_wavefront_size32 1
		.amdhsa_uses_dynamic_stack 0
		.amdhsa_system_sgpr_private_segment_wavefront_offset 0
		.amdhsa_system_sgpr_workgroup_id_x 1
		.amdhsa_system_sgpr_workgroup_id_y 0
		.amdhsa_system_sgpr_workgroup_id_z 0
		.amdhsa_system_sgpr_workgroup_info 0
		.amdhsa_system_vgpr_workitem_id 0
		.amdhsa_next_free_vgpr 60
		.amdhsa_next_free_sgpr 14
		.amdhsa_reserve_vcc 1
		.amdhsa_reserve_flat_scratch 0
		.amdhsa_float_round_mode_32 0
		.amdhsa_float_round_mode_16_64 0
		.amdhsa_float_denorm_mode_32 3
		.amdhsa_float_denorm_mode_16_64 3
		.amdhsa_dx10_clamp 1
		.amdhsa_ieee_mode 1
		.amdhsa_fp16_overflow 0
		.amdhsa_workgroup_processor_mode 1
		.amdhsa_memory_ordered 1
		.amdhsa_forward_progress 1
		.amdhsa_shared_vgpr_count 0
		.amdhsa_exception_fp_ieee_invalid_op 0
		.amdhsa_exception_fp_denorm_src 0
		.amdhsa_exception_fp_ieee_div_zero 0
		.amdhsa_exception_fp_ieee_overflow 0
		.amdhsa_exception_fp_ieee_underflow 0
		.amdhsa_exception_fp_ieee_inexact 0
		.amdhsa_exception_int_div_zero 0
	.end_amdhsa_kernel
	.section	.text._ZN9rocsparseL19gebsrmvn_1xn_kernelILj128ELj11ELj8EdEEvi20rocsparse_direction_NS_24const_host_device_scalarIT2_EEPKiS6_PKS3_S8_S4_PS3_21rocsparse_index_base_b,"axG",@progbits,_ZN9rocsparseL19gebsrmvn_1xn_kernelILj128ELj11ELj8EdEEvi20rocsparse_direction_NS_24const_host_device_scalarIT2_EEPKiS6_PKS3_S8_S4_PS3_21rocsparse_index_base_b,comdat
.Lfunc_end122:
	.size	_ZN9rocsparseL19gebsrmvn_1xn_kernelILj128ELj11ELj8EdEEvi20rocsparse_direction_NS_24const_host_device_scalarIT2_EEPKiS6_PKS3_S8_S4_PS3_21rocsparse_index_base_b, .Lfunc_end122-_ZN9rocsparseL19gebsrmvn_1xn_kernelILj128ELj11ELj8EdEEvi20rocsparse_direction_NS_24const_host_device_scalarIT2_EEPKiS6_PKS3_S8_S4_PS3_21rocsparse_index_base_b
                                        ; -- End function
	.set _ZN9rocsparseL19gebsrmvn_1xn_kernelILj128ELj11ELj8EdEEvi20rocsparse_direction_NS_24const_host_device_scalarIT2_EEPKiS6_PKS3_S8_S4_PS3_21rocsparse_index_base_b.num_vgpr, 60
	.set _ZN9rocsparseL19gebsrmvn_1xn_kernelILj128ELj11ELj8EdEEvi20rocsparse_direction_NS_24const_host_device_scalarIT2_EEPKiS6_PKS3_S8_S4_PS3_21rocsparse_index_base_b.num_agpr, 0
	.set _ZN9rocsparseL19gebsrmvn_1xn_kernelILj128ELj11ELj8EdEEvi20rocsparse_direction_NS_24const_host_device_scalarIT2_EEPKiS6_PKS3_S8_S4_PS3_21rocsparse_index_base_b.numbered_sgpr, 14
	.set _ZN9rocsparseL19gebsrmvn_1xn_kernelILj128ELj11ELj8EdEEvi20rocsparse_direction_NS_24const_host_device_scalarIT2_EEPKiS6_PKS3_S8_S4_PS3_21rocsparse_index_base_b.num_named_barrier, 0
	.set _ZN9rocsparseL19gebsrmvn_1xn_kernelILj128ELj11ELj8EdEEvi20rocsparse_direction_NS_24const_host_device_scalarIT2_EEPKiS6_PKS3_S8_S4_PS3_21rocsparse_index_base_b.private_seg_size, 0
	.set _ZN9rocsparseL19gebsrmvn_1xn_kernelILj128ELj11ELj8EdEEvi20rocsparse_direction_NS_24const_host_device_scalarIT2_EEPKiS6_PKS3_S8_S4_PS3_21rocsparse_index_base_b.uses_vcc, 1
	.set _ZN9rocsparseL19gebsrmvn_1xn_kernelILj128ELj11ELj8EdEEvi20rocsparse_direction_NS_24const_host_device_scalarIT2_EEPKiS6_PKS3_S8_S4_PS3_21rocsparse_index_base_b.uses_flat_scratch, 0
	.set _ZN9rocsparseL19gebsrmvn_1xn_kernelILj128ELj11ELj8EdEEvi20rocsparse_direction_NS_24const_host_device_scalarIT2_EEPKiS6_PKS3_S8_S4_PS3_21rocsparse_index_base_b.has_dyn_sized_stack, 0
	.set _ZN9rocsparseL19gebsrmvn_1xn_kernelILj128ELj11ELj8EdEEvi20rocsparse_direction_NS_24const_host_device_scalarIT2_EEPKiS6_PKS3_S8_S4_PS3_21rocsparse_index_base_b.has_recursion, 0
	.set _ZN9rocsparseL19gebsrmvn_1xn_kernelILj128ELj11ELj8EdEEvi20rocsparse_direction_NS_24const_host_device_scalarIT2_EEPKiS6_PKS3_S8_S4_PS3_21rocsparse_index_base_b.has_indirect_call, 0
	.section	.AMDGPU.csdata,"",@progbits
; Kernel info:
; codeLenInByte = 1604
; TotalNumSgprs: 16
; NumVgprs: 60
; ScratchSize: 0
; MemoryBound: 0
; FloatMode: 240
; IeeeMode: 1
; LDSByteSize: 0 bytes/workgroup (compile time only)
; SGPRBlocks: 0
; VGPRBlocks: 7
; NumSGPRsForWavesPerEU: 16
; NumVGPRsForWavesPerEU: 60
; Occupancy: 16
; WaveLimiterHint : 1
; COMPUTE_PGM_RSRC2:SCRATCH_EN: 0
; COMPUTE_PGM_RSRC2:USER_SGPR: 6
; COMPUTE_PGM_RSRC2:TRAP_HANDLER: 0
; COMPUTE_PGM_RSRC2:TGID_X_EN: 1
; COMPUTE_PGM_RSRC2:TGID_Y_EN: 0
; COMPUTE_PGM_RSRC2:TGID_Z_EN: 0
; COMPUTE_PGM_RSRC2:TIDIG_COMP_CNT: 0
	.section	.text._ZN9rocsparseL19gebsrmvn_1xn_kernelILj128ELj11ELj16EdEEvi20rocsparse_direction_NS_24const_host_device_scalarIT2_EEPKiS6_PKS3_S8_S4_PS3_21rocsparse_index_base_b,"axG",@progbits,_ZN9rocsparseL19gebsrmvn_1xn_kernelILj128ELj11ELj16EdEEvi20rocsparse_direction_NS_24const_host_device_scalarIT2_EEPKiS6_PKS3_S8_S4_PS3_21rocsparse_index_base_b,comdat
	.globl	_ZN9rocsparseL19gebsrmvn_1xn_kernelILj128ELj11ELj16EdEEvi20rocsparse_direction_NS_24const_host_device_scalarIT2_EEPKiS6_PKS3_S8_S4_PS3_21rocsparse_index_base_b ; -- Begin function _ZN9rocsparseL19gebsrmvn_1xn_kernelILj128ELj11ELj16EdEEvi20rocsparse_direction_NS_24const_host_device_scalarIT2_EEPKiS6_PKS3_S8_S4_PS3_21rocsparse_index_base_b
	.p2align	8
	.type	_ZN9rocsparseL19gebsrmvn_1xn_kernelILj128ELj11ELj16EdEEvi20rocsparse_direction_NS_24const_host_device_scalarIT2_EEPKiS6_PKS3_S8_S4_PS3_21rocsparse_index_base_b,@function
_ZN9rocsparseL19gebsrmvn_1xn_kernelILj128ELj11ELj16EdEEvi20rocsparse_direction_NS_24const_host_device_scalarIT2_EEPKiS6_PKS3_S8_S4_PS3_21rocsparse_index_base_b: ; @_ZN9rocsparseL19gebsrmvn_1xn_kernelILj128ELj11ELj16EdEEvi20rocsparse_direction_NS_24const_host_device_scalarIT2_EEPKiS6_PKS3_S8_S4_PS3_21rocsparse_index_base_b
; %bb.0:
	s_clause 0x2
	s_load_dwordx2 s[12:13], s[4:5], 0x40
	s_load_dwordx2 s[2:3], s[4:5], 0x8
	;; [unrolled: 1-line block ×3, first 2 shown]
	s_waitcnt lgkmcnt(0)
	s_bitcmp1_b32 s13, 0
	v_mov_b32_e32 v4, s3
	v_mov_b32_e32 v3, s2
	s_cselect_b32 s7, -1, 0
	s_and_b32 vcc_lo, exec_lo, s7
	s_xor_b32 s7, s7, -1
	s_cbranch_vccnz .LBB123_2
; %bb.1:
	v_mov_b32_e32 v1, s2
	v_mov_b32_e32 v2, s3
	flat_load_dwordx2 v[3:4], v[1:2]
.LBB123_2:
	v_mov_b32_e32 v2, s1
	v_mov_b32_e32 v1, s0
	s_andn2_b32 vcc_lo, exec_lo, s7
	s_cbranch_vccnz .LBB123_4
; %bb.3:
	v_mov_b32_e32 v2, s1
	v_mov_b32_e32 v1, s0
	flat_load_dwordx2 v[1:2], v[1:2]
.LBB123_4:
	s_waitcnt vmcnt(0) lgkmcnt(0)
	v_cmp_neq_f64_e32 vcc_lo, 0, v[3:4]
	v_cmp_neq_f64_e64 s0, 1.0, v[1:2]
	s_or_b32 s0, vcc_lo, s0
	s_and_saveexec_b32 s1, s0
	s_cbranch_execz .LBB123_15
; %bb.5:
	s_load_dword s0, s[4:5], 0x0
	v_lshrrev_b32_e32 v5, 4, v0
	v_lshl_or_b32 v5, s6, 3, v5
	s_waitcnt lgkmcnt(0)
	v_cmp_gt_i32_e32 vcc_lo, s0, v5
	s_and_b32 exec_lo, exec_lo, vcc_lo
	s_cbranch_execz .LBB123_15
; %bb.6:
	s_clause 0x1
	s_load_dwordx2 s[0:1], s[4:5], 0x10
	s_load_dwordx2 s[2:3], s[4:5], 0x38
	v_ashrrev_i32_e32 v6, 31, v5
	v_and_b32_e32 v0, 15, v0
	v_lshlrev_b64 v[7:8], 2, v[5:6]
	v_subrev_nc_u32_e32 v9, s12, v0
	s_waitcnt lgkmcnt(0)
	v_add_co_u32 v7, vcc_lo, s0, v7
	v_add_co_ci_u32_e64 v8, null, s1, v8, vcc_lo
	s_mov_b32 s1, exec_lo
	global_load_dwordx2 v[7:8], v[7:8], off
	s_waitcnt vmcnt(0)
	v_add_nc_u32_e32 v7, v7, v9
	v_mov_b32_e32 v9, 0
	v_subrev_nc_u32_e32 v14, s12, v8
	v_mov_b32_e32 v10, 0
	v_cmpx_lt_i32_e64 v7, v14
	s_cbranch_execz .LBB123_10
; %bb.7:
	s_clause 0x1
	s_load_dwordx4 s[8:11], s[4:5], 0x18
	s_load_dwordx2 s[4:5], s[4:5], 0x28
	v_mad_u64_u32 v[11:12], null, v7, 11, 10
	v_mov_b32_e32 v9, 0
	v_mov_b32_e32 v10, 0
	;; [unrolled: 1-line block ×3, first 2 shown]
	s_mov_b32 s6, 0
.LBB123_8:                              ; =>This Inner Loop Header: Depth=1
	v_ashrrev_i32_e32 v8, 31, v7
	v_add_nc_u32_e32 v12, -10, v11
	v_lshlrev_b64 v[15:16], 2, v[7:8]
	v_lshlrev_b64 v[17:18], 3, v[12:13]
	v_add_nc_u32_e32 v12, -9, v11
	v_add_nc_u32_e32 v7, 16, v7
	s_waitcnt lgkmcnt(0)
	v_add_co_u32 v15, vcc_lo, s8, v15
	v_add_co_ci_u32_e64 v16, null, s9, v16, vcc_lo
	v_lshlrev_b64 v[19:20], 3, v[12:13]
	v_add_co_u32 v17, vcc_lo, s10, v17
	global_load_dword v8, v[15:16], off
	v_mov_b32_e32 v16, v13
	v_add_co_ci_u32_e64 v18, null, s11, v18, vcc_lo
	v_add_co_u32 v19, vcc_lo, s10, v19
	v_add_co_ci_u32_e64 v20, null, s11, v20, vcc_lo
	s_waitcnt vmcnt(0)
	v_subrev_nc_u32_e32 v8, s12, v8
	v_mul_lo_u32 v15, v8, 11
	v_lshlrev_b64 v[21:22], 3, v[15:16]
	v_add_nc_u32_e32 v12, 1, v15
	v_add_co_u32 v21, s0, s4, v21
	v_add_co_ci_u32_e64 v22, null, s5, v22, s0
	s_clause 0x1
	global_load_dwordx2 v[16:17], v[17:18], off
	global_load_dwordx2 v[18:19], v[19:20], off
	;; [unrolled: 1-line block ×3, first 2 shown]
	v_lshlrev_b64 v[22:23], 3, v[12:13]
	v_add_nc_u32_e32 v12, -8, v11
	v_lshlrev_b64 v[24:25], 3, v[12:13]
	v_add_co_u32 v22, vcc_lo, s4, v22
	v_add_co_ci_u32_e64 v23, null, s5, v23, vcc_lo
	v_add_nc_u32_e32 v12, 2, v15
	v_add_co_u32 v24, vcc_lo, s10, v24
	global_load_dwordx2 v[22:23], v[22:23], off
	v_add_co_ci_u32_e64 v25, null, s11, v25, vcc_lo
	v_lshlrev_b64 v[26:27], 3, v[12:13]
	v_add_nc_u32_e32 v12, -7, v11
	v_add_co_u32 v26, vcc_lo, s4, v26
	v_add_co_ci_u32_e64 v27, null, s5, v27, vcc_lo
	global_load_dwordx2 v[24:25], v[24:25], off
	global_load_dwordx2 v[26:27], v[26:27], off
	v_lshlrev_b64 v[28:29], 3, v[12:13]
	v_add_nc_u32_e32 v12, 3, v15
	v_lshlrev_b64 v[30:31], 3, v[12:13]
	v_add_co_u32 v28, vcc_lo, s10, v28
	v_add_co_ci_u32_e64 v29, null, s11, v29, vcc_lo
	v_add_nc_u32_e32 v12, -6, v11
	v_add_co_u32 v30, vcc_lo, s4, v30
	v_add_co_ci_u32_e64 v31, null, s5, v31, vcc_lo
	global_load_dwordx2 v[28:29], v[28:29], off
	global_load_dwordx2 v[30:31], v[30:31], off
	v_lshlrev_b64 v[32:33], 3, v[12:13]
	v_add_nc_u32_e32 v12, 4, v15
	v_lshlrev_b64 v[34:35], 3, v[12:13]
	v_add_co_u32 v32, vcc_lo, s10, v32
	v_add_co_ci_u32_e64 v33, null, s11, v33, vcc_lo
	v_add_nc_u32_e32 v12, -5, v11
	v_add_co_u32 v34, vcc_lo, s4, v34
	v_add_co_ci_u32_e64 v35, null, s5, v35, vcc_lo
	global_load_dwordx2 v[32:33], v[32:33], off
	global_load_dwordx2 v[34:35], v[34:35], off
	v_lshlrev_b64 v[36:37], 3, v[12:13]
	v_add_nc_u32_e32 v12, 5, v15
	v_lshlrev_b64 v[38:39], 3, v[12:13]
	v_add_co_u32 v36, vcc_lo, s10, v36
	v_add_co_ci_u32_e64 v37, null, s11, v37, vcc_lo
	v_add_nc_u32_e32 v12, -4, v11
	v_add_co_u32 v38, vcc_lo, s4, v38
	v_add_co_ci_u32_e64 v39, null, s5, v39, vcc_lo
	global_load_dwordx2 v[36:37], v[36:37], off
	global_load_dwordx2 v[38:39], v[38:39], off
	v_lshlrev_b64 v[40:41], 3, v[12:13]
	v_add_nc_u32_e32 v12, 6, v15
	v_lshlrev_b64 v[42:43], 3, v[12:13]
	v_add_co_u32 v40, vcc_lo, s10, v40
	v_add_co_ci_u32_e64 v41, null, s11, v41, vcc_lo
	v_add_nc_u32_e32 v12, -3, v11
	v_add_co_u32 v42, vcc_lo, s4, v42
	v_add_co_ci_u32_e64 v43, null, s5, v43, vcc_lo
	global_load_dwordx2 v[40:41], v[40:41], off
	global_load_dwordx2 v[42:43], v[42:43], off
	v_lshlrev_b64 v[44:45], 3, v[12:13]
	v_add_nc_u32_e32 v12, 7, v15
	v_lshlrev_b64 v[46:47], 3, v[12:13]
	v_add_co_u32 v44, vcc_lo, s10, v44
	v_add_co_ci_u32_e64 v45, null, s11, v45, vcc_lo
	v_add_nc_u32_e32 v12, -2, v11
	v_add_co_u32 v46, vcc_lo, s4, v46
	v_add_co_ci_u32_e64 v47, null, s5, v47, vcc_lo
	global_load_dwordx2 v[44:45], v[44:45], off
	global_load_dwordx2 v[46:47], v[46:47], off
	v_lshlrev_b64 v[48:49], 3, v[12:13]
	v_add_nc_u32_e32 v12, 8, v15
	v_lshlrev_b64 v[50:51], 3, v[12:13]
	v_add_co_u32 v48, vcc_lo, s10, v48
	v_add_co_ci_u32_e64 v49, null, s11, v49, vcc_lo
	v_add_nc_u32_e32 v12, -1, v11
	v_add_co_u32 v50, vcc_lo, s4, v50
	v_add_co_ci_u32_e64 v51, null, s5, v51, vcc_lo
	global_load_dwordx2 v[48:49], v[48:49], off
	global_load_dwordx2 v[50:51], v[50:51], off
	v_lshlrev_b64 v[52:53], 3, v[12:13]
	v_add_nc_u32_e32 v12, 9, v15
	v_lshlrev_b64 v[54:55], 3, v[12:13]
	v_add_co_u32 v52, vcc_lo, s10, v52
	v_add_co_ci_u32_e64 v53, null, s11, v53, vcc_lo
	v_mov_b32_e32 v12, v13
	v_add_co_u32 v54, vcc_lo, s4, v54
	v_add_co_ci_u32_e64 v55, null, s5, v55, vcc_lo
	global_load_dwordx2 v[52:53], v[52:53], off
	global_load_dwordx2 v[54:55], v[54:55], off
	v_lshlrev_b64 v[56:57], 3, v[11:12]
	v_add_nc_u32_e32 v12, 10, v15
	v_add_nc_u32_e32 v11, 0xb0, v11
	v_lshlrev_b64 v[58:59], 3, v[12:13]
	v_add_co_u32 v56, vcc_lo, s10, v56
	v_add_co_ci_u32_e64 v57, null, s11, v57, vcc_lo
	v_add_co_u32 v58, vcc_lo, s4, v58
	v_add_co_ci_u32_e64 v59, null, s5, v59, vcc_lo
	global_load_dwordx2 v[56:57], v[56:57], off
	global_load_dwordx2 v[58:59], v[58:59], off
	v_cmp_ge_i32_e32 vcc_lo, v7, v14
	s_or_b32 s6, vcc_lo, s6
	s_waitcnt vmcnt(19)
	v_fma_f64 v[8:9], v[16:17], v[20:21], v[9:10]
	s_waitcnt vmcnt(18)
	v_fma_f64 v[8:9], v[18:19], v[22:23], v[8:9]
	s_waitcnt vmcnt(16)
	v_fma_f64 v[8:9], v[24:25], v[26:27], v[8:9]
	s_waitcnt vmcnt(14)
	v_fma_f64 v[8:9], v[28:29], v[30:31], v[8:9]
	s_waitcnt vmcnt(12)
	v_fma_f64 v[8:9], v[32:33], v[34:35], v[8:9]
	s_waitcnt vmcnt(10)
	v_fma_f64 v[8:9], v[36:37], v[38:39], v[8:9]
	s_waitcnt vmcnt(8)
	v_fma_f64 v[8:9], v[40:41], v[42:43], v[8:9]
	s_waitcnt vmcnt(6)
	v_fma_f64 v[8:9], v[44:45], v[46:47], v[8:9]
	s_waitcnt vmcnt(4)
	v_fma_f64 v[8:9], v[48:49], v[50:51], v[8:9]
	s_waitcnt vmcnt(2)
	v_fma_f64 v[8:9], v[52:53], v[54:55], v[8:9]
	s_waitcnt vmcnt(0)
	v_fma_f64 v[9:10], v[56:57], v[58:59], v[8:9]
	s_andn2_b32 exec_lo, exec_lo, s6
	s_cbranch_execnz .LBB123_8
; %bb.9:
	s_or_b32 exec_lo, exec_lo, s6
.LBB123_10:
	s_or_b32 exec_lo, exec_lo, s1
	v_mbcnt_lo_u32_b32 v11, -1, 0
	v_xor_b32_e32 v7, 8, v11
	v_cmp_gt_i32_e32 vcc_lo, 32, v7
	v_cndmask_b32_e32 v7, v11, v7, vcc_lo
	v_lshlrev_b32_e32 v8, 2, v7
	ds_bpermute_b32 v7, v8, v9
	ds_bpermute_b32 v8, v8, v10
	s_waitcnt lgkmcnt(0)
	v_add_f64 v[7:8], v[9:10], v[7:8]
	v_xor_b32_e32 v9, 4, v11
	v_cmp_gt_i32_e32 vcc_lo, 32, v9
	v_cndmask_b32_e32 v9, v11, v9, vcc_lo
	v_lshlrev_b32_e32 v10, 2, v9
	ds_bpermute_b32 v9, v10, v7
	ds_bpermute_b32 v10, v10, v8
	s_waitcnt lgkmcnt(0)
	v_add_f64 v[7:8], v[7:8], v[9:10]
	;; [unrolled: 8-line block ×3, first 2 shown]
	v_xor_b32_e32 v9, 1, v11
	v_cmp_gt_i32_e32 vcc_lo, 32, v9
	v_cndmask_b32_e32 v9, v11, v9, vcc_lo
	v_cmp_eq_u32_e32 vcc_lo, 15, v0
	v_lshlrev_b32_e32 v10, 2, v9
	ds_bpermute_b32 v9, v10, v7
	ds_bpermute_b32 v10, v10, v8
	s_and_b32 exec_lo, exec_lo, vcc_lo
	s_cbranch_execz .LBB123_15
; %bb.11:
	s_waitcnt lgkmcnt(0)
	v_add_f64 v[7:8], v[7:8], v[9:10]
	v_lshlrev_b64 v[5:6], 3, v[5:6]
	s_mov_b32 s0, exec_lo
	v_mul_f64 v[3:4], v[3:4], v[7:8]
	v_cmpx_eq_f64_e32 0, v[1:2]
	s_xor_b32 s0, exec_lo, s0
	s_cbranch_execz .LBB123_13
; %bb.12:
	v_add_co_u32 v0, vcc_lo, s2, v5
	v_add_co_ci_u32_e64 v1, null, s3, v6, vcc_lo
                                        ; implicit-def: $vgpr5_vgpr6
	global_store_dwordx2 v[0:1], v[3:4], off
                                        ; implicit-def: $vgpr1_vgpr2
                                        ; implicit-def: $vgpr3_vgpr4
.LBB123_13:
	s_andn2_saveexec_b32 s0, s0
	s_cbranch_execz .LBB123_15
; %bb.14:
	v_add_co_u32 v5, vcc_lo, s2, v5
	v_add_co_ci_u32_e64 v6, null, s3, v6, vcc_lo
	global_load_dwordx2 v[7:8], v[5:6], off
	s_waitcnt vmcnt(0)
	v_fma_f64 v[0:1], v[1:2], v[7:8], v[3:4]
	global_store_dwordx2 v[5:6], v[0:1], off
.LBB123_15:
	s_endpgm
	.section	.rodata,"a",@progbits
	.p2align	6, 0x0
	.amdhsa_kernel _ZN9rocsparseL19gebsrmvn_1xn_kernelILj128ELj11ELj16EdEEvi20rocsparse_direction_NS_24const_host_device_scalarIT2_EEPKiS6_PKS3_S8_S4_PS3_21rocsparse_index_base_b
		.amdhsa_group_segment_fixed_size 0
		.amdhsa_private_segment_fixed_size 0
		.amdhsa_kernarg_size 72
		.amdhsa_user_sgpr_count 6
		.amdhsa_user_sgpr_private_segment_buffer 1
		.amdhsa_user_sgpr_dispatch_ptr 0
		.amdhsa_user_sgpr_queue_ptr 0
		.amdhsa_user_sgpr_kernarg_segment_ptr 1
		.amdhsa_user_sgpr_dispatch_id 0
		.amdhsa_user_sgpr_flat_scratch_init 0
		.amdhsa_user_sgpr_private_segment_size 0
		.amdhsa_wavefront_size32 1
		.amdhsa_uses_dynamic_stack 0
		.amdhsa_system_sgpr_private_segment_wavefront_offset 0
		.amdhsa_system_sgpr_workgroup_id_x 1
		.amdhsa_system_sgpr_workgroup_id_y 0
		.amdhsa_system_sgpr_workgroup_id_z 0
		.amdhsa_system_sgpr_workgroup_info 0
		.amdhsa_system_vgpr_workitem_id 0
		.amdhsa_next_free_vgpr 60
		.amdhsa_next_free_sgpr 14
		.amdhsa_reserve_vcc 1
		.amdhsa_reserve_flat_scratch 0
		.amdhsa_float_round_mode_32 0
		.amdhsa_float_round_mode_16_64 0
		.amdhsa_float_denorm_mode_32 3
		.amdhsa_float_denorm_mode_16_64 3
		.amdhsa_dx10_clamp 1
		.amdhsa_ieee_mode 1
		.amdhsa_fp16_overflow 0
		.amdhsa_workgroup_processor_mode 1
		.amdhsa_memory_ordered 1
		.amdhsa_forward_progress 1
		.amdhsa_shared_vgpr_count 0
		.amdhsa_exception_fp_ieee_invalid_op 0
		.amdhsa_exception_fp_denorm_src 0
		.amdhsa_exception_fp_ieee_div_zero 0
		.amdhsa_exception_fp_ieee_overflow 0
		.amdhsa_exception_fp_ieee_underflow 0
		.amdhsa_exception_fp_ieee_inexact 0
		.amdhsa_exception_int_div_zero 0
	.end_amdhsa_kernel
	.section	.text._ZN9rocsparseL19gebsrmvn_1xn_kernelILj128ELj11ELj16EdEEvi20rocsparse_direction_NS_24const_host_device_scalarIT2_EEPKiS6_PKS3_S8_S4_PS3_21rocsparse_index_base_b,"axG",@progbits,_ZN9rocsparseL19gebsrmvn_1xn_kernelILj128ELj11ELj16EdEEvi20rocsparse_direction_NS_24const_host_device_scalarIT2_EEPKiS6_PKS3_S8_S4_PS3_21rocsparse_index_base_b,comdat
.Lfunc_end123:
	.size	_ZN9rocsparseL19gebsrmvn_1xn_kernelILj128ELj11ELj16EdEEvi20rocsparse_direction_NS_24const_host_device_scalarIT2_EEPKiS6_PKS3_S8_S4_PS3_21rocsparse_index_base_b, .Lfunc_end123-_ZN9rocsparseL19gebsrmvn_1xn_kernelILj128ELj11ELj16EdEEvi20rocsparse_direction_NS_24const_host_device_scalarIT2_EEPKiS6_PKS3_S8_S4_PS3_21rocsparse_index_base_b
                                        ; -- End function
	.set _ZN9rocsparseL19gebsrmvn_1xn_kernelILj128ELj11ELj16EdEEvi20rocsparse_direction_NS_24const_host_device_scalarIT2_EEPKiS6_PKS3_S8_S4_PS3_21rocsparse_index_base_b.num_vgpr, 60
	.set _ZN9rocsparseL19gebsrmvn_1xn_kernelILj128ELj11ELj16EdEEvi20rocsparse_direction_NS_24const_host_device_scalarIT2_EEPKiS6_PKS3_S8_S4_PS3_21rocsparse_index_base_b.num_agpr, 0
	.set _ZN9rocsparseL19gebsrmvn_1xn_kernelILj128ELj11ELj16EdEEvi20rocsparse_direction_NS_24const_host_device_scalarIT2_EEPKiS6_PKS3_S8_S4_PS3_21rocsparse_index_base_b.numbered_sgpr, 14
	.set _ZN9rocsparseL19gebsrmvn_1xn_kernelILj128ELj11ELj16EdEEvi20rocsparse_direction_NS_24const_host_device_scalarIT2_EEPKiS6_PKS3_S8_S4_PS3_21rocsparse_index_base_b.num_named_barrier, 0
	.set _ZN9rocsparseL19gebsrmvn_1xn_kernelILj128ELj11ELj16EdEEvi20rocsparse_direction_NS_24const_host_device_scalarIT2_EEPKiS6_PKS3_S8_S4_PS3_21rocsparse_index_base_b.private_seg_size, 0
	.set _ZN9rocsparseL19gebsrmvn_1xn_kernelILj128ELj11ELj16EdEEvi20rocsparse_direction_NS_24const_host_device_scalarIT2_EEPKiS6_PKS3_S8_S4_PS3_21rocsparse_index_base_b.uses_vcc, 1
	.set _ZN9rocsparseL19gebsrmvn_1xn_kernelILj128ELj11ELj16EdEEvi20rocsparse_direction_NS_24const_host_device_scalarIT2_EEPKiS6_PKS3_S8_S4_PS3_21rocsparse_index_base_b.uses_flat_scratch, 0
	.set _ZN9rocsparseL19gebsrmvn_1xn_kernelILj128ELj11ELj16EdEEvi20rocsparse_direction_NS_24const_host_device_scalarIT2_EEPKiS6_PKS3_S8_S4_PS3_21rocsparse_index_base_b.has_dyn_sized_stack, 0
	.set _ZN9rocsparseL19gebsrmvn_1xn_kernelILj128ELj11ELj16EdEEvi20rocsparse_direction_NS_24const_host_device_scalarIT2_EEPKiS6_PKS3_S8_S4_PS3_21rocsparse_index_base_b.has_recursion, 0
	.set _ZN9rocsparseL19gebsrmvn_1xn_kernelILj128ELj11ELj16EdEEvi20rocsparse_direction_NS_24const_host_device_scalarIT2_EEPKiS6_PKS3_S8_S4_PS3_21rocsparse_index_base_b.has_indirect_call, 0
	.section	.AMDGPU.csdata,"",@progbits
; Kernel info:
; codeLenInByte = 1648
; TotalNumSgprs: 16
; NumVgprs: 60
; ScratchSize: 0
; MemoryBound: 0
; FloatMode: 240
; IeeeMode: 1
; LDSByteSize: 0 bytes/workgroup (compile time only)
; SGPRBlocks: 0
; VGPRBlocks: 7
; NumSGPRsForWavesPerEU: 16
; NumVGPRsForWavesPerEU: 60
; Occupancy: 16
; WaveLimiterHint : 1
; COMPUTE_PGM_RSRC2:SCRATCH_EN: 0
; COMPUTE_PGM_RSRC2:USER_SGPR: 6
; COMPUTE_PGM_RSRC2:TRAP_HANDLER: 0
; COMPUTE_PGM_RSRC2:TGID_X_EN: 1
; COMPUTE_PGM_RSRC2:TGID_Y_EN: 0
; COMPUTE_PGM_RSRC2:TGID_Z_EN: 0
; COMPUTE_PGM_RSRC2:TIDIG_COMP_CNT: 0
	.section	.text._ZN9rocsparseL19gebsrmvn_1xn_kernelILj128ELj11ELj32EdEEvi20rocsparse_direction_NS_24const_host_device_scalarIT2_EEPKiS6_PKS3_S8_S4_PS3_21rocsparse_index_base_b,"axG",@progbits,_ZN9rocsparseL19gebsrmvn_1xn_kernelILj128ELj11ELj32EdEEvi20rocsparse_direction_NS_24const_host_device_scalarIT2_EEPKiS6_PKS3_S8_S4_PS3_21rocsparse_index_base_b,comdat
	.globl	_ZN9rocsparseL19gebsrmvn_1xn_kernelILj128ELj11ELj32EdEEvi20rocsparse_direction_NS_24const_host_device_scalarIT2_EEPKiS6_PKS3_S8_S4_PS3_21rocsparse_index_base_b ; -- Begin function _ZN9rocsparseL19gebsrmvn_1xn_kernelILj128ELj11ELj32EdEEvi20rocsparse_direction_NS_24const_host_device_scalarIT2_EEPKiS6_PKS3_S8_S4_PS3_21rocsparse_index_base_b
	.p2align	8
	.type	_ZN9rocsparseL19gebsrmvn_1xn_kernelILj128ELj11ELj32EdEEvi20rocsparse_direction_NS_24const_host_device_scalarIT2_EEPKiS6_PKS3_S8_S4_PS3_21rocsparse_index_base_b,@function
_ZN9rocsparseL19gebsrmvn_1xn_kernelILj128ELj11ELj32EdEEvi20rocsparse_direction_NS_24const_host_device_scalarIT2_EEPKiS6_PKS3_S8_S4_PS3_21rocsparse_index_base_b: ; @_ZN9rocsparseL19gebsrmvn_1xn_kernelILj128ELj11ELj32EdEEvi20rocsparse_direction_NS_24const_host_device_scalarIT2_EEPKiS6_PKS3_S8_S4_PS3_21rocsparse_index_base_b
; %bb.0:
	s_clause 0x2
	s_load_dwordx2 s[12:13], s[4:5], 0x40
	s_load_dwordx2 s[2:3], s[4:5], 0x8
	;; [unrolled: 1-line block ×3, first 2 shown]
	s_waitcnt lgkmcnt(0)
	s_bitcmp1_b32 s13, 0
	v_mov_b32_e32 v4, s3
	v_mov_b32_e32 v3, s2
	s_cselect_b32 s7, -1, 0
	s_and_b32 vcc_lo, exec_lo, s7
	s_xor_b32 s7, s7, -1
	s_cbranch_vccnz .LBB124_2
; %bb.1:
	v_mov_b32_e32 v1, s2
	v_mov_b32_e32 v2, s3
	flat_load_dwordx2 v[3:4], v[1:2]
.LBB124_2:
	v_mov_b32_e32 v2, s1
	v_mov_b32_e32 v1, s0
	s_andn2_b32 vcc_lo, exec_lo, s7
	s_cbranch_vccnz .LBB124_4
; %bb.3:
	v_mov_b32_e32 v2, s1
	v_mov_b32_e32 v1, s0
	flat_load_dwordx2 v[1:2], v[1:2]
.LBB124_4:
	s_waitcnt vmcnt(0) lgkmcnt(0)
	v_cmp_neq_f64_e32 vcc_lo, 0, v[3:4]
	v_cmp_neq_f64_e64 s0, 1.0, v[1:2]
	s_or_b32 s0, vcc_lo, s0
	s_and_saveexec_b32 s1, s0
	s_cbranch_execz .LBB124_15
; %bb.5:
	s_load_dword s0, s[4:5], 0x0
	v_lshrrev_b32_e32 v5, 5, v0
	v_lshl_or_b32 v5, s6, 2, v5
	s_waitcnt lgkmcnt(0)
	v_cmp_gt_i32_e32 vcc_lo, s0, v5
	s_and_b32 exec_lo, exec_lo, vcc_lo
	s_cbranch_execz .LBB124_15
; %bb.6:
	s_clause 0x1
	s_load_dwordx2 s[0:1], s[4:5], 0x10
	s_load_dwordx2 s[2:3], s[4:5], 0x38
	v_ashrrev_i32_e32 v6, 31, v5
	v_and_b32_e32 v0, 31, v0
	v_lshlrev_b64 v[7:8], 2, v[5:6]
	v_subrev_nc_u32_e32 v9, s12, v0
	s_waitcnt lgkmcnt(0)
	v_add_co_u32 v7, vcc_lo, s0, v7
	v_add_co_ci_u32_e64 v8, null, s1, v8, vcc_lo
	s_mov_b32 s1, exec_lo
	global_load_dwordx2 v[7:8], v[7:8], off
	s_waitcnt vmcnt(0)
	v_add_nc_u32_e32 v7, v7, v9
	v_mov_b32_e32 v9, 0
	v_subrev_nc_u32_e32 v14, s12, v8
	v_mov_b32_e32 v10, 0
	v_cmpx_lt_i32_e64 v7, v14
	s_cbranch_execz .LBB124_10
; %bb.7:
	s_clause 0x1
	s_load_dwordx4 s[8:11], s[4:5], 0x18
	s_load_dwordx2 s[4:5], s[4:5], 0x28
	v_mad_u64_u32 v[11:12], null, v7, 11, 10
	v_mov_b32_e32 v9, 0
	v_mov_b32_e32 v10, 0
	;; [unrolled: 1-line block ×3, first 2 shown]
	s_mov_b32 s6, 0
.LBB124_8:                              ; =>This Inner Loop Header: Depth=1
	v_ashrrev_i32_e32 v8, 31, v7
	v_add_nc_u32_e32 v12, -10, v11
	v_lshlrev_b64 v[15:16], 2, v[7:8]
	v_lshlrev_b64 v[17:18], 3, v[12:13]
	v_add_nc_u32_e32 v12, -9, v11
	v_add_nc_u32_e32 v7, 32, v7
	s_waitcnt lgkmcnt(0)
	v_add_co_u32 v15, vcc_lo, s8, v15
	v_add_co_ci_u32_e64 v16, null, s9, v16, vcc_lo
	v_lshlrev_b64 v[19:20], 3, v[12:13]
	v_add_co_u32 v17, vcc_lo, s10, v17
	global_load_dword v8, v[15:16], off
	v_mov_b32_e32 v16, v13
	v_add_co_ci_u32_e64 v18, null, s11, v18, vcc_lo
	v_add_co_u32 v19, vcc_lo, s10, v19
	v_add_co_ci_u32_e64 v20, null, s11, v20, vcc_lo
	s_waitcnt vmcnt(0)
	v_subrev_nc_u32_e32 v8, s12, v8
	v_mul_lo_u32 v15, v8, 11
	v_lshlrev_b64 v[21:22], 3, v[15:16]
	v_add_nc_u32_e32 v12, 1, v15
	v_add_co_u32 v21, s0, s4, v21
	v_add_co_ci_u32_e64 v22, null, s5, v22, s0
	s_clause 0x1
	global_load_dwordx2 v[16:17], v[17:18], off
	global_load_dwordx2 v[18:19], v[19:20], off
	;; [unrolled: 1-line block ×3, first 2 shown]
	v_lshlrev_b64 v[22:23], 3, v[12:13]
	v_add_nc_u32_e32 v12, -8, v11
	v_lshlrev_b64 v[24:25], 3, v[12:13]
	v_add_co_u32 v22, vcc_lo, s4, v22
	v_add_co_ci_u32_e64 v23, null, s5, v23, vcc_lo
	v_add_nc_u32_e32 v12, 2, v15
	v_add_co_u32 v24, vcc_lo, s10, v24
	global_load_dwordx2 v[22:23], v[22:23], off
	v_add_co_ci_u32_e64 v25, null, s11, v25, vcc_lo
	v_lshlrev_b64 v[26:27], 3, v[12:13]
	v_add_nc_u32_e32 v12, -7, v11
	v_add_co_u32 v26, vcc_lo, s4, v26
	v_add_co_ci_u32_e64 v27, null, s5, v27, vcc_lo
	global_load_dwordx2 v[24:25], v[24:25], off
	global_load_dwordx2 v[26:27], v[26:27], off
	v_lshlrev_b64 v[28:29], 3, v[12:13]
	v_add_nc_u32_e32 v12, 3, v15
	v_lshlrev_b64 v[30:31], 3, v[12:13]
	v_add_co_u32 v28, vcc_lo, s10, v28
	v_add_co_ci_u32_e64 v29, null, s11, v29, vcc_lo
	v_add_nc_u32_e32 v12, -6, v11
	v_add_co_u32 v30, vcc_lo, s4, v30
	v_add_co_ci_u32_e64 v31, null, s5, v31, vcc_lo
	global_load_dwordx2 v[28:29], v[28:29], off
	global_load_dwordx2 v[30:31], v[30:31], off
	v_lshlrev_b64 v[32:33], 3, v[12:13]
	v_add_nc_u32_e32 v12, 4, v15
	v_lshlrev_b64 v[34:35], 3, v[12:13]
	v_add_co_u32 v32, vcc_lo, s10, v32
	v_add_co_ci_u32_e64 v33, null, s11, v33, vcc_lo
	;; [unrolled: 10-line block ×7, first 2 shown]
	v_mov_b32_e32 v12, v13
	v_add_co_u32 v54, vcc_lo, s4, v54
	v_add_co_ci_u32_e64 v55, null, s5, v55, vcc_lo
	global_load_dwordx2 v[52:53], v[52:53], off
	global_load_dwordx2 v[54:55], v[54:55], off
	v_lshlrev_b64 v[56:57], 3, v[11:12]
	v_add_nc_u32_e32 v12, 10, v15
	v_add_nc_u32_e32 v11, 0x160, v11
	v_lshlrev_b64 v[58:59], 3, v[12:13]
	v_add_co_u32 v56, vcc_lo, s10, v56
	v_add_co_ci_u32_e64 v57, null, s11, v57, vcc_lo
	v_add_co_u32 v58, vcc_lo, s4, v58
	v_add_co_ci_u32_e64 v59, null, s5, v59, vcc_lo
	global_load_dwordx2 v[56:57], v[56:57], off
	global_load_dwordx2 v[58:59], v[58:59], off
	v_cmp_ge_i32_e32 vcc_lo, v7, v14
	s_or_b32 s6, vcc_lo, s6
	s_waitcnt vmcnt(19)
	v_fma_f64 v[8:9], v[16:17], v[20:21], v[9:10]
	s_waitcnt vmcnt(18)
	v_fma_f64 v[8:9], v[18:19], v[22:23], v[8:9]
	;; [unrolled: 2-line block ×11, first 2 shown]
	s_andn2_b32 exec_lo, exec_lo, s6
	s_cbranch_execnz .LBB124_8
; %bb.9:
	s_or_b32 exec_lo, exec_lo, s6
.LBB124_10:
	s_or_b32 exec_lo, exec_lo, s1
	v_mbcnt_lo_u32_b32 v11, -1, 0
	v_xor_b32_e32 v7, 16, v11
	v_cmp_gt_i32_e32 vcc_lo, 32, v7
	v_cndmask_b32_e32 v7, v11, v7, vcc_lo
	v_lshlrev_b32_e32 v8, 2, v7
	ds_bpermute_b32 v7, v8, v9
	ds_bpermute_b32 v8, v8, v10
	s_waitcnt lgkmcnt(0)
	v_add_f64 v[7:8], v[9:10], v[7:8]
	v_xor_b32_e32 v9, 8, v11
	v_cmp_gt_i32_e32 vcc_lo, 32, v9
	v_cndmask_b32_e32 v9, v11, v9, vcc_lo
	v_lshlrev_b32_e32 v10, 2, v9
	ds_bpermute_b32 v9, v10, v7
	ds_bpermute_b32 v10, v10, v8
	s_waitcnt lgkmcnt(0)
	v_add_f64 v[7:8], v[7:8], v[9:10]
	;; [unrolled: 8-line block ×4, first 2 shown]
	v_xor_b32_e32 v9, 1, v11
	v_cmp_gt_i32_e32 vcc_lo, 32, v9
	v_cndmask_b32_e32 v9, v11, v9, vcc_lo
	v_cmp_eq_u32_e32 vcc_lo, 31, v0
	v_lshlrev_b32_e32 v10, 2, v9
	ds_bpermute_b32 v9, v10, v7
	ds_bpermute_b32 v10, v10, v8
	s_and_b32 exec_lo, exec_lo, vcc_lo
	s_cbranch_execz .LBB124_15
; %bb.11:
	s_waitcnt lgkmcnt(0)
	v_add_f64 v[7:8], v[7:8], v[9:10]
	v_lshlrev_b64 v[5:6], 3, v[5:6]
	s_mov_b32 s0, exec_lo
	v_mul_f64 v[3:4], v[3:4], v[7:8]
	v_cmpx_eq_f64_e32 0, v[1:2]
	s_xor_b32 s0, exec_lo, s0
	s_cbranch_execz .LBB124_13
; %bb.12:
	v_add_co_u32 v0, vcc_lo, s2, v5
	v_add_co_ci_u32_e64 v1, null, s3, v6, vcc_lo
                                        ; implicit-def: $vgpr5_vgpr6
	global_store_dwordx2 v[0:1], v[3:4], off
                                        ; implicit-def: $vgpr1_vgpr2
                                        ; implicit-def: $vgpr3_vgpr4
.LBB124_13:
	s_andn2_saveexec_b32 s0, s0
	s_cbranch_execz .LBB124_15
; %bb.14:
	v_add_co_u32 v5, vcc_lo, s2, v5
	v_add_co_ci_u32_e64 v6, null, s3, v6, vcc_lo
	global_load_dwordx2 v[7:8], v[5:6], off
	s_waitcnt vmcnt(0)
	v_fma_f64 v[0:1], v[1:2], v[7:8], v[3:4]
	global_store_dwordx2 v[5:6], v[0:1], off
.LBB124_15:
	s_endpgm
	.section	.rodata,"a",@progbits
	.p2align	6, 0x0
	.amdhsa_kernel _ZN9rocsparseL19gebsrmvn_1xn_kernelILj128ELj11ELj32EdEEvi20rocsparse_direction_NS_24const_host_device_scalarIT2_EEPKiS6_PKS3_S8_S4_PS3_21rocsparse_index_base_b
		.amdhsa_group_segment_fixed_size 0
		.amdhsa_private_segment_fixed_size 0
		.amdhsa_kernarg_size 72
		.amdhsa_user_sgpr_count 6
		.amdhsa_user_sgpr_private_segment_buffer 1
		.amdhsa_user_sgpr_dispatch_ptr 0
		.amdhsa_user_sgpr_queue_ptr 0
		.amdhsa_user_sgpr_kernarg_segment_ptr 1
		.amdhsa_user_sgpr_dispatch_id 0
		.amdhsa_user_sgpr_flat_scratch_init 0
		.amdhsa_user_sgpr_private_segment_size 0
		.amdhsa_wavefront_size32 1
		.amdhsa_uses_dynamic_stack 0
		.amdhsa_system_sgpr_private_segment_wavefront_offset 0
		.amdhsa_system_sgpr_workgroup_id_x 1
		.amdhsa_system_sgpr_workgroup_id_y 0
		.amdhsa_system_sgpr_workgroup_id_z 0
		.amdhsa_system_sgpr_workgroup_info 0
		.amdhsa_system_vgpr_workitem_id 0
		.amdhsa_next_free_vgpr 60
		.amdhsa_next_free_sgpr 14
		.amdhsa_reserve_vcc 1
		.amdhsa_reserve_flat_scratch 0
		.amdhsa_float_round_mode_32 0
		.amdhsa_float_round_mode_16_64 0
		.amdhsa_float_denorm_mode_32 3
		.amdhsa_float_denorm_mode_16_64 3
		.amdhsa_dx10_clamp 1
		.amdhsa_ieee_mode 1
		.amdhsa_fp16_overflow 0
		.amdhsa_workgroup_processor_mode 1
		.amdhsa_memory_ordered 1
		.amdhsa_forward_progress 1
		.amdhsa_shared_vgpr_count 0
		.amdhsa_exception_fp_ieee_invalid_op 0
		.amdhsa_exception_fp_denorm_src 0
		.amdhsa_exception_fp_ieee_div_zero 0
		.amdhsa_exception_fp_ieee_overflow 0
		.amdhsa_exception_fp_ieee_underflow 0
		.amdhsa_exception_fp_ieee_inexact 0
		.amdhsa_exception_int_div_zero 0
	.end_amdhsa_kernel
	.section	.text._ZN9rocsparseL19gebsrmvn_1xn_kernelILj128ELj11ELj32EdEEvi20rocsparse_direction_NS_24const_host_device_scalarIT2_EEPKiS6_PKS3_S8_S4_PS3_21rocsparse_index_base_b,"axG",@progbits,_ZN9rocsparseL19gebsrmvn_1xn_kernelILj128ELj11ELj32EdEEvi20rocsparse_direction_NS_24const_host_device_scalarIT2_EEPKiS6_PKS3_S8_S4_PS3_21rocsparse_index_base_b,comdat
.Lfunc_end124:
	.size	_ZN9rocsparseL19gebsrmvn_1xn_kernelILj128ELj11ELj32EdEEvi20rocsparse_direction_NS_24const_host_device_scalarIT2_EEPKiS6_PKS3_S8_S4_PS3_21rocsparse_index_base_b, .Lfunc_end124-_ZN9rocsparseL19gebsrmvn_1xn_kernelILj128ELj11ELj32EdEEvi20rocsparse_direction_NS_24const_host_device_scalarIT2_EEPKiS6_PKS3_S8_S4_PS3_21rocsparse_index_base_b
                                        ; -- End function
	.set _ZN9rocsparseL19gebsrmvn_1xn_kernelILj128ELj11ELj32EdEEvi20rocsparse_direction_NS_24const_host_device_scalarIT2_EEPKiS6_PKS3_S8_S4_PS3_21rocsparse_index_base_b.num_vgpr, 60
	.set _ZN9rocsparseL19gebsrmvn_1xn_kernelILj128ELj11ELj32EdEEvi20rocsparse_direction_NS_24const_host_device_scalarIT2_EEPKiS6_PKS3_S8_S4_PS3_21rocsparse_index_base_b.num_agpr, 0
	.set _ZN9rocsparseL19gebsrmvn_1xn_kernelILj128ELj11ELj32EdEEvi20rocsparse_direction_NS_24const_host_device_scalarIT2_EEPKiS6_PKS3_S8_S4_PS3_21rocsparse_index_base_b.numbered_sgpr, 14
	.set _ZN9rocsparseL19gebsrmvn_1xn_kernelILj128ELj11ELj32EdEEvi20rocsparse_direction_NS_24const_host_device_scalarIT2_EEPKiS6_PKS3_S8_S4_PS3_21rocsparse_index_base_b.num_named_barrier, 0
	.set _ZN9rocsparseL19gebsrmvn_1xn_kernelILj128ELj11ELj32EdEEvi20rocsparse_direction_NS_24const_host_device_scalarIT2_EEPKiS6_PKS3_S8_S4_PS3_21rocsparse_index_base_b.private_seg_size, 0
	.set _ZN9rocsparseL19gebsrmvn_1xn_kernelILj128ELj11ELj32EdEEvi20rocsparse_direction_NS_24const_host_device_scalarIT2_EEPKiS6_PKS3_S8_S4_PS3_21rocsparse_index_base_b.uses_vcc, 1
	.set _ZN9rocsparseL19gebsrmvn_1xn_kernelILj128ELj11ELj32EdEEvi20rocsparse_direction_NS_24const_host_device_scalarIT2_EEPKiS6_PKS3_S8_S4_PS3_21rocsparse_index_base_b.uses_flat_scratch, 0
	.set _ZN9rocsparseL19gebsrmvn_1xn_kernelILj128ELj11ELj32EdEEvi20rocsparse_direction_NS_24const_host_device_scalarIT2_EEPKiS6_PKS3_S8_S4_PS3_21rocsparse_index_base_b.has_dyn_sized_stack, 0
	.set _ZN9rocsparseL19gebsrmvn_1xn_kernelILj128ELj11ELj32EdEEvi20rocsparse_direction_NS_24const_host_device_scalarIT2_EEPKiS6_PKS3_S8_S4_PS3_21rocsparse_index_base_b.has_recursion, 0
	.set _ZN9rocsparseL19gebsrmvn_1xn_kernelILj128ELj11ELj32EdEEvi20rocsparse_direction_NS_24const_host_device_scalarIT2_EEPKiS6_PKS3_S8_S4_PS3_21rocsparse_index_base_b.has_indirect_call, 0
	.section	.AMDGPU.csdata,"",@progbits
; Kernel info:
; codeLenInByte = 1692
; TotalNumSgprs: 16
; NumVgprs: 60
; ScratchSize: 0
; MemoryBound: 0
; FloatMode: 240
; IeeeMode: 1
; LDSByteSize: 0 bytes/workgroup (compile time only)
; SGPRBlocks: 0
; VGPRBlocks: 7
; NumSGPRsForWavesPerEU: 16
; NumVGPRsForWavesPerEU: 60
; Occupancy: 16
; WaveLimiterHint : 1
; COMPUTE_PGM_RSRC2:SCRATCH_EN: 0
; COMPUTE_PGM_RSRC2:USER_SGPR: 6
; COMPUTE_PGM_RSRC2:TRAP_HANDLER: 0
; COMPUTE_PGM_RSRC2:TGID_X_EN: 1
; COMPUTE_PGM_RSRC2:TGID_Y_EN: 0
; COMPUTE_PGM_RSRC2:TGID_Z_EN: 0
; COMPUTE_PGM_RSRC2:TIDIG_COMP_CNT: 0
	.section	.text._ZN9rocsparseL19gebsrmvn_1xn_kernelILj128ELj11ELj64EdEEvi20rocsparse_direction_NS_24const_host_device_scalarIT2_EEPKiS6_PKS3_S8_S4_PS3_21rocsparse_index_base_b,"axG",@progbits,_ZN9rocsparseL19gebsrmvn_1xn_kernelILj128ELj11ELj64EdEEvi20rocsparse_direction_NS_24const_host_device_scalarIT2_EEPKiS6_PKS3_S8_S4_PS3_21rocsparse_index_base_b,comdat
	.globl	_ZN9rocsparseL19gebsrmvn_1xn_kernelILj128ELj11ELj64EdEEvi20rocsparse_direction_NS_24const_host_device_scalarIT2_EEPKiS6_PKS3_S8_S4_PS3_21rocsparse_index_base_b ; -- Begin function _ZN9rocsparseL19gebsrmvn_1xn_kernelILj128ELj11ELj64EdEEvi20rocsparse_direction_NS_24const_host_device_scalarIT2_EEPKiS6_PKS3_S8_S4_PS3_21rocsparse_index_base_b
	.p2align	8
	.type	_ZN9rocsparseL19gebsrmvn_1xn_kernelILj128ELj11ELj64EdEEvi20rocsparse_direction_NS_24const_host_device_scalarIT2_EEPKiS6_PKS3_S8_S4_PS3_21rocsparse_index_base_b,@function
_ZN9rocsparseL19gebsrmvn_1xn_kernelILj128ELj11ELj64EdEEvi20rocsparse_direction_NS_24const_host_device_scalarIT2_EEPKiS6_PKS3_S8_S4_PS3_21rocsparse_index_base_b: ; @_ZN9rocsparseL19gebsrmvn_1xn_kernelILj128ELj11ELj64EdEEvi20rocsparse_direction_NS_24const_host_device_scalarIT2_EEPKiS6_PKS3_S8_S4_PS3_21rocsparse_index_base_b
; %bb.0:
	s_clause 0x2
	s_load_dwordx2 s[12:13], s[4:5], 0x40
	s_load_dwordx2 s[2:3], s[4:5], 0x8
	s_load_dwordx2 s[0:1], s[4:5], 0x30
	s_waitcnt lgkmcnt(0)
	s_bitcmp1_b32 s13, 0
	v_mov_b32_e32 v4, s3
	v_mov_b32_e32 v3, s2
	s_cselect_b32 s7, -1, 0
	s_and_b32 vcc_lo, exec_lo, s7
	s_xor_b32 s7, s7, -1
	s_cbranch_vccnz .LBB125_2
; %bb.1:
	v_mov_b32_e32 v1, s2
	v_mov_b32_e32 v2, s3
	flat_load_dwordx2 v[3:4], v[1:2]
.LBB125_2:
	v_mov_b32_e32 v2, s1
	v_mov_b32_e32 v1, s0
	s_andn2_b32 vcc_lo, exec_lo, s7
	s_cbranch_vccnz .LBB125_4
; %bb.3:
	v_mov_b32_e32 v2, s1
	v_mov_b32_e32 v1, s0
	flat_load_dwordx2 v[1:2], v[1:2]
.LBB125_4:
	s_waitcnt vmcnt(0) lgkmcnt(0)
	v_cmp_neq_f64_e32 vcc_lo, 0, v[3:4]
	v_cmp_neq_f64_e64 s0, 1.0, v[1:2]
	s_or_b32 s0, vcc_lo, s0
	s_and_saveexec_b32 s1, s0
	s_cbranch_execz .LBB125_15
; %bb.5:
	s_load_dword s0, s[4:5], 0x0
	v_lshrrev_b32_e32 v5, 6, v0
	v_lshl_or_b32 v5, s6, 1, v5
	s_waitcnt lgkmcnt(0)
	v_cmp_gt_i32_e32 vcc_lo, s0, v5
	s_and_b32 exec_lo, exec_lo, vcc_lo
	s_cbranch_execz .LBB125_15
; %bb.6:
	s_clause 0x1
	s_load_dwordx2 s[0:1], s[4:5], 0x10
	s_load_dwordx2 s[2:3], s[4:5], 0x38
	v_ashrrev_i32_e32 v6, 31, v5
	v_and_b32_e32 v0, 63, v0
	v_lshlrev_b64 v[7:8], 2, v[5:6]
	v_subrev_nc_u32_e32 v9, s12, v0
	s_waitcnt lgkmcnt(0)
	v_add_co_u32 v7, vcc_lo, s0, v7
	v_add_co_ci_u32_e64 v8, null, s1, v8, vcc_lo
	s_mov_b32 s1, exec_lo
	global_load_dwordx2 v[7:8], v[7:8], off
	s_waitcnt vmcnt(0)
	v_add_nc_u32_e32 v7, v7, v9
	v_mov_b32_e32 v9, 0
	v_subrev_nc_u32_e32 v14, s12, v8
	v_mov_b32_e32 v10, 0
	v_cmpx_lt_i32_e64 v7, v14
	s_cbranch_execz .LBB125_10
; %bb.7:
	s_clause 0x1
	s_load_dwordx4 s[8:11], s[4:5], 0x18
	s_load_dwordx2 s[4:5], s[4:5], 0x28
	v_mad_u64_u32 v[11:12], null, v7, 11, 10
	v_mov_b32_e32 v9, 0
	v_mov_b32_e32 v10, 0
	;; [unrolled: 1-line block ×3, first 2 shown]
	s_mov_b32 s6, 0
.LBB125_8:                              ; =>This Inner Loop Header: Depth=1
	v_ashrrev_i32_e32 v8, 31, v7
	v_add_nc_u32_e32 v12, -10, v11
	v_lshlrev_b64 v[15:16], 2, v[7:8]
	v_lshlrev_b64 v[17:18], 3, v[12:13]
	v_add_nc_u32_e32 v12, -9, v11
	v_add_nc_u32_e32 v7, 64, v7
	s_waitcnt lgkmcnt(0)
	v_add_co_u32 v15, vcc_lo, s8, v15
	v_add_co_ci_u32_e64 v16, null, s9, v16, vcc_lo
	v_lshlrev_b64 v[19:20], 3, v[12:13]
	v_add_co_u32 v17, vcc_lo, s10, v17
	global_load_dword v8, v[15:16], off
	v_mov_b32_e32 v16, v13
	v_add_co_ci_u32_e64 v18, null, s11, v18, vcc_lo
	v_add_co_u32 v19, vcc_lo, s10, v19
	v_add_co_ci_u32_e64 v20, null, s11, v20, vcc_lo
	s_waitcnt vmcnt(0)
	v_subrev_nc_u32_e32 v8, s12, v8
	v_mul_lo_u32 v15, v8, 11
	v_lshlrev_b64 v[21:22], 3, v[15:16]
	v_add_nc_u32_e32 v12, 1, v15
	v_add_co_u32 v21, s0, s4, v21
	v_add_co_ci_u32_e64 v22, null, s5, v22, s0
	s_clause 0x1
	global_load_dwordx2 v[16:17], v[17:18], off
	global_load_dwordx2 v[18:19], v[19:20], off
	;; [unrolled: 1-line block ×3, first 2 shown]
	v_lshlrev_b64 v[22:23], 3, v[12:13]
	v_add_nc_u32_e32 v12, -8, v11
	v_lshlrev_b64 v[24:25], 3, v[12:13]
	v_add_co_u32 v22, vcc_lo, s4, v22
	v_add_co_ci_u32_e64 v23, null, s5, v23, vcc_lo
	v_add_nc_u32_e32 v12, 2, v15
	v_add_co_u32 v24, vcc_lo, s10, v24
	global_load_dwordx2 v[22:23], v[22:23], off
	v_add_co_ci_u32_e64 v25, null, s11, v25, vcc_lo
	v_lshlrev_b64 v[26:27], 3, v[12:13]
	v_add_nc_u32_e32 v12, -7, v11
	v_add_co_u32 v26, vcc_lo, s4, v26
	v_add_co_ci_u32_e64 v27, null, s5, v27, vcc_lo
	global_load_dwordx2 v[24:25], v[24:25], off
	global_load_dwordx2 v[26:27], v[26:27], off
	v_lshlrev_b64 v[28:29], 3, v[12:13]
	v_add_nc_u32_e32 v12, 3, v15
	v_lshlrev_b64 v[30:31], 3, v[12:13]
	v_add_co_u32 v28, vcc_lo, s10, v28
	v_add_co_ci_u32_e64 v29, null, s11, v29, vcc_lo
	v_add_nc_u32_e32 v12, -6, v11
	v_add_co_u32 v30, vcc_lo, s4, v30
	v_add_co_ci_u32_e64 v31, null, s5, v31, vcc_lo
	global_load_dwordx2 v[28:29], v[28:29], off
	global_load_dwordx2 v[30:31], v[30:31], off
	v_lshlrev_b64 v[32:33], 3, v[12:13]
	v_add_nc_u32_e32 v12, 4, v15
	v_lshlrev_b64 v[34:35], 3, v[12:13]
	v_add_co_u32 v32, vcc_lo, s10, v32
	v_add_co_ci_u32_e64 v33, null, s11, v33, vcc_lo
	;; [unrolled: 10-line block ×7, first 2 shown]
	v_mov_b32_e32 v12, v13
	v_add_co_u32 v54, vcc_lo, s4, v54
	v_add_co_ci_u32_e64 v55, null, s5, v55, vcc_lo
	global_load_dwordx2 v[52:53], v[52:53], off
	global_load_dwordx2 v[54:55], v[54:55], off
	v_lshlrev_b64 v[56:57], 3, v[11:12]
	v_add_nc_u32_e32 v12, 10, v15
	v_add_nc_u32_e32 v11, 0x2c0, v11
	v_lshlrev_b64 v[58:59], 3, v[12:13]
	v_add_co_u32 v56, vcc_lo, s10, v56
	v_add_co_ci_u32_e64 v57, null, s11, v57, vcc_lo
	v_add_co_u32 v58, vcc_lo, s4, v58
	v_add_co_ci_u32_e64 v59, null, s5, v59, vcc_lo
	global_load_dwordx2 v[56:57], v[56:57], off
	global_load_dwordx2 v[58:59], v[58:59], off
	v_cmp_ge_i32_e32 vcc_lo, v7, v14
	s_or_b32 s6, vcc_lo, s6
	s_waitcnt vmcnt(19)
	v_fma_f64 v[8:9], v[16:17], v[20:21], v[9:10]
	s_waitcnt vmcnt(18)
	v_fma_f64 v[8:9], v[18:19], v[22:23], v[8:9]
	;; [unrolled: 2-line block ×11, first 2 shown]
	s_andn2_b32 exec_lo, exec_lo, s6
	s_cbranch_execnz .LBB125_8
; %bb.9:
	s_or_b32 exec_lo, exec_lo, s6
.LBB125_10:
	s_or_b32 exec_lo, exec_lo, s1
	v_mbcnt_lo_u32_b32 v11, -1, 0
	v_or_b32_e32 v7, 32, v11
	v_cmp_gt_i32_e32 vcc_lo, 32, v7
	v_cndmask_b32_e32 v7, v11, v7, vcc_lo
	v_lshlrev_b32_e32 v8, 2, v7
	ds_bpermute_b32 v7, v8, v9
	ds_bpermute_b32 v8, v8, v10
	s_waitcnt lgkmcnt(0)
	v_add_f64 v[7:8], v[9:10], v[7:8]
	v_xor_b32_e32 v9, 16, v11
	v_cmp_gt_i32_e32 vcc_lo, 32, v9
	v_cndmask_b32_e32 v9, v11, v9, vcc_lo
	v_lshlrev_b32_e32 v10, 2, v9
	ds_bpermute_b32 v9, v10, v7
	ds_bpermute_b32 v10, v10, v8
	s_waitcnt lgkmcnt(0)
	v_add_f64 v[7:8], v[7:8], v[9:10]
	v_xor_b32_e32 v9, 8, v11
	;; [unrolled: 8-line block ×5, first 2 shown]
	v_cmp_gt_i32_e32 vcc_lo, 32, v9
	v_cndmask_b32_e32 v9, v11, v9, vcc_lo
	v_cmp_eq_u32_e32 vcc_lo, 63, v0
	v_lshlrev_b32_e32 v10, 2, v9
	ds_bpermute_b32 v9, v10, v7
	ds_bpermute_b32 v10, v10, v8
	s_and_b32 exec_lo, exec_lo, vcc_lo
	s_cbranch_execz .LBB125_15
; %bb.11:
	s_waitcnt lgkmcnt(0)
	v_add_f64 v[7:8], v[7:8], v[9:10]
	v_lshlrev_b64 v[5:6], 3, v[5:6]
	s_mov_b32 s0, exec_lo
	v_mul_f64 v[3:4], v[3:4], v[7:8]
	v_cmpx_eq_f64_e32 0, v[1:2]
	s_xor_b32 s0, exec_lo, s0
	s_cbranch_execz .LBB125_13
; %bb.12:
	v_add_co_u32 v0, vcc_lo, s2, v5
	v_add_co_ci_u32_e64 v1, null, s3, v6, vcc_lo
                                        ; implicit-def: $vgpr5_vgpr6
	global_store_dwordx2 v[0:1], v[3:4], off
                                        ; implicit-def: $vgpr1_vgpr2
                                        ; implicit-def: $vgpr3_vgpr4
.LBB125_13:
	s_andn2_saveexec_b32 s0, s0
	s_cbranch_execz .LBB125_15
; %bb.14:
	v_add_co_u32 v5, vcc_lo, s2, v5
	v_add_co_ci_u32_e64 v6, null, s3, v6, vcc_lo
	global_load_dwordx2 v[7:8], v[5:6], off
	s_waitcnt vmcnt(0)
	v_fma_f64 v[0:1], v[1:2], v[7:8], v[3:4]
	global_store_dwordx2 v[5:6], v[0:1], off
.LBB125_15:
	s_endpgm
	.section	.rodata,"a",@progbits
	.p2align	6, 0x0
	.amdhsa_kernel _ZN9rocsparseL19gebsrmvn_1xn_kernelILj128ELj11ELj64EdEEvi20rocsparse_direction_NS_24const_host_device_scalarIT2_EEPKiS6_PKS3_S8_S4_PS3_21rocsparse_index_base_b
		.amdhsa_group_segment_fixed_size 0
		.amdhsa_private_segment_fixed_size 0
		.amdhsa_kernarg_size 72
		.amdhsa_user_sgpr_count 6
		.amdhsa_user_sgpr_private_segment_buffer 1
		.amdhsa_user_sgpr_dispatch_ptr 0
		.amdhsa_user_sgpr_queue_ptr 0
		.amdhsa_user_sgpr_kernarg_segment_ptr 1
		.amdhsa_user_sgpr_dispatch_id 0
		.amdhsa_user_sgpr_flat_scratch_init 0
		.amdhsa_user_sgpr_private_segment_size 0
		.amdhsa_wavefront_size32 1
		.amdhsa_uses_dynamic_stack 0
		.amdhsa_system_sgpr_private_segment_wavefront_offset 0
		.amdhsa_system_sgpr_workgroup_id_x 1
		.amdhsa_system_sgpr_workgroup_id_y 0
		.amdhsa_system_sgpr_workgroup_id_z 0
		.amdhsa_system_sgpr_workgroup_info 0
		.amdhsa_system_vgpr_workitem_id 0
		.amdhsa_next_free_vgpr 60
		.amdhsa_next_free_sgpr 14
		.amdhsa_reserve_vcc 1
		.amdhsa_reserve_flat_scratch 0
		.amdhsa_float_round_mode_32 0
		.amdhsa_float_round_mode_16_64 0
		.amdhsa_float_denorm_mode_32 3
		.amdhsa_float_denorm_mode_16_64 3
		.amdhsa_dx10_clamp 1
		.amdhsa_ieee_mode 1
		.amdhsa_fp16_overflow 0
		.amdhsa_workgroup_processor_mode 1
		.amdhsa_memory_ordered 1
		.amdhsa_forward_progress 1
		.amdhsa_shared_vgpr_count 0
		.amdhsa_exception_fp_ieee_invalid_op 0
		.amdhsa_exception_fp_denorm_src 0
		.amdhsa_exception_fp_ieee_div_zero 0
		.amdhsa_exception_fp_ieee_overflow 0
		.amdhsa_exception_fp_ieee_underflow 0
		.amdhsa_exception_fp_ieee_inexact 0
		.amdhsa_exception_int_div_zero 0
	.end_amdhsa_kernel
	.section	.text._ZN9rocsparseL19gebsrmvn_1xn_kernelILj128ELj11ELj64EdEEvi20rocsparse_direction_NS_24const_host_device_scalarIT2_EEPKiS6_PKS3_S8_S4_PS3_21rocsparse_index_base_b,"axG",@progbits,_ZN9rocsparseL19gebsrmvn_1xn_kernelILj128ELj11ELj64EdEEvi20rocsparse_direction_NS_24const_host_device_scalarIT2_EEPKiS6_PKS3_S8_S4_PS3_21rocsparse_index_base_b,comdat
.Lfunc_end125:
	.size	_ZN9rocsparseL19gebsrmvn_1xn_kernelILj128ELj11ELj64EdEEvi20rocsparse_direction_NS_24const_host_device_scalarIT2_EEPKiS6_PKS3_S8_S4_PS3_21rocsparse_index_base_b, .Lfunc_end125-_ZN9rocsparseL19gebsrmvn_1xn_kernelILj128ELj11ELj64EdEEvi20rocsparse_direction_NS_24const_host_device_scalarIT2_EEPKiS6_PKS3_S8_S4_PS3_21rocsparse_index_base_b
                                        ; -- End function
	.set _ZN9rocsparseL19gebsrmvn_1xn_kernelILj128ELj11ELj64EdEEvi20rocsparse_direction_NS_24const_host_device_scalarIT2_EEPKiS6_PKS3_S8_S4_PS3_21rocsparse_index_base_b.num_vgpr, 60
	.set _ZN9rocsparseL19gebsrmvn_1xn_kernelILj128ELj11ELj64EdEEvi20rocsparse_direction_NS_24const_host_device_scalarIT2_EEPKiS6_PKS3_S8_S4_PS3_21rocsparse_index_base_b.num_agpr, 0
	.set _ZN9rocsparseL19gebsrmvn_1xn_kernelILj128ELj11ELj64EdEEvi20rocsparse_direction_NS_24const_host_device_scalarIT2_EEPKiS6_PKS3_S8_S4_PS3_21rocsparse_index_base_b.numbered_sgpr, 14
	.set _ZN9rocsparseL19gebsrmvn_1xn_kernelILj128ELj11ELj64EdEEvi20rocsparse_direction_NS_24const_host_device_scalarIT2_EEPKiS6_PKS3_S8_S4_PS3_21rocsparse_index_base_b.num_named_barrier, 0
	.set _ZN9rocsparseL19gebsrmvn_1xn_kernelILj128ELj11ELj64EdEEvi20rocsparse_direction_NS_24const_host_device_scalarIT2_EEPKiS6_PKS3_S8_S4_PS3_21rocsparse_index_base_b.private_seg_size, 0
	.set _ZN9rocsparseL19gebsrmvn_1xn_kernelILj128ELj11ELj64EdEEvi20rocsparse_direction_NS_24const_host_device_scalarIT2_EEPKiS6_PKS3_S8_S4_PS3_21rocsparse_index_base_b.uses_vcc, 1
	.set _ZN9rocsparseL19gebsrmvn_1xn_kernelILj128ELj11ELj64EdEEvi20rocsparse_direction_NS_24const_host_device_scalarIT2_EEPKiS6_PKS3_S8_S4_PS3_21rocsparse_index_base_b.uses_flat_scratch, 0
	.set _ZN9rocsparseL19gebsrmvn_1xn_kernelILj128ELj11ELj64EdEEvi20rocsparse_direction_NS_24const_host_device_scalarIT2_EEPKiS6_PKS3_S8_S4_PS3_21rocsparse_index_base_b.has_dyn_sized_stack, 0
	.set _ZN9rocsparseL19gebsrmvn_1xn_kernelILj128ELj11ELj64EdEEvi20rocsparse_direction_NS_24const_host_device_scalarIT2_EEPKiS6_PKS3_S8_S4_PS3_21rocsparse_index_base_b.has_recursion, 0
	.set _ZN9rocsparseL19gebsrmvn_1xn_kernelILj128ELj11ELj64EdEEvi20rocsparse_direction_NS_24const_host_device_scalarIT2_EEPKiS6_PKS3_S8_S4_PS3_21rocsparse_index_base_b.has_indirect_call, 0
	.section	.AMDGPU.csdata,"",@progbits
; Kernel info:
; codeLenInByte = 1736
; TotalNumSgprs: 16
; NumVgprs: 60
; ScratchSize: 0
; MemoryBound: 0
; FloatMode: 240
; IeeeMode: 1
; LDSByteSize: 0 bytes/workgroup (compile time only)
; SGPRBlocks: 0
; VGPRBlocks: 7
; NumSGPRsForWavesPerEU: 16
; NumVGPRsForWavesPerEU: 60
; Occupancy: 16
; WaveLimiterHint : 1
; COMPUTE_PGM_RSRC2:SCRATCH_EN: 0
; COMPUTE_PGM_RSRC2:USER_SGPR: 6
; COMPUTE_PGM_RSRC2:TRAP_HANDLER: 0
; COMPUTE_PGM_RSRC2:TGID_X_EN: 1
; COMPUTE_PGM_RSRC2:TGID_Y_EN: 0
; COMPUTE_PGM_RSRC2:TGID_Z_EN: 0
; COMPUTE_PGM_RSRC2:TIDIG_COMP_CNT: 0
	.section	.text._ZN9rocsparseL19gebsrmvn_1xn_kernelILj128ELj12ELj4EdEEvi20rocsparse_direction_NS_24const_host_device_scalarIT2_EEPKiS6_PKS3_S8_S4_PS3_21rocsparse_index_base_b,"axG",@progbits,_ZN9rocsparseL19gebsrmvn_1xn_kernelILj128ELj12ELj4EdEEvi20rocsparse_direction_NS_24const_host_device_scalarIT2_EEPKiS6_PKS3_S8_S4_PS3_21rocsparse_index_base_b,comdat
	.globl	_ZN9rocsparseL19gebsrmvn_1xn_kernelILj128ELj12ELj4EdEEvi20rocsparse_direction_NS_24const_host_device_scalarIT2_EEPKiS6_PKS3_S8_S4_PS3_21rocsparse_index_base_b ; -- Begin function _ZN9rocsparseL19gebsrmvn_1xn_kernelILj128ELj12ELj4EdEEvi20rocsparse_direction_NS_24const_host_device_scalarIT2_EEPKiS6_PKS3_S8_S4_PS3_21rocsparse_index_base_b
	.p2align	8
	.type	_ZN9rocsparseL19gebsrmvn_1xn_kernelILj128ELj12ELj4EdEEvi20rocsparse_direction_NS_24const_host_device_scalarIT2_EEPKiS6_PKS3_S8_S4_PS3_21rocsparse_index_base_b,@function
_ZN9rocsparseL19gebsrmvn_1xn_kernelILj128ELj12ELj4EdEEvi20rocsparse_direction_NS_24const_host_device_scalarIT2_EEPKiS6_PKS3_S8_S4_PS3_21rocsparse_index_base_b: ; @_ZN9rocsparseL19gebsrmvn_1xn_kernelILj128ELj12ELj4EdEEvi20rocsparse_direction_NS_24const_host_device_scalarIT2_EEPKiS6_PKS3_S8_S4_PS3_21rocsparse_index_base_b
; %bb.0:
	s_clause 0x2
	s_load_dwordx2 s[8:9], s[4:5], 0x40
	s_load_dwordx2 s[2:3], s[4:5], 0x8
	;; [unrolled: 1-line block ×3, first 2 shown]
	s_waitcnt lgkmcnt(0)
	s_bitcmp1_b32 s9, 0
	v_mov_b32_e32 v4, s3
	v_mov_b32_e32 v3, s2
	s_cselect_b32 s7, -1, 0
	s_and_b32 vcc_lo, exec_lo, s7
	s_xor_b32 s7, s7, -1
	s_cbranch_vccnz .LBB126_2
; %bb.1:
	v_mov_b32_e32 v1, s2
	v_mov_b32_e32 v2, s3
	flat_load_dwordx2 v[3:4], v[1:2]
.LBB126_2:
	v_mov_b32_e32 v2, s1
	v_mov_b32_e32 v1, s0
	s_andn2_b32 vcc_lo, exec_lo, s7
	s_cbranch_vccnz .LBB126_4
; %bb.3:
	v_mov_b32_e32 v2, s1
	v_mov_b32_e32 v1, s0
	flat_load_dwordx2 v[1:2], v[1:2]
.LBB126_4:
	s_waitcnt vmcnt(0) lgkmcnt(0)
	v_cmp_neq_f64_e32 vcc_lo, 0, v[3:4]
	v_cmp_neq_f64_e64 s0, 1.0, v[1:2]
	s_or_b32 s0, vcc_lo, s0
	s_and_saveexec_b32 s1, s0
	s_cbranch_execz .LBB126_15
; %bb.5:
	s_load_dword s0, s[4:5], 0x0
	v_lshrrev_b32_e32 v5, 2, v0
	v_lshl_or_b32 v5, s6, 5, v5
	s_waitcnt lgkmcnt(0)
	v_cmp_gt_i32_e32 vcc_lo, s0, v5
	s_and_b32 exec_lo, exec_lo, vcc_lo
	s_cbranch_execz .LBB126_15
; %bb.6:
	s_clause 0x1
	s_load_dwordx2 s[0:1], s[4:5], 0x10
	s_load_dwordx2 s[6:7], s[4:5], 0x38
	v_ashrrev_i32_e32 v6, 31, v5
	v_and_b32_e32 v0, 3, v0
	s_mov_b32 s9, exec_lo
	v_lshlrev_b64 v[7:8], 2, v[5:6]
	v_subrev_nc_u32_e32 v9, s8, v0
	s_waitcnt lgkmcnt(0)
	v_add_co_u32 v7, vcc_lo, s0, v7
	v_add_co_ci_u32_e64 v8, null, s1, v8, vcc_lo
	global_load_dwordx2 v[7:8], v[7:8], off
	s_waitcnt vmcnt(0)
	v_add_nc_u32_e32 v7, v7, v9
	v_mov_b32_e32 v9, 0
	v_subrev_nc_u32_e32 v14, s8, v8
	v_mov_b32_e32 v10, 0
	v_cmpx_lt_i32_e64 v7, v14
	s_cbranch_execz .LBB126_10
; %bb.7:
	s_clause 0x1
	s_load_dwordx4 s[0:3], s[4:5], 0x18
	s_load_dwordx2 s[4:5], s[4:5], 0x28
	v_mad_u64_u32 v[11:12], null, v7, 12, 11
	v_mov_b32_e32 v9, 0
	v_mov_b32_e32 v10, 0
	;; [unrolled: 1-line block ×3, first 2 shown]
	s_mov_b32 s10, 0
.LBB126_8:                              ; =>This Inner Loop Header: Depth=1
	v_ashrrev_i32_e32 v8, 31, v7
	v_add_nc_u32_e32 v12, -11, v11
	v_mov_b32_e32 v40, v13
	v_lshlrev_b64 v[15:16], 2, v[7:8]
	v_add_nc_u32_e32 v7, 4, v7
	s_waitcnt lgkmcnt(0)
	v_add_co_u32 v15, vcc_lo, s0, v15
	v_add_co_ci_u32_e64 v16, null, s1, v16, vcc_lo
	global_load_dword v8, v[15:16], off
	v_lshlrev_b64 v[15:16], 3, v[12:13]
	v_add_nc_u32_e32 v12, -7, v11
	v_lshlrev_b64 v[31:32], 3, v[12:13]
	v_add_co_u32 v19, vcc_lo, s2, v15
	v_add_co_ci_u32_e64 v20, null, s3, v16, vcc_lo
	s_waitcnt vmcnt(0)
	v_subrev_nc_u32_e32 v8, s8, v8
	v_mul_lo_u32 v39, v8, 12
	v_lshlrev_b64 v[17:18], 3, v[39:40]
	v_add_nc_u32_e32 v12, 4, v39
	v_lshlrev_b64 v[33:34], 3, v[12:13]
	v_add_co_u32 v27, vcc_lo, s4, v17
	v_add_co_ci_u32_e64 v28, null, s5, v18, vcc_lo
	s_clause 0x1
	global_load_dwordx4 v[15:18], v[19:20], off offset:16
	global_load_dwordx4 v[19:22], v[19:20], off
	s_clause 0x1
	global_load_dwordx4 v[23:26], v[27:28], off
	global_load_dwordx4 v[27:30], v[27:28], off offset:16
	v_add_co_u32 v31, vcc_lo, s2, v31
	v_add_co_ci_u32_e64 v32, null, s3, v32, vcc_lo
	v_add_co_u32 v35, vcc_lo, s4, v33
	v_add_co_ci_u32_e64 v36, null, s5, v34, vcc_lo
	global_load_dwordx2 v[47:48], v[31:32], off
	s_clause 0x1
	global_load_dwordx4 v[31:34], v[35:36], off
	global_load_dwordx4 v[35:38], v[35:36], off offset:16
	v_add_nc_u32_e32 v12, -6, v11
	v_lshlrev_b64 v[40:41], 3, v[12:13]
	v_add_nc_u32_e32 v12, -5, v11
	v_add_co_u32 v40, vcc_lo, s2, v40
	v_add_co_ci_u32_e64 v41, null, s3, v41, vcc_lo
	global_load_dwordx2 v[49:50], v[40:41], off
	v_lshlrev_b64 v[40:41], 3, v[12:13]
	v_add_nc_u32_e32 v12, -4, v11
	v_add_co_u32 v40, vcc_lo, s2, v40
	v_add_co_ci_u32_e64 v41, null, s3, v41, vcc_lo
	global_load_dwordx2 v[51:52], v[40:41], off
	;; [unrolled: 5-line block ×3, first 2 shown]
	v_lshlrev_b64 v[40:41], 3, v[12:13]
	v_add_nc_u32_e32 v12, 8, v39
	v_lshlrev_b64 v[42:43], 3, v[12:13]
	v_add_co_u32 v39, vcc_lo, s2, v40
	v_add_co_ci_u32_e64 v40, null, s3, v41, vcc_lo
	v_add_nc_u32_e32 v12, -2, v11
	v_add_co_u32 v44, vcc_lo, s4, v42
	v_add_co_ci_u32_e64 v45, null, s5, v43, vcc_lo
	global_load_dwordx2 v[55:56], v[39:40], off
	s_clause 0x1
	global_load_dwordx4 v[39:42], v[44:45], off
	global_load_dwordx4 v[43:46], v[44:45], off offset:16
	v_lshlrev_b64 v[57:58], 3, v[12:13]
	v_add_nc_u32_e32 v12, -1, v11
	v_add_co_u32 v57, vcc_lo, s2, v57
	v_add_co_ci_u32_e64 v58, null, s3, v58, vcc_lo
	v_lshlrev_b64 v[59:60], 3, v[12:13]
	v_mov_b32_e32 v12, v13
	global_load_dwordx2 v[57:58], v[57:58], off
	v_add_co_u32 v59, vcc_lo, s2, v59
	v_add_co_ci_u32_e64 v60, null, s3, v60, vcc_lo
	v_lshlrev_b64 v[61:62], 3, v[11:12]
	v_add_nc_u32_e32 v11, 48, v11
	global_load_dwordx2 v[59:60], v[59:60], off
	v_add_co_u32 v61, vcc_lo, s2, v61
	v_add_co_ci_u32_e64 v62, null, s3, v62, vcc_lo
	v_cmp_ge_i32_e32 vcc_lo, v7, v14
	global_load_dwordx2 v[61:62], v[61:62], off
	s_or_b32 s10, vcc_lo, s10
	s_waitcnt vmcnt(13)
	v_fma_f64 v[8:9], v[19:20], v[23:24], v[9:10]
	v_fma_f64 v[8:9], v[21:22], v[25:26], v[8:9]
	s_waitcnt vmcnt(12)
	v_fma_f64 v[8:9], v[15:16], v[27:28], v[8:9]
	v_fma_f64 v[8:9], v[17:18], v[29:30], v[8:9]
	s_waitcnt vmcnt(10)
	v_fma_f64 v[8:9], v[47:48], v[31:32], v[8:9]
	s_waitcnt vmcnt(8)
	;; [unrolled: 2-line block ×8, first 2 shown]
	v_fma_f64 v[9:10], v[61:62], v[45:46], v[8:9]
	s_andn2_b32 exec_lo, exec_lo, s10
	s_cbranch_execnz .LBB126_8
; %bb.9:
	s_or_b32 exec_lo, exec_lo, s10
.LBB126_10:
	s_or_b32 exec_lo, exec_lo, s9
	v_mbcnt_lo_u32_b32 v11, -1, 0
	v_xor_b32_e32 v7, 2, v11
	v_cmp_gt_i32_e32 vcc_lo, 32, v7
	v_cndmask_b32_e32 v7, v11, v7, vcc_lo
	v_lshlrev_b32_e32 v8, 2, v7
	ds_bpermute_b32 v7, v8, v9
	ds_bpermute_b32 v8, v8, v10
	s_waitcnt lgkmcnt(0)
	v_add_f64 v[7:8], v[9:10], v[7:8]
	v_xor_b32_e32 v9, 1, v11
	v_cmp_gt_i32_e32 vcc_lo, 32, v9
	v_cndmask_b32_e32 v9, v11, v9, vcc_lo
	v_cmp_eq_u32_e32 vcc_lo, 3, v0
	v_lshlrev_b32_e32 v10, 2, v9
	ds_bpermute_b32 v9, v10, v7
	ds_bpermute_b32 v10, v10, v8
	s_and_b32 exec_lo, exec_lo, vcc_lo
	s_cbranch_execz .LBB126_15
; %bb.11:
	s_waitcnt lgkmcnt(0)
	v_add_f64 v[7:8], v[7:8], v[9:10]
	v_lshlrev_b64 v[5:6], 3, v[5:6]
	s_mov_b32 s0, exec_lo
	v_mul_f64 v[3:4], v[3:4], v[7:8]
	v_cmpx_eq_f64_e32 0, v[1:2]
	s_xor_b32 s0, exec_lo, s0
	s_cbranch_execz .LBB126_13
; %bb.12:
	v_add_co_u32 v0, vcc_lo, s6, v5
	v_add_co_ci_u32_e64 v1, null, s7, v6, vcc_lo
                                        ; implicit-def: $vgpr5_vgpr6
	global_store_dwordx2 v[0:1], v[3:4], off
                                        ; implicit-def: $vgpr1_vgpr2
                                        ; implicit-def: $vgpr3_vgpr4
.LBB126_13:
	s_andn2_saveexec_b32 s0, s0
	s_cbranch_execz .LBB126_15
; %bb.14:
	v_add_co_u32 v5, vcc_lo, s6, v5
	v_add_co_ci_u32_e64 v6, null, s7, v6, vcc_lo
	global_load_dwordx2 v[7:8], v[5:6], off
	s_waitcnt vmcnt(0)
	v_fma_f64 v[0:1], v[1:2], v[7:8], v[3:4]
	global_store_dwordx2 v[5:6], v[0:1], off
.LBB126_15:
	s_endpgm
	.section	.rodata,"a",@progbits
	.p2align	6, 0x0
	.amdhsa_kernel _ZN9rocsparseL19gebsrmvn_1xn_kernelILj128ELj12ELj4EdEEvi20rocsparse_direction_NS_24const_host_device_scalarIT2_EEPKiS6_PKS3_S8_S4_PS3_21rocsparse_index_base_b
		.amdhsa_group_segment_fixed_size 0
		.amdhsa_private_segment_fixed_size 0
		.amdhsa_kernarg_size 72
		.amdhsa_user_sgpr_count 6
		.amdhsa_user_sgpr_private_segment_buffer 1
		.amdhsa_user_sgpr_dispatch_ptr 0
		.amdhsa_user_sgpr_queue_ptr 0
		.amdhsa_user_sgpr_kernarg_segment_ptr 1
		.amdhsa_user_sgpr_dispatch_id 0
		.amdhsa_user_sgpr_flat_scratch_init 0
		.amdhsa_user_sgpr_private_segment_size 0
		.amdhsa_wavefront_size32 1
		.amdhsa_uses_dynamic_stack 0
		.amdhsa_system_sgpr_private_segment_wavefront_offset 0
		.amdhsa_system_sgpr_workgroup_id_x 1
		.amdhsa_system_sgpr_workgroup_id_y 0
		.amdhsa_system_sgpr_workgroup_id_z 0
		.amdhsa_system_sgpr_workgroup_info 0
		.amdhsa_system_vgpr_workitem_id 0
		.amdhsa_next_free_vgpr 63
		.amdhsa_next_free_sgpr 11
		.amdhsa_reserve_vcc 1
		.amdhsa_reserve_flat_scratch 0
		.amdhsa_float_round_mode_32 0
		.amdhsa_float_round_mode_16_64 0
		.amdhsa_float_denorm_mode_32 3
		.amdhsa_float_denorm_mode_16_64 3
		.amdhsa_dx10_clamp 1
		.amdhsa_ieee_mode 1
		.amdhsa_fp16_overflow 0
		.amdhsa_workgroup_processor_mode 1
		.amdhsa_memory_ordered 1
		.amdhsa_forward_progress 1
		.amdhsa_shared_vgpr_count 0
		.amdhsa_exception_fp_ieee_invalid_op 0
		.amdhsa_exception_fp_denorm_src 0
		.amdhsa_exception_fp_ieee_div_zero 0
		.amdhsa_exception_fp_ieee_overflow 0
		.amdhsa_exception_fp_ieee_underflow 0
		.amdhsa_exception_fp_ieee_inexact 0
		.amdhsa_exception_int_div_zero 0
	.end_amdhsa_kernel
	.section	.text._ZN9rocsparseL19gebsrmvn_1xn_kernelILj128ELj12ELj4EdEEvi20rocsparse_direction_NS_24const_host_device_scalarIT2_EEPKiS6_PKS3_S8_S4_PS3_21rocsparse_index_base_b,"axG",@progbits,_ZN9rocsparseL19gebsrmvn_1xn_kernelILj128ELj12ELj4EdEEvi20rocsparse_direction_NS_24const_host_device_scalarIT2_EEPKiS6_PKS3_S8_S4_PS3_21rocsparse_index_base_b,comdat
.Lfunc_end126:
	.size	_ZN9rocsparseL19gebsrmvn_1xn_kernelILj128ELj12ELj4EdEEvi20rocsparse_direction_NS_24const_host_device_scalarIT2_EEPKiS6_PKS3_S8_S4_PS3_21rocsparse_index_base_b, .Lfunc_end126-_ZN9rocsparseL19gebsrmvn_1xn_kernelILj128ELj12ELj4EdEEvi20rocsparse_direction_NS_24const_host_device_scalarIT2_EEPKiS6_PKS3_S8_S4_PS3_21rocsparse_index_base_b
                                        ; -- End function
	.set _ZN9rocsparseL19gebsrmvn_1xn_kernelILj128ELj12ELj4EdEEvi20rocsparse_direction_NS_24const_host_device_scalarIT2_EEPKiS6_PKS3_S8_S4_PS3_21rocsparse_index_base_b.num_vgpr, 63
	.set _ZN9rocsparseL19gebsrmvn_1xn_kernelILj128ELj12ELj4EdEEvi20rocsparse_direction_NS_24const_host_device_scalarIT2_EEPKiS6_PKS3_S8_S4_PS3_21rocsparse_index_base_b.num_agpr, 0
	.set _ZN9rocsparseL19gebsrmvn_1xn_kernelILj128ELj12ELj4EdEEvi20rocsparse_direction_NS_24const_host_device_scalarIT2_EEPKiS6_PKS3_S8_S4_PS3_21rocsparse_index_base_b.numbered_sgpr, 11
	.set _ZN9rocsparseL19gebsrmvn_1xn_kernelILj128ELj12ELj4EdEEvi20rocsparse_direction_NS_24const_host_device_scalarIT2_EEPKiS6_PKS3_S8_S4_PS3_21rocsparse_index_base_b.num_named_barrier, 0
	.set _ZN9rocsparseL19gebsrmvn_1xn_kernelILj128ELj12ELj4EdEEvi20rocsparse_direction_NS_24const_host_device_scalarIT2_EEPKiS6_PKS3_S8_S4_PS3_21rocsparse_index_base_b.private_seg_size, 0
	.set _ZN9rocsparseL19gebsrmvn_1xn_kernelILj128ELj12ELj4EdEEvi20rocsparse_direction_NS_24const_host_device_scalarIT2_EEPKiS6_PKS3_S8_S4_PS3_21rocsparse_index_base_b.uses_vcc, 1
	.set _ZN9rocsparseL19gebsrmvn_1xn_kernelILj128ELj12ELj4EdEEvi20rocsparse_direction_NS_24const_host_device_scalarIT2_EEPKiS6_PKS3_S8_S4_PS3_21rocsparse_index_base_b.uses_flat_scratch, 0
	.set _ZN9rocsparseL19gebsrmvn_1xn_kernelILj128ELj12ELj4EdEEvi20rocsparse_direction_NS_24const_host_device_scalarIT2_EEPKiS6_PKS3_S8_S4_PS3_21rocsparse_index_base_b.has_dyn_sized_stack, 0
	.set _ZN9rocsparseL19gebsrmvn_1xn_kernelILj128ELj12ELj4EdEEvi20rocsparse_direction_NS_24const_host_device_scalarIT2_EEPKiS6_PKS3_S8_S4_PS3_21rocsparse_index_base_b.has_recursion, 0
	.set _ZN9rocsparseL19gebsrmvn_1xn_kernelILj128ELj12ELj4EdEEvi20rocsparse_direction_NS_24const_host_device_scalarIT2_EEPKiS6_PKS3_S8_S4_PS3_21rocsparse_index_base_b.has_indirect_call, 0
	.section	.AMDGPU.csdata,"",@progbits
; Kernel info:
; codeLenInByte = 1244
; TotalNumSgprs: 13
; NumVgprs: 63
; ScratchSize: 0
; MemoryBound: 1
; FloatMode: 240
; IeeeMode: 1
; LDSByteSize: 0 bytes/workgroup (compile time only)
; SGPRBlocks: 0
; VGPRBlocks: 7
; NumSGPRsForWavesPerEU: 13
; NumVGPRsForWavesPerEU: 63
; Occupancy: 16
; WaveLimiterHint : 1
; COMPUTE_PGM_RSRC2:SCRATCH_EN: 0
; COMPUTE_PGM_RSRC2:USER_SGPR: 6
; COMPUTE_PGM_RSRC2:TRAP_HANDLER: 0
; COMPUTE_PGM_RSRC2:TGID_X_EN: 1
; COMPUTE_PGM_RSRC2:TGID_Y_EN: 0
; COMPUTE_PGM_RSRC2:TGID_Z_EN: 0
; COMPUTE_PGM_RSRC2:TIDIG_COMP_CNT: 0
	.section	.text._ZN9rocsparseL19gebsrmvn_1xn_kernelILj128ELj12ELj8EdEEvi20rocsparse_direction_NS_24const_host_device_scalarIT2_EEPKiS6_PKS3_S8_S4_PS3_21rocsparse_index_base_b,"axG",@progbits,_ZN9rocsparseL19gebsrmvn_1xn_kernelILj128ELj12ELj8EdEEvi20rocsparse_direction_NS_24const_host_device_scalarIT2_EEPKiS6_PKS3_S8_S4_PS3_21rocsparse_index_base_b,comdat
	.globl	_ZN9rocsparseL19gebsrmvn_1xn_kernelILj128ELj12ELj8EdEEvi20rocsparse_direction_NS_24const_host_device_scalarIT2_EEPKiS6_PKS3_S8_S4_PS3_21rocsparse_index_base_b ; -- Begin function _ZN9rocsparseL19gebsrmvn_1xn_kernelILj128ELj12ELj8EdEEvi20rocsparse_direction_NS_24const_host_device_scalarIT2_EEPKiS6_PKS3_S8_S4_PS3_21rocsparse_index_base_b
	.p2align	8
	.type	_ZN9rocsparseL19gebsrmvn_1xn_kernelILj128ELj12ELj8EdEEvi20rocsparse_direction_NS_24const_host_device_scalarIT2_EEPKiS6_PKS3_S8_S4_PS3_21rocsparse_index_base_b,@function
_ZN9rocsparseL19gebsrmvn_1xn_kernelILj128ELj12ELj8EdEEvi20rocsparse_direction_NS_24const_host_device_scalarIT2_EEPKiS6_PKS3_S8_S4_PS3_21rocsparse_index_base_b: ; @_ZN9rocsparseL19gebsrmvn_1xn_kernelILj128ELj12ELj8EdEEvi20rocsparse_direction_NS_24const_host_device_scalarIT2_EEPKiS6_PKS3_S8_S4_PS3_21rocsparse_index_base_b
; %bb.0:
	s_clause 0x2
	s_load_dwordx2 s[8:9], s[4:5], 0x40
	s_load_dwordx2 s[2:3], s[4:5], 0x8
	;; [unrolled: 1-line block ×3, first 2 shown]
	s_waitcnt lgkmcnt(0)
	s_bitcmp1_b32 s9, 0
	v_mov_b32_e32 v4, s3
	v_mov_b32_e32 v3, s2
	s_cselect_b32 s7, -1, 0
	s_and_b32 vcc_lo, exec_lo, s7
	s_xor_b32 s7, s7, -1
	s_cbranch_vccnz .LBB127_2
; %bb.1:
	v_mov_b32_e32 v1, s2
	v_mov_b32_e32 v2, s3
	flat_load_dwordx2 v[3:4], v[1:2]
.LBB127_2:
	v_mov_b32_e32 v2, s1
	v_mov_b32_e32 v1, s0
	s_andn2_b32 vcc_lo, exec_lo, s7
	s_cbranch_vccnz .LBB127_4
; %bb.3:
	v_mov_b32_e32 v2, s1
	v_mov_b32_e32 v1, s0
	flat_load_dwordx2 v[1:2], v[1:2]
.LBB127_4:
	s_waitcnt vmcnt(0) lgkmcnt(0)
	v_cmp_neq_f64_e32 vcc_lo, 0, v[3:4]
	v_cmp_neq_f64_e64 s0, 1.0, v[1:2]
	s_or_b32 s0, vcc_lo, s0
	s_and_saveexec_b32 s1, s0
	s_cbranch_execz .LBB127_15
; %bb.5:
	s_load_dword s0, s[4:5], 0x0
	v_lshrrev_b32_e32 v5, 3, v0
	v_lshl_or_b32 v5, s6, 4, v5
	s_waitcnt lgkmcnt(0)
	v_cmp_gt_i32_e32 vcc_lo, s0, v5
	s_and_b32 exec_lo, exec_lo, vcc_lo
	s_cbranch_execz .LBB127_15
; %bb.6:
	s_clause 0x1
	s_load_dwordx2 s[0:1], s[4:5], 0x10
	s_load_dwordx2 s[6:7], s[4:5], 0x38
	v_ashrrev_i32_e32 v6, 31, v5
	v_and_b32_e32 v0, 7, v0
	s_mov_b32 s9, exec_lo
	v_lshlrev_b64 v[7:8], 2, v[5:6]
	v_subrev_nc_u32_e32 v9, s8, v0
	s_waitcnt lgkmcnt(0)
	v_add_co_u32 v7, vcc_lo, s0, v7
	v_add_co_ci_u32_e64 v8, null, s1, v8, vcc_lo
	global_load_dwordx2 v[7:8], v[7:8], off
	s_waitcnt vmcnt(0)
	v_add_nc_u32_e32 v7, v7, v9
	v_mov_b32_e32 v9, 0
	v_subrev_nc_u32_e32 v14, s8, v8
	v_mov_b32_e32 v10, 0
	v_cmpx_lt_i32_e64 v7, v14
	s_cbranch_execz .LBB127_10
; %bb.7:
	s_clause 0x1
	s_load_dwordx4 s[0:3], s[4:5], 0x18
	s_load_dwordx2 s[4:5], s[4:5], 0x28
	v_mad_u64_u32 v[11:12], null, v7, 12, 11
	v_mov_b32_e32 v9, 0
	v_mov_b32_e32 v10, 0
	;; [unrolled: 1-line block ×3, first 2 shown]
	s_mov_b32 s10, 0
.LBB127_8:                              ; =>This Inner Loop Header: Depth=1
	v_ashrrev_i32_e32 v8, 31, v7
	v_add_nc_u32_e32 v12, -11, v11
	v_mov_b32_e32 v40, v13
	v_lshlrev_b64 v[15:16], 2, v[7:8]
	v_add_nc_u32_e32 v7, 8, v7
	s_waitcnt lgkmcnt(0)
	v_add_co_u32 v15, vcc_lo, s0, v15
	v_add_co_ci_u32_e64 v16, null, s1, v16, vcc_lo
	global_load_dword v8, v[15:16], off
	v_lshlrev_b64 v[15:16], 3, v[12:13]
	v_add_nc_u32_e32 v12, -7, v11
	v_lshlrev_b64 v[31:32], 3, v[12:13]
	v_add_co_u32 v19, vcc_lo, s2, v15
	v_add_co_ci_u32_e64 v20, null, s3, v16, vcc_lo
	s_waitcnt vmcnt(0)
	v_subrev_nc_u32_e32 v8, s8, v8
	v_mul_lo_u32 v39, v8, 12
	v_lshlrev_b64 v[17:18], 3, v[39:40]
	v_add_nc_u32_e32 v12, 4, v39
	v_lshlrev_b64 v[33:34], 3, v[12:13]
	v_add_co_u32 v27, vcc_lo, s4, v17
	v_add_co_ci_u32_e64 v28, null, s5, v18, vcc_lo
	s_clause 0x1
	global_load_dwordx4 v[15:18], v[19:20], off offset:16
	global_load_dwordx4 v[19:22], v[19:20], off
	s_clause 0x1
	global_load_dwordx4 v[23:26], v[27:28], off
	global_load_dwordx4 v[27:30], v[27:28], off offset:16
	v_add_co_u32 v31, vcc_lo, s2, v31
	v_add_co_ci_u32_e64 v32, null, s3, v32, vcc_lo
	v_add_co_u32 v35, vcc_lo, s4, v33
	v_add_co_ci_u32_e64 v36, null, s5, v34, vcc_lo
	global_load_dwordx2 v[47:48], v[31:32], off
	s_clause 0x1
	global_load_dwordx4 v[31:34], v[35:36], off
	global_load_dwordx4 v[35:38], v[35:36], off offset:16
	v_add_nc_u32_e32 v12, -6, v11
	v_lshlrev_b64 v[40:41], 3, v[12:13]
	v_add_nc_u32_e32 v12, -5, v11
	v_add_co_u32 v40, vcc_lo, s2, v40
	v_add_co_ci_u32_e64 v41, null, s3, v41, vcc_lo
	global_load_dwordx2 v[49:50], v[40:41], off
	v_lshlrev_b64 v[40:41], 3, v[12:13]
	v_add_nc_u32_e32 v12, -4, v11
	v_add_co_u32 v40, vcc_lo, s2, v40
	v_add_co_ci_u32_e64 v41, null, s3, v41, vcc_lo
	global_load_dwordx2 v[51:52], v[40:41], off
	;; [unrolled: 5-line block ×3, first 2 shown]
	v_lshlrev_b64 v[40:41], 3, v[12:13]
	v_add_nc_u32_e32 v12, 8, v39
	v_lshlrev_b64 v[42:43], 3, v[12:13]
	v_add_co_u32 v39, vcc_lo, s2, v40
	v_add_co_ci_u32_e64 v40, null, s3, v41, vcc_lo
	v_add_nc_u32_e32 v12, -2, v11
	v_add_co_u32 v44, vcc_lo, s4, v42
	v_add_co_ci_u32_e64 v45, null, s5, v43, vcc_lo
	global_load_dwordx2 v[55:56], v[39:40], off
	s_clause 0x1
	global_load_dwordx4 v[39:42], v[44:45], off
	global_load_dwordx4 v[43:46], v[44:45], off offset:16
	v_lshlrev_b64 v[57:58], 3, v[12:13]
	v_add_nc_u32_e32 v12, -1, v11
	v_add_co_u32 v57, vcc_lo, s2, v57
	v_add_co_ci_u32_e64 v58, null, s3, v58, vcc_lo
	v_lshlrev_b64 v[59:60], 3, v[12:13]
	v_mov_b32_e32 v12, v13
	global_load_dwordx2 v[57:58], v[57:58], off
	v_add_co_u32 v59, vcc_lo, s2, v59
	v_add_co_ci_u32_e64 v60, null, s3, v60, vcc_lo
	v_lshlrev_b64 v[61:62], 3, v[11:12]
	v_add_nc_u32_e32 v11, 0x60, v11
	global_load_dwordx2 v[59:60], v[59:60], off
	v_add_co_u32 v61, vcc_lo, s2, v61
	v_add_co_ci_u32_e64 v62, null, s3, v62, vcc_lo
	v_cmp_ge_i32_e32 vcc_lo, v7, v14
	global_load_dwordx2 v[61:62], v[61:62], off
	s_or_b32 s10, vcc_lo, s10
	s_waitcnt vmcnt(13)
	v_fma_f64 v[8:9], v[19:20], v[23:24], v[9:10]
	v_fma_f64 v[8:9], v[21:22], v[25:26], v[8:9]
	s_waitcnt vmcnt(12)
	v_fma_f64 v[8:9], v[15:16], v[27:28], v[8:9]
	v_fma_f64 v[8:9], v[17:18], v[29:30], v[8:9]
	s_waitcnt vmcnt(10)
	v_fma_f64 v[8:9], v[47:48], v[31:32], v[8:9]
	s_waitcnt vmcnt(8)
	;; [unrolled: 2-line block ×8, first 2 shown]
	v_fma_f64 v[9:10], v[61:62], v[45:46], v[8:9]
	s_andn2_b32 exec_lo, exec_lo, s10
	s_cbranch_execnz .LBB127_8
; %bb.9:
	s_or_b32 exec_lo, exec_lo, s10
.LBB127_10:
	s_or_b32 exec_lo, exec_lo, s9
	v_mbcnt_lo_u32_b32 v11, -1, 0
	v_xor_b32_e32 v7, 4, v11
	v_cmp_gt_i32_e32 vcc_lo, 32, v7
	v_cndmask_b32_e32 v7, v11, v7, vcc_lo
	v_lshlrev_b32_e32 v8, 2, v7
	ds_bpermute_b32 v7, v8, v9
	ds_bpermute_b32 v8, v8, v10
	s_waitcnt lgkmcnt(0)
	v_add_f64 v[7:8], v[9:10], v[7:8]
	v_xor_b32_e32 v9, 2, v11
	v_cmp_gt_i32_e32 vcc_lo, 32, v9
	v_cndmask_b32_e32 v9, v11, v9, vcc_lo
	v_lshlrev_b32_e32 v10, 2, v9
	ds_bpermute_b32 v9, v10, v7
	ds_bpermute_b32 v10, v10, v8
	s_waitcnt lgkmcnt(0)
	v_add_f64 v[7:8], v[7:8], v[9:10]
	v_xor_b32_e32 v9, 1, v11
	v_cmp_gt_i32_e32 vcc_lo, 32, v9
	v_cndmask_b32_e32 v9, v11, v9, vcc_lo
	v_cmp_eq_u32_e32 vcc_lo, 7, v0
	v_lshlrev_b32_e32 v10, 2, v9
	ds_bpermute_b32 v9, v10, v7
	ds_bpermute_b32 v10, v10, v8
	s_and_b32 exec_lo, exec_lo, vcc_lo
	s_cbranch_execz .LBB127_15
; %bb.11:
	s_waitcnt lgkmcnt(0)
	v_add_f64 v[7:8], v[7:8], v[9:10]
	v_lshlrev_b64 v[5:6], 3, v[5:6]
	s_mov_b32 s0, exec_lo
	v_mul_f64 v[3:4], v[3:4], v[7:8]
	v_cmpx_eq_f64_e32 0, v[1:2]
	s_xor_b32 s0, exec_lo, s0
	s_cbranch_execz .LBB127_13
; %bb.12:
	v_add_co_u32 v0, vcc_lo, s6, v5
	v_add_co_ci_u32_e64 v1, null, s7, v6, vcc_lo
                                        ; implicit-def: $vgpr5_vgpr6
	global_store_dwordx2 v[0:1], v[3:4], off
                                        ; implicit-def: $vgpr1_vgpr2
                                        ; implicit-def: $vgpr3_vgpr4
.LBB127_13:
	s_andn2_saveexec_b32 s0, s0
	s_cbranch_execz .LBB127_15
; %bb.14:
	v_add_co_u32 v5, vcc_lo, s6, v5
	v_add_co_ci_u32_e64 v6, null, s7, v6, vcc_lo
	global_load_dwordx2 v[7:8], v[5:6], off
	s_waitcnt vmcnt(0)
	v_fma_f64 v[0:1], v[1:2], v[7:8], v[3:4]
	global_store_dwordx2 v[5:6], v[0:1], off
.LBB127_15:
	s_endpgm
	.section	.rodata,"a",@progbits
	.p2align	6, 0x0
	.amdhsa_kernel _ZN9rocsparseL19gebsrmvn_1xn_kernelILj128ELj12ELj8EdEEvi20rocsparse_direction_NS_24const_host_device_scalarIT2_EEPKiS6_PKS3_S8_S4_PS3_21rocsparse_index_base_b
		.amdhsa_group_segment_fixed_size 0
		.amdhsa_private_segment_fixed_size 0
		.amdhsa_kernarg_size 72
		.amdhsa_user_sgpr_count 6
		.amdhsa_user_sgpr_private_segment_buffer 1
		.amdhsa_user_sgpr_dispatch_ptr 0
		.amdhsa_user_sgpr_queue_ptr 0
		.amdhsa_user_sgpr_kernarg_segment_ptr 1
		.amdhsa_user_sgpr_dispatch_id 0
		.amdhsa_user_sgpr_flat_scratch_init 0
		.amdhsa_user_sgpr_private_segment_size 0
		.amdhsa_wavefront_size32 1
		.amdhsa_uses_dynamic_stack 0
		.amdhsa_system_sgpr_private_segment_wavefront_offset 0
		.amdhsa_system_sgpr_workgroup_id_x 1
		.amdhsa_system_sgpr_workgroup_id_y 0
		.amdhsa_system_sgpr_workgroup_id_z 0
		.amdhsa_system_sgpr_workgroup_info 0
		.amdhsa_system_vgpr_workitem_id 0
		.amdhsa_next_free_vgpr 63
		.amdhsa_next_free_sgpr 11
		.amdhsa_reserve_vcc 1
		.amdhsa_reserve_flat_scratch 0
		.amdhsa_float_round_mode_32 0
		.amdhsa_float_round_mode_16_64 0
		.amdhsa_float_denorm_mode_32 3
		.amdhsa_float_denorm_mode_16_64 3
		.amdhsa_dx10_clamp 1
		.amdhsa_ieee_mode 1
		.amdhsa_fp16_overflow 0
		.amdhsa_workgroup_processor_mode 1
		.amdhsa_memory_ordered 1
		.amdhsa_forward_progress 1
		.amdhsa_shared_vgpr_count 0
		.amdhsa_exception_fp_ieee_invalid_op 0
		.amdhsa_exception_fp_denorm_src 0
		.amdhsa_exception_fp_ieee_div_zero 0
		.amdhsa_exception_fp_ieee_overflow 0
		.amdhsa_exception_fp_ieee_underflow 0
		.amdhsa_exception_fp_ieee_inexact 0
		.amdhsa_exception_int_div_zero 0
	.end_amdhsa_kernel
	.section	.text._ZN9rocsparseL19gebsrmvn_1xn_kernelILj128ELj12ELj8EdEEvi20rocsparse_direction_NS_24const_host_device_scalarIT2_EEPKiS6_PKS3_S8_S4_PS3_21rocsparse_index_base_b,"axG",@progbits,_ZN9rocsparseL19gebsrmvn_1xn_kernelILj128ELj12ELj8EdEEvi20rocsparse_direction_NS_24const_host_device_scalarIT2_EEPKiS6_PKS3_S8_S4_PS3_21rocsparse_index_base_b,comdat
.Lfunc_end127:
	.size	_ZN9rocsparseL19gebsrmvn_1xn_kernelILj128ELj12ELj8EdEEvi20rocsparse_direction_NS_24const_host_device_scalarIT2_EEPKiS6_PKS3_S8_S4_PS3_21rocsparse_index_base_b, .Lfunc_end127-_ZN9rocsparseL19gebsrmvn_1xn_kernelILj128ELj12ELj8EdEEvi20rocsparse_direction_NS_24const_host_device_scalarIT2_EEPKiS6_PKS3_S8_S4_PS3_21rocsparse_index_base_b
                                        ; -- End function
	.set _ZN9rocsparseL19gebsrmvn_1xn_kernelILj128ELj12ELj8EdEEvi20rocsparse_direction_NS_24const_host_device_scalarIT2_EEPKiS6_PKS3_S8_S4_PS3_21rocsparse_index_base_b.num_vgpr, 63
	.set _ZN9rocsparseL19gebsrmvn_1xn_kernelILj128ELj12ELj8EdEEvi20rocsparse_direction_NS_24const_host_device_scalarIT2_EEPKiS6_PKS3_S8_S4_PS3_21rocsparse_index_base_b.num_agpr, 0
	.set _ZN9rocsparseL19gebsrmvn_1xn_kernelILj128ELj12ELj8EdEEvi20rocsparse_direction_NS_24const_host_device_scalarIT2_EEPKiS6_PKS3_S8_S4_PS3_21rocsparse_index_base_b.numbered_sgpr, 11
	.set _ZN9rocsparseL19gebsrmvn_1xn_kernelILj128ELj12ELj8EdEEvi20rocsparse_direction_NS_24const_host_device_scalarIT2_EEPKiS6_PKS3_S8_S4_PS3_21rocsparse_index_base_b.num_named_barrier, 0
	.set _ZN9rocsparseL19gebsrmvn_1xn_kernelILj128ELj12ELj8EdEEvi20rocsparse_direction_NS_24const_host_device_scalarIT2_EEPKiS6_PKS3_S8_S4_PS3_21rocsparse_index_base_b.private_seg_size, 0
	.set _ZN9rocsparseL19gebsrmvn_1xn_kernelILj128ELj12ELj8EdEEvi20rocsparse_direction_NS_24const_host_device_scalarIT2_EEPKiS6_PKS3_S8_S4_PS3_21rocsparse_index_base_b.uses_vcc, 1
	.set _ZN9rocsparseL19gebsrmvn_1xn_kernelILj128ELj12ELj8EdEEvi20rocsparse_direction_NS_24const_host_device_scalarIT2_EEPKiS6_PKS3_S8_S4_PS3_21rocsparse_index_base_b.uses_flat_scratch, 0
	.set _ZN9rocsparseL19gebsrmvn_1xn_kernelILj128ELj12ELj8EdEEvi20rocsparse_direction_NS_24const_host_device_scalarIT2_EEPKiS6_PKS3_S8_S4_PS3_21rocsparse_index_base_b.has_dyn_sized_stack, 0
	.set _ZN9rocsparseL19gebsrmvn_1xn_kernelILj128ELj12ELj8EdEEvi20rocsparse_direction_NS_24const_host_device_scalarIT2_EEPKiS6_PKS3_S8_S4_PS3_21rocsparse_index_base_b.has_recursion, 0
	.set _ZN9rocsparseL19gebsrmvn_1xn_kernelILj128ELj12ELj8EdEEvi20rocsparse_direction_NS_24const_host_device_scalarIT2_EEPKiS6_PKS3_S8_S4_PS3_21rocsparse_index_base_b.has_indirect_call, 0
	.section	.AMDGPU.csdata,"",@progbits
; Kernel info:
; codeLenInByte = 1292
; TotalNumSgprs: 13
; NumVgprs: 63
; ScratchSize: 0
; MemoryBound: 1
; FloatMode: 240
; IeeeMode: 1
; LDSByteSize: 0 bytes/workgroup (compile time only)
; SGPRBlocks: 0
; VGPRBlocks: 7
; NumSGPRsForWavesPerEU: 13
; NumVGPRsForWavesPerEU: 63
; Occupancy: 16
; WaveLimiterHint : 1
; COMPUTE_PGM_RSRC2:SCRATCH_EN: 0
; COMPUTE_PGM_RSRC2:USER_SGPR: 6
; COMPUTE_PGM_RSRC2:TRAP_HANDLER: 0
; COMPUTE_PGM_RSRC2:TGID_X_EN: 1
; COMPUTE_PGM_RSRC2:TGID_Y_EN: 0
; COMPUTE_PGM_RSRC2:TGID_Z_EN: 0
; COMPUTE_PGM_RSRC2:TIDIG_COMP_CNT: 0
	.section	.text._ZN9rocsparseL19gebsrmvn_1xn_kernelILj128ELj12ELj16EdEEvi20rocsparse_direction_NS_24const_host_device_scalarIT2_EEPKiS6_PKS3_S8_S4_PS3_21rocsparse_index_base_b,"axG",@progbits,_ZN9rocsparseL19gebsrmvn_1xn_kernelILj128ELj12ELj16EdEEvi20rocsparse_direction_NS_24const_host_device_scalarIT2_EEPKiS6_PKS3_S8_S4_PS3_21rocsparse_index_base_b,comdat
	.globl	_ZN9rocsparseL19gebsrmvn_1xn_kernelILj128ELj12ELj16EdEEvi20rocsparse_direction_NS_24const_host_device_scalarIT2_EEPKiS6_PKS3_S8_S4_PS3_21rocsparse_index_base_b ; -- Begin function _ZN9rocsparseL19gebsrmvn_1xn_kernelILj128ELj12ELj16EdEEvi20rocsparse_direction_NS_24const_host_device_scalarIT2_EEPKiS6_PKS3_S8_S4_PS3_21rocsparse_index_base_b
	.p2align	8
	.type	_ZN9rocsparseL19gebsrmvn_1xn_kernelILj128ELj12ELj16EdEEvi20rocsparse_direction_NS_24const_host_device_scalarIT2_EEPKiS6_PKS3_S8_S4_PS3_21rocsparse_index_base_b,@function
_ZN9rocsparseL19gebsrmvn_1xn_kernelILj128ELj12ELj16EdEEvi20rocsparse_direction_NS_24const_host_device_scalarIT2_EEPKiS6_PKS3_S8_S4_PS3_21rocsparse_index_base_b: ; @_ZN9rocsparseL19gebsrmvn_1xn_kernelILj128ELj12ELj16EdEEvi20rocsparse_direction_NS_24const_host_device_scalarIT2_EEPKiS6_PKS3_S8_S4_PS3_21rocsparse_index_base_b
; %bb.0:
	s_clause 0x2
	s_load_dwordx2 s[8:9], s[4:5], 0x40
	s_load_dwordx2 s[2:3], s[4:5], 0x8
	;; [unrolled: 1-line block ×3, first 2 shown]
	s_waitcnt lgkmcnt(0)
	s_bitcmp1_b32 s9, 0
	v_mov_b32_e32 v4, s3
	v_mov_b32_e32 v3, s2
	s_cselect_b32 s7, -1, 0
	s_and_b32 vcc_lo, exec_lo, s7
	s_xor_b32 s7, s7, -1
	s_cbranch_vccnz .LBB128_2
; %bb.1:
	v_mov_b32_e32 v1, s2
	v_mov_b32_e32 v2, s3
	flat_load_dwordx2 v[3:4], v[1:2]
.LBB128_2:
	v_mov_b32_e32 v2, s1
	v_mov_b32_e32 v1, s0
	s_andn2_b32 vcc_lo, exec_lo, s7
	s_cbranch_vccnz .LBB128_4
; %bb.3:
	v_mov_b32_e32 v2, s1
	v_mov_b32_e32 v1, s0
	flat_load_dwordx2 v[1:2], v[1:2]
.LBB128_4:
	s_waitcnt vmcnt(0) lgkmcnt(0)
	v_cmp_neq_f64_e32 vcc_lo, 0, v[3:4]
	v_cmp_neq_f64_e64 s0, 1.0, v[1:2]
	s_or_b32 s0, vcc_lo, s0
	s_and_saveexec_b32 s1, s0
	s_cbranch_execz .LBB128_15
; %bb.5:
	s_load_dword s0, s[4:5], 0x0
	v_lshrrev_b32_e32 v5, 4, v0
	v_lshl_or_b32 v5, s6, 3, v5
	s_waitcnt lgkmcnt(0)
	v_cmp_gt_i32_e32 vcc_lo, s0, v5
	s_and_b32 exec_lo, exec_lo, vcc_lo
	s_cbranch_execz .LBB128_15
; %bb.6:
	s_clause 0x1
	s_load_dwordx2 s[0:1], s[4:5], 0x10
	s_load_dwordx2 s[6:7], s[4:5], 0x38
	v_ashrrev_i32_e32 v6, 31, v5
	v_and_b32_e32 v0, 15, v0
	s_mov_b32 s9, exec_lo
	v_lshlrev_b64 v[7:8], 2, v[5:6]
	v_subrev_nc_u32_e32 v9, s8, v0
	s_waitcnt lgkmcnt(0)
	v_add_co_u32 v7, vcc_lo, s0, v7
	v_add_co_ci_u32_e64 v8, null, s1, v8, vcc_lo
	global_load_dwordx2 v[7:8], v[7:8], off
	s_waitcnt vmcnt(0)
	v_add_nc_u32_e32 v7, v7, v9
	v_mov_b32_e32 v9, 0
	v_subrev_nc_u32_e32 v14, s8, v8
	v_mov_b32_e32 v10, 0
	v_cmpx_lt_i32_e64 v7, v14
	s_cbranch_execz .LBB128_10
; %bb.7:
	s_clause 0x1
	s_load_dwordx4 s[0:3], s[4:5], 0x18
	s_load_dwordx2 s[4:5], s[4:5], 0x28
	v_mad_u64_u32 v[11:12], null, v7, 12, 11
	v_mov_b32_e32 v9, 0
	v_mov_b32_e32 v10, 0
	;; [unrolled: 1-line block ×3, first 2 shown]
	s_mov_b32 s10, 0
.LBB128_8:                              ; =>This Inner Loop Header: Depth=1
	v_ashrrev_i32_e32 v8, 31, v7
	v_add_nc_u32_e32 v12, -11, v11
	v_mov_b32_e32 v40, v13
	v_lshlrev_b64 v[15:16], 2, v[7:8]
	v_add_nc_u32_e32 v7, 16, v7
	s_waitcnt lgkmcnt(0)
	v_add_co_u32 v15, vcc_lo, s0, v15
	v_add_co_ci_u32_e64 v16, null, s1, v16, vcc_lo
	global_load_dword v8, v[15:16], off
	v_lshlrev_b64 v[15:16], 3, v[12:13]
	v_add_nc_u32_e32 v12, -7, v11
	v_lshlrev_b64 v[31:32], 3, v[12:13]
	v_add_co_u32 v19, vcc_lo, s2, v15
	v_add_co_ci_u32_e64 v20, null, s3, v16, vcc_lo
	s_waitcnt vmcnt(0)
	v_subrev_nc_u32_e32 v8, s8, v8
	v_mul_lo_u32 v39, v8, 12
	v_lshlrev_b64 v[17:18], 3, v[39:40]
	v_add_nc_u32_e32 v12, 4, v39
	v_lshlrev_b64 v[33:34], 3, v[12:13]
	v_add_co_u32 v27, vcc_lo, s4, v17
	v_add_co_ci_u32_e64 v28, null, s5, v18, vcc_lo
	s_clause 0x1
	global_load_dwordx4 v[15:18], v[19:20], off offset:16
	global_load_dwordx4 v[19:22], v[19:20], off
	s_clause 0x1
	global_load_dwordx4 v[23:26], v[27:28], off
	global_load_dwordx4 v[27:30], v[27:28], off offset:16
	v_add_co_u32 v31, vcc_lo, s2, v31
	v_add_co_ci_u32_e64 v32, null, s3, v32, vcc_lo
	v_add_co_u32 v35, vcc_lo, s4, v33
	v_add_co_ci_u32_e64 v36, null, s5, v34, vcc_lo
	global_load_dwordx2 v[47:48], v[31:32], off
	s_clause 0x1
	global_load_dwordx4 v[31:34], v[35:36], off
	global_load_dwordx4 v[35:38], v[35:36], off offset:16
	v_add_nc_u32_e32 v12, -6, v11
	v_lshlrev_b64 v[40:41], 3, v[12:13]
	v_add_nc_u32_e32 v12, -5, v11
	v_add_co_u32 v40, vcc_lo, s2, v40
	v_add_co_ci_u32_e64 v41, null, s3, v41, vcc_lo
	global_load_dwordx2 v[49:50], v[40:41], off
	v_lshlrev_b64 v[40:41], 3, v[12:13]
	v_add_nc_u32_e32 v12, -4, v11
	v_add_co_u32 v40, vcc_lo, s2, v40
	v_add_co_ci_u32_e64 v41, null, s3, v41, vcc_lo
	global_load_dwordx2 v[51:52], v[40:41], off
	;; [unrolled: 5-line block ×3, first 2 shown]
	v_lshlrev_b64 v[40:41], 3, v[12:13]
	v_add_nc_u32_e32 v12, 8, v39
	v_lshlrev_b64 v[42:43], 3, v[12:13]
	v_add_co_u32 v39, vcc_lo, s2, v40
	v_add_co_ci_u32_e64 v40, null, s3, v41, vcc_lo
	v_add_nc_u32_e32 v12, -2, v11
	v_add_co_u32 v44, vcc_lo, s4, v42
	v_add_co_ci_u32_e64 v45, null, s5, v43, vcc_lo
	global_load_dwordx2 v[55:56], v[39:40], off
	s_clause 0x1
	global_load_dwordx4 v[39:42], v[44:45], off
	global_load_dwordx4 v[43:46], v[44:45], off offset:16
	v_lshlrev_b64 v[57:58], 3, v[12:13]
	v_add_nc_u32_e32 v12, -1, v11
	v_add_co_u32 v57, vcc_lo, s2, v57
	v_add_co_ci_u32_e64 v58, null, s3, v58, vcc_lo
	v_lshlrev_b64 v[59:60], 3, v[12:13]
	v_mov_b32_e32 v12, v13
	global_load_dwordx2 v[57:58], v[57:58], off
	v_add_co_u32 v59, vcc_lo, s2, v59
	v_add_co_ci_u32_e64 v60, null, s3, v60, vcc_lo
	v_lshlrev_b64 v[61:62], 3, v[11:12]
	v_add_nc_u32_e32 v11, 0xc0, v11
	global_load_dwordx2 v[59:60], v[59:60], off
	v_add_co_u32 v61, vcc_lo, s2, v61
	v_add_co_ci_u32_e64 v62, null, s3, v62, vcc_lo
	v_cmp_ge_i32_e32 vcc_lo, v7, v14
	global_load_dwordx2 v[61:62], v[61:62], off
	s_or_b32 s10, vcc_lo, s10
	s_waitcnt vmcnt(13)
	v_fma_f64 v[8:9], v[19:20], v[23:24], v[9:10]
	v_fma_f64 v[8:9], v[21:22], v[25:26], v[8:9]
	s_waitcnt vmcnt(12)
	v_fma_f64 v[8:9], v[15:16], v[27:28], v[8:9]
	v_fma_f64 v[8:9], v[17:18], v[29:30], v[8:9]
	s_waitcnt vmcnt(10)
	v_fma_f64 v[8:9], v[47:48], v[31:32], v[8:9]
	s_waitcnt vmcnt(8)
	;; [unrolled: 2-line block ×8, first 2 shown]
	v_fma_f64 v[9:10], v[61:62], v[45:46], v[8:9]
	s_andn2_b32 exec_lo, exec_lo, s10
	s_cbranch_execnz .LBB128_8
; %bb.9:
	s_or_b32 exec_lo, exec_lo, s10
.LBB128_10:
	s_or_b32 exec_lo, exec_lo, s9
	v_mbcnt_lo_u32_b32 v11, -1, 0
	v_xor_b32_e32 v7, 8, v11
	v_cmp_gt_i32_e32 vcc_lo, 32, v7
	v_cndmask_b32_e32 v7, v11, v7, vcc_lo
	v_lshlrev_b32_e32 v8, 2, v7
	ds_bpermute_b32 v7, v8, v9
	ds_bpermute_b32 v8, v8, v10
	s_waitcnt lgkmcnt(0)
	v_add_f64 v[7:8], v[9:10], v[7:8]
	v_xor_b32_e32 v9, 4, v11
	v_cmp_gt_i32_e32 vcc_lo, 32, v9
	v_cndmask_b32_e32 v9, v11, v9, vcc_lo
	v_lshlrev_b32_e32 v10, 2, v9
	ds_bpermute_b32 v9, v10, v7
	ds_bpermute_b32 v10, v10, v8
	s_waitcnt lgkmcnt(0)
	v_add_f64 v[7:8], v[7:8], v[9:10]
	;; [unrolled: 8-line block ×3, first 2 shown]
	v_xor_b32_e32 v9, 1, v11
	v_cmp_gt_i32_e32 vcc_lo, 32, v9
	v_cndmask_b32_e32 v9, v11, v9, vcc_lo
	v_cmp_eq_u32_e32 vcc_lo, 15, v0
	v_lshlrev_b32_e32 v10, 2, v9
	ds_bpermute_b32 v9, v10, v7
	ds_bpermute_b32 v10, v10, v8
	s_and_b32 exec_lo, exec_lo, vcc_lo
	s_cbranch_execz .LBB128_15
; %bb.11:
	s_waitcnt lgkmcnt(0)
	v_add_f64 v[7:8], v[7:8], v[9:10]
	v_lshlrev_b64 v[5:6], 3, v[5:6]
	s_mov_b32 s0, exec_lo
	v_mul_f64 v[3:4], v[3:4], v[7:8]
	v_cmpx_eq_f64_e32 0, v[1:2]
	s_xor_b32 s0, exec_lo, s0
	s_cbranch_execz .LBB128_13
; %bb.12:
	v_add_co_u32 v0, vcc_lo, s6, v5
	v_add_co_ci_u32_e64 v1, null, s7, v6, vcc_lo
                                        ; implicit-def: $vgpr5_vgpr6
	global_store_dwordx2 v[0:1], v[3:4], off
                                        ; implicit-def: $vgpr1_vgpr2
                                        ; implicit-def: $vgpr3_vgpr4
.LBB128_13:
	s_andn2_saveexec_b32 s0, s0
	s_cbranch_execz .LBB128_15
; %bb.14:
	v_add_co_u32 v5, vcc_lo, s6, v5
	v_add_co_ci_u32_e64 v6, null, s7, v6, vcc_lo
	global_load_dwordx2 v[7:8], v[5:6], off
	s_waitcnt vmcnt(0)
	v_fma_f64 v[0:1], v[1:2], v[7:8], v[3:4]
	global_store_dwordx2 v[5:6], v[0:1], off
.LBB128_15:
	s_endpgm
	.section	.rodata,"a",@progbits
	.p2align	6, 0x0
	.amdhsa_kernel _ZN9rocsparseL19gebsrmvn_1xn_kernelILj128ELj12ELj16EdEEvi20rocsparse_direction_NS_24const_host_device_scalarIT2_EEPKiS6_PKS3_S8_S4_PS3_21rocsparse_index_base_b
		.amdhsa_group_segment_fixed_size 0
		.amdhsa_private_segment_fixed_size 0
		.amdhsa_kernarg_size 72
		.amdhsa_user_sgpr_count 6
		.amdhsa_user_sgpr_private_segment_buffer 1
		.amdhsa_user_sgpr_dispatch_ptr 0
		.amdhsa_user_sgpr_queue_ptr 0
		.amdhsa_user_sgpr_kernarg_segment_ptr 1
		.amdhsa_user_sgpr_dispatch_id 0
		.amdhsa_user_sgpr_flat_scratch_init 0
		.amdhsa_user_sgpr_private_segment_size 0
		.amdhsa_wavefront_size32 1
		.amdhsa_uses_dynamic_stack 0
		.amdhsa_system_sgpr_private_segment_wavefront_offset 0
		.amdhsa_system_sgpr_workgroup_id_x 1
		.amdhsa_system_sgpr_workgroup_id_y 0
		.amdhsa_system_sgpr_workgroup_id_z 0
		.amdhsa_system_sgpr_workgroup_info 0
		.amdhsa_system_vgpr_workitem_id 0
		.amdhsa_next_free_vgpr 63
		.amdhsa_next_free_sgpr 11
		.amdhsa_reserve_vcc 1
		.amdhsa_reserve_flat_scratch 0
		.amdhsa_float_round_mode_32 0
		.amdhsa_float_round_mode_16_64 0
		.amdhsa_float_denorm_mode_32 3
		.amdhsa_float_denorm_mode_16_64 3
		.amdhsa_dx10_clamp 1
		.amdhsa_ieee_mode 1
		.amdhsa_fp16_overflow 0
		.amdhsa_workgroup_processor_mode 1
		.amdhsa_memory_ordered 1
		.amdhsa_forward_progress 1
		.amdhsa_shared_vgpr_count 0
		.amdhsa_exception_fp_ieee_invalid_op 0
		.amdhsa_exception_fp_denorm_src 0
		.amdhsa_exception_fp_ieee_div_zero 0
		.amdhsa_exception_fp_ieee_overflow 0
		.amdhsa_exception_fp_ieee_underflow 0
		.amdhsa_exception_fp_ieee_inexact 0
		.amdhsa_exception_int_div_zero 0
	.end_amdhsa_kernel
	.section	.text._ZN9rocsparseL19gebsrmvn_1xn_kernelILj128ELj12ELj16EdEEvi20rocsparse_direction_NS_24const_host_device_scalarIT2_EEPKiS6_PKS3_S8_S4_PS3_21rocsparse_index_base_b,"axG",@progbits,_ZN9rocsparseL19gebsrmvn_1xn_kernelILj128ELj12ELj16EdEEvi20rocsparse_direction_NS_24const_host_device_scalarIT2_EEPKiS6_PKS3_S8_S4_PS3_21rocsparse_index_base_b,comdat
.Lfunc_end128:
	.size	_ZN9rocsparseL19gebsrmvn_1xn_kernelILj128ELj12ELj16EdEEvi20rocsparse_direction_NS_24const_host_device_scalarIT2_EEPKiS6_PKS3_S8_S4_PS3_21rocsparse_index_base_b, .Lfunc_end128-_ZN9rocsparseL19gebsrmvn_1xn_kernelILj128ELj12ELj16EdEEvi20rocsparse_direction_NS_24const_host_device_scalarIT2_EEPKiS6_PKS3_S8_S4_PS3_21rocsparse_index_base_b
                                        ; -- End function
	.set _ZN9rocsparseL19gebsrmvn_1xn_kernelILj128ELj12ELj16EdEEvi20rocsparse_direction_NS_24const_host_device_scalarIT2_EEPKiS6_PKS3_S8_S4_PS3_21rocsparse_index_base_b.num_vgpr, 63
	.set _ZN9rocsparseL19gebsrmvn_1xn_kernelILj128ELj12ELj16EdEEvi20rocsparse_direction_NS_24const_host_device_scalarIT2_EEPKiS6_PKS3_S8_S4_PS3_21rocsparse_index_base_b.num_agpr, 0
	.set _ZN9rocsparseL19gebsrmvn_1xn_kernelILj128ELj12ELj16EdEEvi20rocsparse_direction_NS_24const_host_device_scalarIT2_EEPKiS6_PKS3_S8_S4_PS3_21rocsparse_index_base_b.numbered_sgpr, 11
	.set _ZN9rocsparseL19gebsrmvn_1xn_kernelILj128ELj12ELj16EdEEvi20rocsparse_direction_NS_24const_host_device_scalarIT2_EEPKiS6_PKS3_S8_S4_PS3_21rocsparse_index_base_b.num_named_barrier, 0
	.set _ZN9rocsparseL19gebsrmvn_1xn_kernelILj128ELj12ELj16EdEEvi20rocsparse_direction_NS_24const_host_device_scalarIT2_EEPKiS6_PKS3_S8_S4_PS3_21rocsparse_index_base_b.private_seg_size, 0
	.set _ZN9rocsparseL19gebsrmvn_1xn_kernelILj128ELj12ELj16EdEEvi20rocsparse_direction_NS_24const_host_device_scalarIT2_EEPKiS6_PKS3_S8_S4_PS3_21rocsparse_index_base_b.uses_vcc, 1
	.set _ZN9rocsparseL19gebsrmvn_1xn_kernelILj128ELj12ELj16EdEEvi20rocsparse_direction_NS_24const_host_device_scalarIT2_EEPKiS6_PKS3_S8_S4_PS3_21rocsparse_index_base_b.uses_flat_scratch, 0
	.set _ZN9rocsparseL19gebsrmvn_1xn_kernelILj128ELj12ELj16EdEEvi20rocsparse_direction_NS_24const_host_device_scalarIT2_EEPKiS6_PKS3_S8_S4_PS3_21rocsparse_index_base_b.has_dyn_sized_stack, 0
	.set _ZN9rocsparseL19gebsrmvn_1xn_kernelILj128ELj12ELj16EdEEvi20rocsparse_direction_NS_24const_host_device_scalarIT2_EEPKiS6_PKS3_S8_S4_PS3_21rocsparse_index_base_b.has_recursion, 0
	.set _ZN9rocsparseL19gebsrmvn_1xn_kernelILj128ELj12ELj16EdEEvi20rocsparse_direction_NS_24const_host_device_scalarIT2_EEPKiS6_PKS3_S8_S4_PS3_21rocsparse_index_base_b.has_indirect_call, 0
	.section	.AMDGPU.csdata,"",@progbits
; Kernel info:
; codeLenInByte = 1336
; TotalNumSgprs: 13
; NumVgprs: 63
; ScratchSize: 0
; MemoryBound: 1
; FloatMode: 240
; IeeeMode: 1
; LDSByteSize: 0 bytes/workgroup (compile time only)
; SGPRBlocks: 0
; VGPRBlocks: 7
; NumSGPRsForWavesPerEU: 13
; NumVGPRsForWavesPerEU: 63
; Occupancy: 16
; WaveLimiterHint : 1
; COMPUTE_PGM_RSRC2:SCRATCH_EN: 0
; COMPUTE_PGM_RSRC2:USER_SGPR: 6
; COMPUTE_PGM_RSRC2:TRAP_HANDLER: 0
; COMPUTE_PGM_RSRC2:TGID_X_EN: 1
; COMPUTE_PGM_RSRC2:TGID_Y_EN: 0
; COMPUTE_PGM_RSRC2:TGID_Z_EN: 0
; COMPUTE_PGM_RSRC2:TIDIG_COMP_CNT: 0
	.section	.text._ZN9rocsparseL19gebsrmvn_1xn_kernelILj128ELj12ELj32EdEEvi20rocsparse_direction_NS_24const_host_device_scalarIT2_EEPKiS6_PKS3_S8_S4_PS3_21rocsparse_index_base_b,"axG",@progbits,_ZN9rocsparseL19gebsrmvn_1xn_kernelILj128ELj12ELj32EdEEvi20rocsparse_direction_NS_24const_host_device_scalarIT2_EEPKiS6_PKS3_S8_S4_PS3_21rocsparse_index_base_b,comdat
	.globl	_ZN9rocsparseL19gebsrmvn_1xn_kernelILj128ELj12ELj32EdEEvi20rocsparse_direction_NS_24const_host_device_scalarIT2_EEPKiS6_PKS3_S8_S4_PS3_21rocsparse_index_base_b ; -- Begin function _ZN9rocsparseL19gebsrmvn_1xn_kernelILj128ELj12ELj32EdEEvi20rocsparse_direction_NS_24const_host_device_scalarIT2_EEPKiS6_PKS3_S8_S4_PS3_21rocsparse_index_base_b
	.p2align	8
	.type	_ZN9rocsparseL19gebsrmvn_1xn_kernelILj128ELj12ELj32EdEEvi20rocsparse_direction_NS_24const_host_device_scalarIT2_EEPKiS6_PKS3_S8_S4_PS3_21rocsparse_index_base_b,@function
_ZN9rocsparseL19gebsrmvn_1xn_kernelILj128ELj12ELj32EdEEvi20rocsparse_direction_NS_24const_host_device_scalarIT2_EEPKiS6_PKS3_S8_S4_PS3_21rocsparse_index_base_b: ; @_ZN9rocsparseL19gebsrmvn_1xn_kernelILj128ELj12ELj32EdEEvi20rocsparse_direction_NS_24const_host_device_scalarIT2_EEPKiS6_PKS3_S8_S4_PS3_21rocsparse_index_base_b
; %bb.0:
	s_clause 0x2
	s_load_dwordx2 s[8:9], s[4:5], 0x40
	s_load_dwordx2 s[2:3], s[4:5], 0x8
	;; [unrolled: 1-line block ×3, first 2 shown]
	s_waitcnt lgkmcnt(0)
	s_bitcmp1_b32 s9, 0
	v_mov_b32_e32 v4, s3
	v_mov_b32_e32 v3, s2
	s_cselect_b32 s7, -1, 0
	s_and_b32 vcc_lo, exec_lo, s7
	s_xor_b32 s7, s7, -1
	s_cbranch_vccnz .LBB129_2
; %bb.1:
	v_mov_b32_e32 v1, s2
	v_mov_b32_e32 v2, s3
	flat_load_dwordx2 v[3:4], v[1:2]
.LBB129_2:
	v_mov_b32_e32 v2, s1
	v_mov_b32_e32 v1, s0
	s_andn2_b32 vcc_lo, exec_lo, s7
	s_cbranch_vccnz .LBB129_4
; %bb.3:
	v_mov_b32_e32 v2, s1
	v_mov_b32_e32 v1, s0
	flat_load_dwordx2 v[1:2], v[1:2]
.LBB129_4:
	s_waitcnt vmcnt(0) lgkmcnt(0)
	v_cmp_neq_f64_e32 vcc_lo, 0, v[3:4]
	v_cmp_neq_f64_e64 s0, 1.0, v[1:2]
	s_or_b32 s0, vcc_lo, s0
	s_and_saveexec_b32 s1, s0
	s_cbranch_execz .LBB129_15
; %bb.5:
	s_load_dword s0, s[4:5], 0x0
	v_lshrrev_b32_e32 v5, 5, v0
	v_lshl_or_b32 v5, s6, 2, v5
	s_waitcnt lgkmcnt(0)
	v_cmp_gt_i32_e32 vcc_lo, s0, v5
	s_and_b32 exec_lo, exec_lo, vcc_lo
	s_cbranch_execz .LBB129_15
; %bb.6:
	s_clause 0x1
	s_load_dwordx2 s[0:1], s[4:5], 0x10
	s_load_dwordx2 s[6:7], s[4:5], 0x38
	v_ashrrev_i32_e32 v6, 31, v5
	v_and_b32_e32 v0, 31, v0
	s_mov_b32 s9, exec_lo
	v_lshlrev_b64 v[7:8], 2, v[5:6]
	v_subrev_nc_u32_e32 v9, s8, v0
	s_waitcnt lgkmcnt(0)
	v_add_co_u32 v7, vcc_lo, s0, v7
	v_add_co_ci_u32_e64 v8, null, s1, v8, vcc_lo
	global_load_dwordx2 v[7:8], v[7:8], off
	s_waitcnt vmcnt(0)
	v_add_nc_u32_e32 v7, v7, v9
	v_mov_b32_e32 v9, 0
	v_subrev_nc_u32_e32 v14, s8, v8
	v_mov_b32_e32 v10, 0
	v_cmpx_lt_i32_e64 v7, v14
	s_cbranch_execz .LBB129_10
; %bb.7:
	s_clause 0x1
	s_load_dwordx4 s[0:3], s[4:5], 0x18
	s_load_dwordx2 s[4:5], s[4:5], 0x28
	v_mad_u64_u32 v[11:12], null, v7, 12, 11
	v_mov_b32_e32 v9, 0
	v_mov_b32_e32 v10, 0
	;; [unrolled: 1-line block ×3, first 2 shown]
	s_mov_b32 s10, 0
.LBB129_8:                              ; =>This Inner Loop Header: Depth=1
	v_ashrrev_i32_e32 v8, 31, v7
	v_add_nc_u32_e32 v12, -11, v11
	v_mov_b32_e32 v40, v13
	v_lshlrev_b64 v[15:16], 2, v[7:8]
	v_add_nc_u32_e32 v7, 32, v7
	s_waitcnt lgkmcnt(0)
	v_add_co_u32 v15, vcc_lo, s0, v15
	v_add_co_ci_u32_e64 v16, null, s1, v16, vcc_lo
	global_load_dword v8, v[15:16], off
	v_lshlrev_b64 v[15:16], 3, v[12:13]
	v_add_nc_u32_e32 v12, -7, v11
	v_lshlrev_b64 v[31:32], 3, v[12:13]
	v_add_co_u32 v19, vcc_lo, s2, v15
	v_add_co_ci_u32_e64 v20, null, s3, v16, vcc_lo
	s_waitcnt vmcnt(0)
	v_subrev_nc_u32_e32 v8, s8, v8
	v_mul_lo_u32 v39, v8, 12
	v_lshlrev_b64 v[17:18], 3, v[39:40]
	v_add_nc_u32_e32 v12, 4, v39
	v_lshlrev_b64 v[33:34], 3, v[12:13]
	v_add_co_u32 v27, vcc_lo, s4, v17
	v_add_co_ci_u32_e64 v28, null, s5, v18, vcc_lo
	s_clause 0x1
	global_load_dwordx4 v[15:18], v[19:20], off offset:16
	global_load_dwordx4 v[19:22], v[19:20], off
	s_clause 0x1
	global_load_dwordx4 v[23:26], v[27:28], off
	global_load_dwordx4 v[27:30], v[27:28], off offset:16
	v_add_co_u32 v31, vcc_lo, s2, v31
	v_add_co_ci_u32_e64 v32, null, s3, v32, vcc_lo
	v_add_co_u32 v35, vcc_lo, s4, v33
	v_add_co_ci_u32_e64 v36, null, s5, v34, vcc_lo
	global_load_dwordx2 v[47:48], v[31:32], off
	s_clause 0x1
	global_load_dwordx4 v[31:34], v[35:36], off
	global_load_dwordx4 v[35:38], v[35:36], off offset:16
	v_add_nc_u32_e32 v12, -6, v11
	v_lshlrev_b64 v[40:41], 3, v[12:13]
	v_add_nc_u32_e32 v12, -5, v11
	v_add_co_u32 v40, vcc_lo, s2, v40
	v_add_co_ci_u32_e64 v41, null, s3, v41, vcc_lo
	global_load_dwordx2 v[49:50], v[40:41], off
	v_lshlrev_b64 v[40:41], 3, v[12:13]
	v_add_nc_u32_e32 v12, -4, v11
	v_add_co_u32 v40, vcc_lo, s2, v40
	v_add_co_ci_u32_e64 v41, null, s3, v41, vcc_lo
	global_load_dwordx2 v[51:52], v[40:41], off
	v_lshlrev_b64 v[40:41], 3, v[12:13]
	v_add_nc_u32_e32 v12, -3, v11
	v_add_co_u32 v40, vcc_lo, s2, v40
	v_add_co_ci_u32_e64 v41, null, s3, v41, vcc_lo
	global_load_dwordx2 v[53:54], v[40:41], off
	v_lshlrev_b64 v[40:41], 3, v[12:13]
	v_add_nc_u32_e32 v12, 8, v39
	v_lshlrev_b64 v[42:43], 3, v[12:13]
	v_add_co_u32 v39, vcc_lo, s2, v40
	v_add_co_ci_u32_e64 v40, null, s3, v41, vcc_lo
	v_add_nc_u32_e32 v12, -2, v11
	v_add_co_u32 v44, vcc_lo, s4, v42
	v_add_co_ci_u32_e64 v45, null, s5, v43, vcc_lo
	global_load_dwordx2 v[55:56], v[39:40], off
	s_clause 0x1
	global_load_dwordx4 v[39:42], v[44:45], off
	global_load_dwordx4 v[43:46], v[44:45], off offset:16
	v_lshlrev_b64 v[57:58], 3, v[12:13]
	v_add_nc_u32_e32 v12, -1, v11
	v_add_co_u32 v57, vcc_lo, s2, v57
	v_add_co_ci_u32_e64 v58, null, s3, v58, vcc_lo
	v_lshlrev_b64 v[59:60], 3, v[12:13]
	v_mov_b32_e32 v12, v13
	global_load_dwordx2 v[57:58], v[57:58], off
	v_add_co_u32 v59, vcc_lo, s2, v59
	v_add_co_ci_u32_e64 v60, null, s3, v60, vcc_lo
	v_lshlrev_b64 v[61:62], 3, v[11:12]
	v_add_nc_u32_e32 v11, 0x180, v11
	global_load_dwordx2 v[59:60], v[59:60], off
	v_add_co_u32 v61, vcc_lo, s2, v61
	v_add_co_ci_u32_e64 v62, null, s3, v62, vcc_lo
	v_cmp_ge_i32_e32 vcc_lo, v7, v14
	global_load_dwordx2 v[61:62], v[61:62], off
	s_or_b32 s10, vcc_lo, s10
	s_waitcnt vmcnt(13)
	v_fma_f64 v[8:9], v[19:20], v[23:24], v[9:10]
	v_fma_f64 v[8:9], v[21:22], v[25:26], v[8:9]
	s_waitcnt vmcnt(12)
	v_fma_f64 v[8:9], v[15:16], v[27:28], v[8:9]
	v_fma_f64 v[8:9], v[17:18], v[29:30], v[8:9]
	s_waitcnt vmcnt(10)
	v_fma_f64 v[8:9], v[47:48], v[31:32], v[8:9]
	s_waitcnt vmcnt(8)
	;; [unrolled: 2-line block ×8, first 2 shown]
	v_fma_f64 v[9:10], v[61:62], v[45:46], v[8:9]
	s_andn2_b32 exec_lo, exec_lo, s10
	s_cbranch_execnz .LBB129_8
; %bb.9:
	s_or_b32 exec_lo, exec_lo, s10
.LBB129_10:
	s_or_b32 exec_lo, exec_lo, s9
	v_mbcnt_lo_u32_b32 v11, -1, 0
	v_xor_b32_e32 v7, 16, v11
	v_cmp_gt_i32_e32 vcc_lo, 32, v7
	v_cndmask_b32_e32 v7, v11, v7, vcc_lo
	v_lshlrev_b32_e32 v8, 2, v7
	ds_bpermute_b32 v7, v8, v9
	ds_bpermute_b32 v8, v8, v10
	s_waitcnt lgkmcnt(0)
	v_add_f64 v[7:8], v[9:10], v[7:8]
	v_xor_b32_e32 v9, 8, v11
	v_cmp_gt_i32_e32 vcc_lo, 32, v9
	v_cndmask_b32_e32 v9, v11, v9, vcc_lo
	v_lshlrev_b32_e32 v10, 2, v9
	ds_bpermute_b32 v9, v10, v7
	ds_bpermute_b32 v10, v10, v8
	s_waitcnt lgkmcnt(0)
	v_add_f64 v[7:8], v[7:8], v[9:10]
	;; [unrolled: 8-line block ×4, first 2 shown]
	v_xor_b32_e32 v9, 1, v11
	v_cmp_gt_i32_e32 vcc_lo, 32, v9
	v_cndmask_b32_e32 v9, v11, v9, vcc_lo
	v_cmp_eq_u32_e32 vcc_lo, 31, v0
	v_lshlrev_b32_e32 v10, 2, v9
	ds_bpermute_b32 v9, v10, v7
	ds_bpermute_b32 v10, v10, v8
	s_and_b32 exec_lo, exec_lo, vcc_lo
	s_cbranch_execz .LBB129_15
; %bb.11:
	s_waitcnt lgkmcnt(0)
	v_add_f64 v[7:8], v[7:8], v[9:10]
	v_lshlrev_b64 v[5:6], 3, v[5:6]
	s_mov_b32 s0, exec_lo
	v_mul_f64 v[3:4], v[3:4], v[7:8]
	v_cmpx_eq_f64_e32 0, v[1:2]
	s_xor_b32 s0, exec_lo, s0
	s_cbranch_execz .LBB129_13
; %bb.12:
	v_add_co_u32 v0, vcc_lo, s6, v5
	v_add_co_ci_u32_e64 v1, null, s7, v6, vcc_lo
                                        ; implicit-def: $vgpr5_vgpr6
	global_store_dwordx2 v[0:1], v[3:4], off
                                        ; implicit-def: $vgpr1_vgpr2
                                        ; implicit-def: $vgpr3_vgpr4
.LBB129_13:
	s_andn2_saveexec_b32 s0, s0
	s_cbranch_execz .LBB129_15
; %bb.14:
	v_add_co_u32 v5, vcc_lo, s6, v5
	v_add_co_ci_u32_e64 v6, null, s7, v6, vcc_lo
	global_load_dwordx2 v[7:8], v[5:6], off
	s_waitcnt vmcnt(0)
	v_fma_f64 v[0:1], v[1:2], v[7:8], v[3:4]
	global_store_dwordx2 v[5:6], v[0:1], off
.LBB129_15:
	s_endpgm
	.section	.rodata,"a",@progbits
	.p2align	6, 0x0
	.amdhsa_kernel _ZN9rocsparseL19gebsrmvn_1xn_kernelILj128ELj12ELj32EdEEvi20rocsparse_direction_NS_24const_host_device_scalarIT2_EEPKiS6_PKS3_S8_S4_PS3_21rocsparse_index_base_b
		.amdhsa_group_segment_fixed_size 0
		.amdhsa_private_segment_fixed_size 0
		.amdhsa_kernarg_size 72
		.amdhsa_user_sgpr_count 6
		.amdhsa_user_sgpr_private_segment_buffer 1
		.amdhsa_user_sgpr_dispatch_ptr 0
		.amdhsa_user_sgpr_queue_ptr 0
		.amdhsa_user_sgpr_kernarg_segment_ptr 1
		.amdhsa_user_sgpr_dispatch_id 0
		.amdhsa_user_sgpr_flat_scratch_init 0
		.amdhsa_user_sgpr_private_segment_size 0
		.amdhsa_wavefront_size32 1
		.amdhsa_uses_dynamic_stack 0
		.amdhsa_system_sgpr_private_segment_wavefront_offset 0
		.amdhsa_system_sgpr_workgroup_id_x 1
		.amdhsa_system_sgpr_workgroup_id_y 0
		.amdhsa_system_sgpr_workgroup_id_z 0
		.amdhsa_system_sgpr_workgroup_info 0
		.amdhsa_system_vgpr_workitem_id 0
		.amdhsa_next_free_vgpr 63
		.amdhsa_next_free_sgpr 11
		.amdhsa_reserve_vcc 1
		.amdhsa_reserve_flat_scratch 0
		.amdhsa_float_round_mode_32 0
		.amdhsa_float_round_mode_16_64 0
		.amdhsa_float_denorm_mode_32 3
		.amdhsa_float_denorm_mode_16_64 3
		.amdhsa_dx10_clamp 1
		.amdhsa_ieee_mode 1
		.amdhsa_fp16_overflow 0
		.amdhsa_workgroup_processor_mode 1
		.amdhsa_memory_ordered 1
		.amdhsa_forward_progress 1
		.amdhsa_shared_vgpr_count 0
		.amdhsa_exception_fp_ieee_invalid_op 0
		.amdhsa_exception_fp_denorm_src 0
		.amdhsa_exception_fp_ieee_div_zero 0
		.amdhsa_exception_fp_ieee_overflow 0
		.amdhsa_exception_fp_ieee_underflow 0
		.amdhsa_exception_fp_ieee_inexact 0
		.amdhsa_exception_int_div_zero 0
	.end_amdhsa_kernel
	.section	.text._ZN9rocsparseL19gebsrmvn_1xn_kernelILj128ELj12ELj32EdEEvi20rocsparse_direction_NS_24const_host_device_scalarIT2_EEPKiS6_PKS3_S8_S4_PS3_21rocsparse_index_base_b,"axG",@progbits,_ZN9rocsparseL19gebsrmvn_1xn_kernelILj128ELj12ELj32EdEEvi20rocsparse_direction_NS_24const_host_device_scalarIT2_EEPKiS6_PKS3_S8_S4_PS3_21rocsparse_index_base_b,comdat
.Lfunc_end129:
	.size	_ZN9rocsparseL19gebsrmvn_1xn_kernelILj128ELj12ELj32EdEEvi20rocsparse_direction_NS_24const_host_device_scalarIT2_EEPKiS6_PKS3_S8_S4_PS3_21rocsparse_index_base_b, .Lfunc_end129-_ZN9rocsparseL19gebsrmvn_1xn_kernelILj128ELj12ELj32EdEEvi20rocsparse_direction_NS_24const_host_device_scalarIT2_EEPKiS6_PKS3_S8_S4_PS3_21rocsparse_index_base_b
                                        ; -- End function
	.set _ZN9rocsparseL19gebsrmvn_1xn_kernelILj128ELj12ELj32EdEEvi20rocsparse_direction_NS_24const_host_device_scalarIT2_EEPKiS6_PKS3_S8_S4_PS3_21rocsparse_index_base_b.num_vgpr, 63
	.set _ZN9rocsparseL19gebsrmvn_1xn_kernelILj128ELj12ELj32EdEEvi20rocsparse_direction_NS_24const_host_device_scalarIT2_EEPKiS6_PKS3_S8_S4_PS3_21rocsparse_index_base_b.num_agpr, 0
	.set _ZN9rocsparseL19gebsrmvn_1xn_kernelILj128ELj12ELj32EdEEvi20rocsparse_direction_NS_24const_host_device_scalarIT2_EEPKiS6_PKS3_S8_S4_PS3_21rocsparse_index_base_b.numbered_sgpr, 11
	.set _ZN9rocsparseL19gebsrmvn_1xn_kernelILj128ELj12ELj32EdEEvi20rocsparse_direction_NS_24const_host_device_scalarIT2_EEPKiS6_PKS3_S8_S4_PS3_21rocsparse_index_base_b.num_named_barrier, 0
	.set _ZN9rocsparseL19gebsrmvn_1xn_kernelILj128ELj12ELj32EdEEvi20rocsparse_direction_NS_24const_host_device_scalarIT2_EEPKiS6_PKS3_S8_S4_PS3_21rocsparse_index_base_b.private_seg_size, 0
	.set _ZN9rocsparseL19gebsrmvn_1xn_kernelILj128ELj12ELj32EdEEvi20rocsparse_direction_NS_24const_host_device_scalarIT2_EEPKiS6_PKS3_S8_S4_PS3_21rocsparse_index_base_b.uses_vcc, 1
	.set _ZN9rocsparseL19gebsrmvn_1xn_kernelILj128ELj12ELj32EdEEvi20rocsparse_direction_NS_24const_host_device_scalarIT2_EEPKiS6_PKS3_S8_S4_PS3_21rocsparse_index_base_b.uses_flat_scratch, 0
	.set _ZN9rocsparseL19gebsrmvn_1xn_kernelILj128ELj12ELj32EdEEvi20rocsparse_direction_NS_24const_host_device_scalarIT2_EEPKiS6_PKS3_S8_S4_PS3_21rocsparse_index_base_b.has_dyn_sized_stack, 0
	.set _ZN9rocsparseL19gebsrmvn_1xn_kernelILj128ELj12ELj32EdEEvi20rocsparse_direction_NS_24const_host_device_scalarIT2_EEPKiS6_PKS3_S8_S4_PS3_21rocsparse_index_base_b.has_recursion, 0
	.set _ZN9rocsparseL19gebsrmvn_1xn_kernelILj128ELj12ELj32EdEEvi20rocsparse_direction_NS_24const_host_device_scalarIT2_EEPKiS6_PKS3_S8_S4_PS3_21rocsparse_index_base_b.has_indirect_call, 0
	.section	.AMDGPU.csdata,"",@progbits
; Kernel info:
; codeLenInByte = 1380
; TotalNumSgprs: 13
; NumVgprs: 63
; ScratchSize: 0
; MemoryBound: 1
; FloatMode: 240
; IeeeMode: 1
; LDSByteSize: 0 bytes/workgroup (compile time only)
; SGPRBlocks: 0
; VGPRBlocks: 7
; NumSGPRsForWavesPerEU: 13
; NumVGPRsForWavesPerEU: 63
; Occupancy: 16
; WaveLimiterHint : 1
; COMPUTE_PGM_RSRC2:SCRATCH_EN: 0
; COMPUTE_PGM_RSRC2:USER_SGPR: 6
; COMPUTE_PGM_RSRC2:TRAP_HANDLER: 0
; COMPUTE_PGM_RSRC2:TGID_X_EN: 1
; COMPUTE_PGM_RSRC2:TGID_Y_EN: 0
; COMPUTE_PGM_RSRC2:TGID_Z_EN: 0
; COMPUTE_PGM_RSRC2:TIDIG_COMP_CNT: 0
	.section	.text._ZN9rocsparseL19gebsrmvn_1xn_kernelILj128ELj12ELj64EdEEvi20rocsparse_direction_NS_24const_host_device_scalarIT2_EEPKiS6_PKS3_S8_S4_PS3_21rocsparse_index_base_b,"axG",@progbits,_ZN9rocsparseL19gebsrmvn_1xn_kernelILj128ELj12ELj64EdEEvi20rocsparse_direction_NS_24const_host_device_scalarIT2_EEPKiS6_PKS3_S8_S4_PS3_21rocsparse_index_base_b,comdat
	.globl	_ZN9rocsparseL19gebsrmvn_1xn_kernelILj128ELj12ELj64EdEEvi20rocsparse_direction_NS_24const_host_device_scalarIT2_EEPKiS6_PKS3_S8_S4_PS3_21rocsparse_index_base_b ; -- Begin function _ZN9rocsparseL19gebsrmvn_1xn_kernelILj128ELj12ELj64EdEEvi20rocsparse_direction_NS_24const_host_device_scalarIT2_EEPKiS6_PKS3_S8_S4_PS3_21rocsparse_index_base_b
	.p2align	8
	.type	_ZN9rocsparseL19gebsrmvn_1xn_kernelILj128ELj12ELj64EdEEvi20rocsparse_direction_NS_24const_host_device_scalarIT2_EEPKiS6_PKS3_S8_S4_PS3_21rocsparse_index_base_b,@function
_ZN9rocsparseL19gebsrmvn_1xn_kernelILj128ELj12ELj64EdEEvi20rocsparse_direction_NS_24const_host_device_scalarIT2_EEPKiS6_PKS3_S8_S4_PS3_21rocsparse_index_base_b: ; @_ZN9rocsparseL19gebsrmvn_1xn_kernelILj128ELj12ELj64EdEEvi20rocsparse_direction_NS_24const_host_device_scalarIT2_EEPKiS6_PKS3_S8_S4_PS3_21rocsparse_index_base_b
; %bb.0:
	s_clause 0x2
	s_load_dwordx2 s[8:9], s[4:5], 0x40
	s_load_dwordx2 s[2:3], s[4:5], 0x8
	;; [unrolled: 1-line block ×3, first 2 shown]
	s_waitcnt lgkmcnt(0)
	s_bitcmp1_b32 s9, 0
	v_mov_b32_e32 v4, s3
	v_mov_b32_e32 v3, s2
	s_cselect_b32 s7, -1, 0
	s_and_b32 vcc_lo, exec_lo, s7
	s_xor_b32 s7, s7, -1
	s_cbranch_vccnz .LBB130_2
; %bb.1:
	v_mov_b32_e32 v1, s2
	v_mov_b32_e32 v2, s3
	flat_load_dwordx2 v[3:4], v[1:2]
.LBB130_2:
	v_mov_b32_e32 v2, s1
	v_mov_b32_e32 v1, s0
	s_andn2_b32 vcc_lo, exec_lo, s7
	s_cbranch_vccnz .LBB130_4
; %bb.3:
	v_mov_b32_e32 v2, s1
	v_mov_b32_e32 v1, s0
	flat_load_dwordx2 v[1:2], v[1:2]
.LBB130_4:
	s_waitcnt vmcnt(0) lgkmcnt(0)
	v_cmp_neq_f64_e32 vcc_lo, 0, v[3:4]
	v_cmp_neq_f64_e64 s0, 1.0, v[1:2]
	s_or_b32 s0, vcc_lo, s0
	s_and_saveexec_b32 s1, s0
	s_cbranch_execz .LBB130_15
; %bb.5:
	s_load_dword s0, s[4:5], 0x0
	v_lshrrev_b32_e32 v5, 6, v0
	v_lshl_or_b32 v5, s6, 1, v5
	s_waitcnt lgkmcnt(0)
	v_cmp_gt_i32_e32 vcc_lo, s0, v5
	s_and_b32 exec_lo, exec_lo, vcc_lo
	s_cbranch_execz .LBB130_15
; %bb.6:
	s_clause 0x1
	s_load_dwordx2 s[0:1], s[4:5], 0x10
	s_load_dwordx2 s[6:7], s[4:5], 0x38
	v_ashrrev_i32_e32 v6, 31, v5
	v_and_b32_e32 v0, 63, v0
	s_mov_b32 s9, exec_lo
	v_lshlrev_b64 v[7:8], 2, v[5:6]
	v_subrev_nc_u32_e32 v9, s8, v0
	s_waitcnt lgkmcnt(0)
	v_add_co_u32 v7, vcc_lo, s0, v7
	v_add_co_ci_u32_e64 v8, null, s1, v8, vcc_lo
	global_load_dwordx2 v[7:8], v[7:8], off
	s_waitcnt vmcnt(0)
	v_add_nc_u32_e32 v7, v7, v9
	v_mov_b32_e32 v9, 0
	v_subrev_nc_u32_e32 v14, s8, v8
	v_mov_b32_e32 v10, 0
	v_cmpx_lt_i32_e64 v7, v14
	s_cbranch_execz .LBB130_10
; %bb.7:
	s_clause 0x1
	s_load_dwordx4 s[0:3], s[4:5], 0x18
	s_load_dwordx2 s[4:5], s[4:5], 0x28
	v_mad_u64_u32 v[11:12], null, v7, 12, 11
	v_mov_b32_e32 v9, 0
	v_mov_b32_e32 v10, 0
	;; [unrolled: 1-line block ×3, first 2 shown]
	s_mov_b32 s10, 0
.LBB130_8:                              ; =>This Inner Loop Header: Depth=1
	v_ashrrev_i32_e32 v8, 31, v7
	v_add_nc_u32_e32 v12, -11, v11
	v_mov_b32_e32 v40, v13
	v_lshlrev_b64 v[15:16], 2, v[7:8]
	v_add_nc_u32_e32 v7, 64, v7
	s_waitcnt lgkmcnt(0)
	v_add_co_u32 v15, vcc_lo, s0, v15
	v_add_co_ci_u32_e64 v16, null, s1, v16, vcc_lo
	global_load_dword v8, v[15:16], off
	v_lshlrev_b64 v[15:16], 3, v[12:13]
	v_add_nc_u32_e32 v12, -7, v11
	v_lshlrev_b64 v[31:32], 3, v[12:13]
	v_add_co_u32 v19, vcc_lo, s2, v15
	v_add_co_ci_u32_e64 v20, null, s3, v16, vcc_lo
	s_waitcnt vmcnt(0)
	v_subrev_nc_u32_e32 v8, s8, v8
	v_mul_lo_u32 v39, v8, 12
	v_lshlrev_b64 v[17:18], 3, v[39:40]
	v_add_nc_u32_e32 v12, 4, v39
	v_lshlrev_b64 v[33:34], 3, v[12:13]
	v_add_co_u32 v27, vcc_lo, s4, v17
	v_add_co_ci_u32_e64 v28, null, s5, v18, vcc_lo
	s_clause 0x1
	global_load_dwordx4 v[15:18], v[19:20], off offset:16
	global_load_dwordx4 v[19:22], v[19:20], off
	s_clause 0x1
	global_load_dwordx4 v[23:26], v[27:28], off
	global_load_dwordx4 v[27:30], v[27:28], off offset:16
	v_add_co_u32 v31, vcc_lo, s2, v31
	v_add_co_ci_u32_e64 v32, null, s3, v32, vcc_lo
	v_add_co_u32 v35, vcc_lo, s4, v33
	v_add_co_ci_u32_e64 v36, null, s5, v34, vcc_lo
	global_load_dwordx2 v[47:48], v[31:32], off
	s_clause 0x1
	global_load_dwordx4 v[31:34], v[35:36], off
	global_load_dwordx4 v[35:38], v[35:36], off offset:16
	v_add_nc_u32_e32 v12, -6, v11
	v_lshlrev_b64 v[40:41], 3, v[12:13]
	v_add_nc_u32_e32 v12, -5, v11
	v_add_co_u32 v40, vcc_lo, s2, v40
	v_add_co_ci_u32_e64 v41, null, s3, v41, vcc_lo
	global_load_dwordx2 v[49:50], v[40:41], off
	v_lshlrev_b64 v[40:41], 3, v[12:13]
	v_add_nc_u32_e32 v12, -4, v11
	v_add_co_u32 v40, vcc_lo, s2, v40
	v_add_co_ci_u32_e64 v41, null, s3, v41, vcc_lo
	global_load_dwordx2 v[51:52], v[40:41], off
	;; [unrolled: 5-line block ×3, first 2 shown]
	v_lshlrev_b64 v[40:41], 3, v[12:13]
	v_add_nc_u32_e32 v12, 8, v39
	v_lshlrev_b64 v[42:43], 3, v[12:13]
	v_add_co_u32 v39, vcc_lo, s2, v40
	v_add_co_ci_u32_e64 v40, null, s3, v41, vcc_lo
	v_add_nc_u32_e32 v12, -2, v11
	v_add_co_u32 v44, vcc_lo, s4, v42
	v_add_co_ci_u32_e64 v45, null, s5, v43, vcc_lo
	global_load_dwordx2 v[55:56], v[39:40], off
	s_clause 0x1
	global_load_dwordx4 v[39:42], v[44:45], off
	global_load_dwordx4 v[43:46], v[44:45], off offset:16
	v_lshlrev_b64 v[57:58], 3, v[12:13]
	v_add_nc_u32_e32 v12, -1, v11
	v_add_co_u32 v57, vcc_lo, s2, v57
	v_add_co_ci_u32_e64 v58, null, s3, v58, vcc_lo
	v_lshlrev_b64 v[59:60], 3, v[12:13]
	v_mov_b32_e32 v12, v13
	global_load_dwordx2 v[57:58], v[57:58], off
	v_add_co_u32 v59, vcc_lo, s2, v59
	v_add_co_ci_u32_e64 v60, null, s3, v60, vcc_lo
	v_lshlrev_b64 v[61:62], 3, v[11:12]
	v_add_nc_u32_e32 v11, 0x300, v11
	global_load_dwordx2 v[59:60], v[59:60], off
	v_add_co_u32 v61, vcc_lo, s2, v61
	v_add_co_ci_u32_e64 v62, null, s3, v62, vcc_lo
	v_cmp_ge_i32_e32 vcc_lo, v7, v14
	global_load_dwordx2 v[61:62], v[61:62], off
	s_or_b32 s10, vcc_lo, s10
	s_waitcnt vmcnt(13)
	v_fma_f64 v[8:9], v[19:20], v[23:24], v[9:10]
	v_fma_f64 v[8:9], v[21:22], v[25:26], v[8:9]
	s_waitcnt vmcnt(12)
	v_fma_f64 v[8:9], v[15:16], v[27:28], v[8:9]
	v_fma_f64 v[8:9], v[17:18], v[29:30], v[8:9]
	s_waitcnt vmcnt(10)
	v_fma_f64 v[8:9], v[47:48], v[31:32], v[8:9]
	s_waitcnt vmcnt(8)
	;; [unrolled: 2-line block ×8, first 2 shown]
	v_fma_f64 v[9:10], v[61:62], v[45:46], v[8:9]
	s_andn2_b32 exec_lo, exec_lo, s10
	s_cbranch_execnz .LBB130_8
; %bb.9:
	s_or_b32 exec_lo, exec_lo, s10
.LBB130_10:
	s_or_b32 exec_lo, exec_lo, s9
	v_mbcnt_lo_u32_b32 v11, -1, 0
	v_or_b32_e32 v7, 32, v11
	v_cmp_gt_i32_e32 vcc_lo, 32, v7
	v_cndmask_b32_e32 v7, v11, v7, vcc_lo
	v_lshlrev_b32_e32 v8, 2, v7
	ds_bpermute_b32 v7, v8, v9
	ds_bpermute_b32 v8, v8, v10
	s_waitcnt lgkmcnt(0)
	v_add_f64 v[7:8], v[9:10], v[7:8]
	v_xor_b32_e32 v9, 16, v11
	v_cmp_gt_i32_e32 vcc_lo, 32, v9
	v_cndmask_b32_e32 v9, v11, v9, vcc_lo
	v_lshlrev_b32_e32 v10, 2, v9
	ds_bpermute_b32 v9, v10, v7
	ds_bpermute_b32 v10, v10, v8
	s_waitcnt lgkmcnt(0)
	v_add_f64 v[7:8], v[7:8], v[9:10]
	v_xor_b32_e32 v9, 8, v11
	;; [unrolled: 8-line block ×5, first 2 shown]
	v_cmp_gt_i32_e32 vcc_lo, 32, v9
	v_cndmask_b32_e32 v9, v11, v9, vcc_lo
	v_cmp_eq_u32_e32 vcc_lo, 63, v0
	v_lshlrev_b32_e32 v10, 2, v9
	ds_bpermute_b32 v9, v10, v7
	ds_bpermute_b32 v10, v10, v8
	s_and_b32 exec_lo, exec_lo, vcc_lo
	s_cbranch_execz .LBB130_15
; %bb.11:
	s_waitcnt lgkmcnt(0)
	v_add_f64 v[7:8], v[7:8], v[9:10]
	v_lshlrev_b64 v[5:6], 3, v[5:6]
	s_mov_b32 s0, exec_lo
	v_mul_f64 v[3:4], v[3:4], v[7:8]
	v_cmpx_eq_f64_e32 0, v[1:2]
	s_xor_b32 s0, exec_lo, s0
	s_cbranch_execz .LBB130_13
; %bb.12:
	v_add_co_u32 v0, vcc_lo, s6, v5
	v_add_co_ci_u32_e64 v1, null, s7, v6, vcc_lo
                                        ; implicit-def: $vgpr5_vgpr6
	global_store_dwordx2 v[0:1], v[3:4], off
                                        ; implicit-def: $vgpr1_vgpr2
                                        ; implicit-def: $vgpr3_vgpr4
.LBB130_13:
	s_andn2_saveexec_b32 s0, s0
	s_cbranch_execz .LBB130_15
; %bb.14:
	v_add_co_u32 v5, vcc_lo, s6, v5
	v_add_co_ci_u32_e64 v6, null, s7, v6, vcc_lo
	global_load_dwordx2 v[7:8], v[5:6], off
	s_waitcnt vmcnt(0)
	v_fma_f64 v[0:1], v[1:2], v[7:8], v[3:4]
	global_store_dwordx2 v[5:6], v[0:1], off
.LBB130_15:
	s_endpgm
	.section	.rodata,"a",@progbits
	.p2align	6, 0x0
	.amdhsa_kernel _ZN9rocsparseL19gebsrmvn_1xn_kernelILj128ELj12ELj64EdEEvi20rocsparse_direction_NS_24const_host_device_scalarIT2_EEPKiS6_PKS3_S8_S4_PS3_21rocsparse_index_base_b
		.amdhsa_group_segment_fixed_size 0
		.amdhsa_private_segment_fixed_size 0
		.amdhsa_kernarg_size 72
		.amdhsa_user_sgpr_count 6
		.amdhsa_user_sgpr_private_segment_buffer 1
		.amdhsa_user_sgpr_dispatch_ptr 0
		.amdhsa_user_sgpr_queue_ptr 0
		.amdhsa_user_sgpr_kernarg_segment_ptr 1
		.amdhsa_user_sgpr_dispatch_id 0
		.amdhsa_user_sgpr_flat_scratch_init 0
		.amdhsa_user_sgpr_private_segment_size 0
		.amdhsa_wavefront_size32 1
		.amdhsa_uses_dynamic_stack 0
		.amdhsa_system_sgpr_private_segment_wavefront_offset 0
		.amdhsa_system_sgpr_workgroup_id_x 1
		.amdhsa_system_sgpr_workgroup_id_y 0
		.amdhsa_system_sgpr_workgroup_id_z 0
		.amdhsa_system_sgpr_workgroup_info 0
		.amdhsa_system_vgpr_workitem_id 0
		.amdhsa_next_free_vgpr 63
		.amdhsa_next_free_sgpr 11
		.amdhsa_reserve_vcc 1
		.amdhsa_reserve_flat_scratch 0
		.amdhsa_float_round_mode_32 0
		.amdhsa_float_round_mode_16_64 0
		.amdhsa_float_denorm_mode_32 3
		.amdhsa_float_denorm_mode_16_64 3
		.amdhsa_dx10_clamp 1
		.amdhsa_ieee_mode 1
		.amdhsa_fp16_overflow 0
		.amdhsa_workgroup_processor_mode 1
		.amdhsa_memory_ordered 1
		.amdhsa_forward_progress 1
		.amdhsa_shared_vgpr_count 0
		.amdhsa_exception_fp_ieee_invalid_op 0
		.amdhsa_exception_fp_denorm_src 0
		.amdhsa_exception_fp_ieee_div_zero 0
		.amdhsa_exception_fp_ieee_overflow 0
		.amdhsa_exception_fp_ieee_underflow 0
		.amdhsa_exception_fp_ieee_inexact 0
		.amdhsa_exception_int_div_zero 0
	.end_amdhsa_kernel
	.section	.text._ZN9rocsparseL19gebsrmvn_1xn_kernelILj128ELj12ELj64EdEEvi20rocsparse_direction_NS_24const_host_device_scalarIT2_EEPKiS6_PKS3_S8_S4_PS3_21rocsparse_index_base_b,"axG",@progbits,_ZN9rocsparseL19gebsrmvn_1xn_kernelILj128ELj12ELj64EdEEvi20rocsparse_direction_NS_24const_host_device_scalarIT2_EEPKiS6_PKS3_S8_S4_PS3_21rocsparse_index_base_b,comdat
.Lfunc_end130:
	.size	_ZN9rocsparseL19gebsrmvn_1xn_kernelILj128ELj12ELj64EdEEvi20rocsparse_direction_NS_24const_host_device_scalarIT2_EEPKiS6_PKS3_S8_S4_PS3_21rocsparse_index_base_b, .Lfunc_end130-_ZN9rocsparseL19gebsrmvn_1xn_kernelILj128ELj12ELj64EdEEvi20rocsparse_direction_NS_24const_host_device_scalarIT2_EEPKiS6_PKS3_S8_S4_PS3_21rocsparse_index_base_b
                                        ; -- End function
	.set _ZN9rocsparseL19gebsrmvn_1xn_kernelILj128ELj12ELj64EdEEvi20rocsparse_direction_NS_24const_host_device_scalarIT2_EEPKiS6_PKS3_S8_S4_PS3_21rocsparse_index_base_b.num_vgpr, 63
	.set _ZN9rocsparseL19gebsrmvn_1xn_kernelILj128ELj12ELj64EdEEvi20rocsparse_direction_NS_24const_host_device_scalarIT2_EEPKiS6_PKS3_S8_S4_PS3_21rocsparse_index_base_b.num_agpr, 0
	.set _ZN9rocsparseL19gebsrmvn_1xn_kernelILj128ELj12ELj64EdEEvi20rocsparse_direction_NS_24const_host_device_scalarIT2_EEPKiS6_PKS3_S8_S4_PS3_21rocsparse_index_base_b.numbered_sgpr, 11
	.set _ZN9rocsparseL19gebsrmvn_1xn_kernelILj128ELj12ELj64EdEEvi20rocsparse_direction_NS_24const_host_device_scalarIT2_EEPKiS6_PKS3_S8_S4_PS3_21rocsparse_index_base_b.num_named_barrier, 0
	.set _ZN9rocsparseL19gebsrmvn_1xn_kernelILj128ELj12ELj64EdEEvi20rocsparse_direction_NS_24const_host_device_scalarIT2_EEPKiS6_PKS3_S8_S4_PS3_21rocsparse_index_base_b.private_seg_size, 0
	.set _ZN9rocsparseL19gebsrmvn_1xn_kernelILj128ELj12ELj64EdEEvi20rocsparse_direction_NS_24const_host_device_scalarIT2_EEPKiS6_PKS3_S8_S4_PS3_21rocsparse_index_base_b.uses_vcc, 1
	.set _ZN9rocsparseL19gebsrmvn_1xn_kernelILj128ELj12ELj64EdEEvi20rocsparse_direction_NS_24const_host_device_scalarIT2_EEPKiS6_PKS3_S8_S4_PS3_21rocsparse_index_base_b.uses_flat_scratch, 0
	.set _ZN9rocsparseL19gebsrmvn_1xn_kernelILj128ELj12ELj64EdEEvi20rocsparse_direction_NS_24const_host_device_scalarIT2_EEPKiS6_PKS3_S8_S4_PS3_21rocsparse_index_base_b.has_dyn_sized_stack, 0
	.set _ZN9rocsparseL19gebsrmvn_1xn_kernelILj128ELj12ELj64EdEEvi20rocsparse_direction_NS_24const_host_device_scalarIT2_EEPKiS6_PKS3_S8_S4_PS3_21rocsparse_index_base_b.has_recursion, 0
	.set _ZN9rocsparseL19gebsrmvn_1xn_kernelILj128ELj12ELj64EdEEvi20rocsparse_direction_NS_24const_host_device_scalarIT2_EEPKiS6_PKS3_S8_S4_PS3_21rocsparse_index_base_b.has_indirect_call, 0
	.section	.AMDGPU.csdata,"",@progbits
; Kernel info:
; codeLenInByte = 1424
; TotalNumSgprs: 13
; NumVgprs: 63
; ScratchSize: 0
; MemoryBound: 1
; FloatMode: 240
; IeeeMode: 1
; LDSByteSize: 0 bytes/workgroup (compile time only)
; SGPRBlocks: 0
; VGPRBlocks: 7
; NumSGPRsForWavesPerEU: 13
; NumVGPRsForWavesPerEU: 63
; Occupancy: 16
; WaveLimiterHint : 1
; COMPUTE_PGM_RSRC2:SCRATCH_EN: 0
; COMPUTE_PGM_RSRC2:USER_SGPR: 6
; COMPUTE_PGM_RSRC2:TRAP_HANDLER: 0
; COMPUTE_PGM_RSRC2:TGID_X_EN: 1
; COMPUTE_PGM_RSRC2:TGID_Y_EN: 0
; COMPUTE_PGM_RSRC2:TGID_Z_EN: 0
; COMPUTE_PGM_RSRC2:TIDIG_COMP_CNT: 0
	.section	.text._ZN9rocsparseL19gebsrmvn_1xn_kernelILj128ELj13ELj4EdEEvi20rocsparse_direction_NS_24const_host_device_scalarIT2_EEPKiS6_PKS3_S8_S4_PS3_21rocsparse_index_base_b,"axG",@progbits,_ZN9rocsparseL19gebsrmvn_1xn_kernelILj128ELj13ELj4EdEEvi20rocsparse_direction_NS_24const_host_device_scalarIT2_EEPKiS6_PKS3_S8_S4_PS3_21rocsparse_index_base_b,comdat
	.globl	_ZN9rocsparseL19gebsrmvn_1xn_kernelILj128ELj13ELj4EdEEvi20rocsparse_direction_NS_24const_host_device_scalarIT2_EEPKiS6_PKS3_S8_S4_PS3_21rocsparse_index_base_b ; -- Begin function _ZN9rocsparseL19gebsrmvn_1xn_kernelILj128ELj13ELj4EdEEvi20rocsparse_direction_NS_24const_host_device_scalarIT2_EEPKiS6_PKS3_S8_S4_PS3_21rocsparse_index_base_b
	.p2align	8
	.type	_ZN9rocsparseL19gebsrmvn_1xn_kernelILj128ELj13ELj4EdEEvi20rocsparse_direction_NS_24const_host_device_scalarIT2_EEPKiS6_PKS3_S8_S4_PS3_21rocsparse_index_base_b,@function
_ZN9rocsparseL19gebsrmvn_1xn_kernelILj128ELj13ELj4EdEEvi20rocsparse_direction_NS_24const_host_device_scalarIT2_EEPKiS6_PKS3_S8_S4_PS3_21rocsparse_index_base_b: ; @_ZN9rocsparseL19gebsrmvn_1xn_kernelILj128ELj13ELj4EdEEvi20rocsparse_direction_NS_24const_host_device_scalarIT2_EEPKiS6_PKS3_S8_S4_PS3_21rocsparse_index_base_b
; %bb.0:
	s_clause 0x2
	s_load_dwordx2 s[8:9], s[4:5], 0x40
	s_load_dwordx2 s[2:3], s[4:5], 0x8
	;; [unrolled: 1-line block ×3, first 2 shown]
	s_waitcnt lgkmcnt(0)
	s_bitcmp1_b32 s9, 0
	v_mov_b32_e32 v4, s3
	v_mov_b32_e32 v3, s2
	s_cselect_b32 s7, -1, 0
	s_and_b32 vcc_lo, exec_lo, s7
	s_xor_b32 s7, s7, -1
	s_cbranch_vccnz .LBB131_2
; %bb.1:
	v_mov_b32_e32 v1, s2
	v_mov_b32_e32 v2, s3
	flat_load_dwordx2 v[3:4], v[1:2]
.LBB131_2:
	v_mov_b32_e32 v2, s1
	v_mov_b32_e32 v1, s0
	s_andn2_b32 vcc_lo, exec_lo, s7
	s_cbranch_vccnz .LBB131_4
; %bb.3:
	v_mov_b32_e32 v2, s1
	v_mov_b32_e32 v1, s0
	flat_load_dwordx2 v[1:2], v[1:2]
.LBB131_4:
	s_waitcnt vmcnt(0) lgkmcnt(0)
	v_cmp_neq_f64_e32 vcc_lo, 0, v[3:4]
	v_cmp_neq_f64_e64 s0, 1.0, v[1:2]
	s_or_b32 s0, vcc_lo, s0
	s_and_saveexec_b32 s1, s0
	s_cbranch_execz .LBB131_15
; %bb.5:
	s_load_dword s0, s[4:5], 0x0
	v_lshrrev_b32_e32 v5, 2, v0
	v_lshl_or_b32 v5, s6, 5, v5
	s_waitcnt lgkmcnt(0)
	v_cmp_gt_i32_e32 vcc_lo, s0, v5
	s_and_b32 exec_lo, exec_lo, vcc_lo
	s_cbranch_execz .LBB131_15
; %bb.6:
	s_clause 0x1
	s_load_dwordx2 s[0:1], s[4:5], 0x10
	s_load_dwordx2 s[6:7], s[4:5], 0x38
	v_ashrrev_i32_e32 v6, 31, v5
	v_and_b32_e32 v0, 3, v0
	s_mov_b32 s9, exec_lo
	v_lshlrev_b64 v[7:8], 2, v[5:6]
	v_subrev_nc_u32_e32 v9, s8, v0
	s_waitcnt lgkmcnt(0)
	v_add_co_u32 v7, vcc_lo, s0, v7
	v_add_co_ci_u32_e64 v8, null, s1, v8, vcc_lo
	global_load_dwordx2 v[7:8], v[7:8], off
	s_waitcnt vmcnt(0)
	v_add_nc_u32_e32 v7, v7, v9
	v_mov_b32_e32 v9, 0
	v_subrev_nc_u32_e32 v15, s8, v8
	v_mov_b32_e32 v10, 0
	v_cmpx_lt_i32_e64 v7, v15
	s_cbranch_execz .LBB131_10
; %bb.7:
	s_clause 0x1
	s_load_dwordx4 s[0:3], s[4:5], 0x18
	s_load_dwordx2 s[4:5], s[4:5], 0x28
	v_mad_u64_u32 v[11:12], null, v7, 13, 12
	v_mov_b32_e32 v9, 0
	v_mov_b32_e32 v10, 0
	;; [unrolled: 1-line block ×3, first 2 shown]
	s_mov_b32 s10, 0
.LBB131_8:                              ; =>This Inner Loop Header: Depth=1
	v_ashrrev_i32_e32 v8, 31, v7
	v_mov_b32_e32 v17, v14
	v_lshlrev_b64 v[12:13], 2, v[7:8]
	v_add_nc_u32_e32 v7, 4, v7
	s_waitcnt lgkmcnt(0)
	v_add_co_u32 v12, vcc_lo, s0, v12
	v_add_co_ci_u32_e64 v13, null, s1, v13, vcc_lo
	global_load_dword v8, v[12:13], off
	v_add_nc_u32_e32 v13, -12, v11
	v_lshlrev_b64 v[18:19], 3, v[13:14]
	v_add_nc_u32_e32 v13, -11, v11
	v_lshlrev_b64 v[12:13], 3, v[13:14]
	v_add_co_u32 v18, vcc_lo, s2, v18
	v_add_co_ci_u32_e64 v19, null, s3, v19, vcc_lo
	v_add_co_u32 v20, vcc_lo, s2, v12
	v_add_co_ci_u32_e64 v21, null, s3, v13, vcc_lo
	s_waitcnt vmcnt(0)
	v_subrev_nc_u32_e32 v8, s8, v8
	v_mul_lo_u32 v16, v8, 13
	v_add_nc_u32_e32 v13, 1, v16
	v_lshlrev_b64 v[22:23], 3, v[16:17]
	v_lshlrev_b64 v[24:25], 3, v[13:14]
	v_add_nc_u32_e32 v13, -10, v11
	v_add_co_u32 v22, vcc_lo, s4, v22
	v_add_co_ci_u32_e64 v23, null, s5, v23, vcc_lo
	v_lshlrev_b64 v[26:27], 3, v[13:14]
	v_add_nc_u32_e32 v13, 2, v16
	v_add_co_u32 v24, vcc_lo, s4, v24
	v_add_co_ci_u32_e64 v25, null, s5, v25, vcc_lo
	v_lshlrev_b64 v[28:29], 3, v[13:14]
	v_add_nc_u32_e32 v13, -9, v11
	v_add_co_u32 v26, vcc_lo, s2, v26
	v_add_co_ci_u32_e64 v27, null, s3, v27, vcc_lo
	v_lshlrev_b64 v[30:31], 3, v[13:14]
	v_add_nc_u32_e32 v13, 3, v16
	v_add_co_u32 v28, vcc_lo, s4, v28
	v_add_co_ci_u32_e64 v29, null, s5, v29, vcc_lo
	;; [unrolled: 8-line block ×9, first 2 shown]
	v_lshlrev_b64 v[60:61], 3, v[13:14]
	v_add_co_u32 v58, vcc_lo, s2, v58
	v_add_co_ci_u32_e64 v59, null, s3, v59, vcc_lo
	v_add_nc_u32_e32 v13, -1, v11
	v_add_co_u32 v60, vcc_lo, s4, v60
	v_add_co_ci_u32_e64 v61, null, s5, v61, vcc_lo
	global_load_dwordx2 v[17:18], v[18:19], off
	global_load_dwordx2 v[22:23], v[22:23], off
	;; [unrolled: 1-line block ×22, first 2 shown]
	v_lshlrev_b64 v[62:63], 3, v[13:14]
	v_add_nc_u32_e32 v13, 11, v16
	v_lshlrev_b64 v[12:13], 3, v[13:14]
	v_add_co_u32 v62, vcc_lo, s2, v62
	v_add_co_ci_u32_e64 v63, null, s3, v63, vcc_lo
	v_add_co_u32 v64, vcc_lo, s4, v12
	v_add_co_ci_u32_e64 v65, null, s5, v13, vcc_lo
	global_load_dwordx2 v[62:63], v[62:63], off
	global_load_dwordx2 v[64:65], v[64:65], off
	v_mov_b32_e32 v12, v14
	v_add_nc_u32_e32 v13, 12, v16
	v_lshlrev_b64 v[66:67], 3, v[11:12]
	v_add_nc_u32_e32 v11, 52, v11
	v_add_co_u32 v12, vcc_lo, s2, v66
	s_waitcnt vmcnt(22)
	v_fma_f64 v[8:9], v[17:18], v[22:23], v[9:10]
	v_lshlrev_b64 v[16:17], 3, v[13:14]
	v_add_co_ci_u32_e64 v13, null, s3, v67, vcc_lo
	v_add_co_u32 v16, vcc_lo, s4, v16
	v_add_co_ci_u32_e64 v17, null, s5, v17, vcc_lo
	global_load_dwordx2 v[12:13], v[12:13], off
	global_load_dwordx2 v[16:17], v[16:17], off
	v_cmp_ge_i32_e32 vcc_lo, v7, v15
	s_or_b32 s10, vcc_lo, s10
	s_waitcnt vmcnt(22)
	v_fma_f64 v[8:9], v[19:20], v[24:25], v[8:9]
	s_waitcnt vmcnt(20)
	v_fma_f64 v[8:9], v[26:27], v[28:29], v[8:9]
	;; [unrolled: 2-line block ×12, first 2 shown]
	s_andn2_b32 exec_lo, exec_lo, s10
	s_cbranch_execnz .LBB131_8
; %bb.9:
	s_or_b32 exec_lo, exec_lo, s10
.LBB131_10:
	s_or_b32 exec_lo, exec_lo, s9
	v_mbcnt_lo_u32_b32 v11, -1, 0
	v_xor_b32_e32 v7, 2, v11
	v_cmp_gt_i32_e32 vcc_lo, 32, v7
	v_cndmask_b32_e32 v7, v11, v7, vcc_lo
	v_lshlrev_b32_e32 v8, 2, v7
	ds_bpermute_b32 v7, v8, v9
	ds_bpermute_b32 v8, v8, v10
	s_waitcnt lgkmcnt(0)
	v_add_f64 v[7:8], v[9:10], v[7:8]
	v_xor_b32_e32 v9, 1, v11
	v_cmp_gt_i32_e32 vcc_lo, 32, v9
	v_cndmask_b32_e32 v9, v11, v9, vcc_lo
	v_cmp_eq_u32_e32 vcc_lo, 3, v0
	v_lshlrev_b32_e32 v10, 2, v9
	ds_bpermute_b32 v9, v10, v7
	ds_bpermute_b32 v10, v10, v8
	s_and_b32 exec_lo, exec_lo, vcc_lo
	s_cbranch_execz .LBB131_15
; %bb.11:
	s_waitcnt lgkmcnt(0)
	v_add_f64 v[7:8], v[7:8], v[9:10]
	v_lshlrev_b64 v[5:6], 3, v[5:6]
	s_mov_b32 s0, exec_lo
	v_mul_f64 v[3:4], v[3:4], v[7:8]
	v_cmpx_eq_f64_e32 0, v[1:2]
	s_xor_b32 s0, exec_lo, s0
	s_cbranch_execz .LBB131_13
; %bb.12:
	v_add_co_u32 v0, vcc_lo, s6, v5
	v_add_co_ci_u32_e64 v1, null, s7, v6, vcc_lo
                                        ; implicit-def: $vgpr5_vgpr6
	global_store_dwordx2 v[0:1], v[3:4], off
                                        ; implicit-def: $vgpr1_vgpr2
                                        ; implicit-def: $vgpr3_vgpr4
.LBB131_13:
	s_andn2_saveexec_b32 s0, s0
	s_cbranch_execz .LBB131_15
; %bb.14:
	v_add_co_u32 v5, vcc_lo, s6, v5
	v_add_co_ci_u32_e64 v6, null, s7, v6, vcc_lo
	global_load_dwordx2 v[7:8], v[5:6], off
	s_waitcnt vmcnt(0)
	v_fma_f64 v[0:1], v[1:2], v[7:8], v[3:4]
	global_store_dwordx2 v[5:6], v[0:1], off
.LBB131_15:
	s_endpgm
	.section	.rodata,"a",@progbits
	.p2align	6, 0x0
	.amdhsa_kernel _ZN9rocsparseL19gebsrmvn_1xn_kernelILj128ELj13ELj4EdEEvi20rocsparse_direction_NS_24const_host_device_scalarIT2_EEPKiS6_PKS3_S8_S4_PS3_21rocsparse_index_base_b
		.amdhsa_group_segment_fixed_size 0
		.amdhsa_private_segment_fixed_size 0
		.amdhsa_kernarg_size 72
		.amdhsa_user_sgpr_count 6
		.amdhsa_user_sgpr_private_segment_buffer 1
		.amdhsa_user_sgpr_dispatch_ptr 0
		.amdhsa_user_sgpr_queue_ptr 0
		.amdhsa_user_sgpr_kernarg_segment_ptr 1
		.amdhsa_user_sgpr_dispatch_id 0
		.amdhsa_user_sgpr_flat_scratch_init 0
		.amdhsa_user_sgpr_private_segment_size 0
		.amdhsa_wavefront_size32 1
		.amdhsa_uses_dynamic_stack 0
		.amdhsa_system_sgpr_private_segment_wavefront_offset 0
		.amdhsa_system_sgpr_workgroup_id_x 1
		.amdhsa_system_sgpr_workgroup_id_y 0
		.amdhsa_system_sgpr_workgroup_id_z 0
		.amdhsa_system_sgpr_workgroup_info 0
		.amdhsa_system_vgpr_workitem_id 0
		.amdhsa_next_free_vgpr 68
		.amdhsa_next_free_sgpr 11
		.amdhsa_reserve_vcc 1
		.amdhsa_reserve_flat_scratch 0
		.amdhsa_float_round_mode_32 0
		.amdhsa_float_round_mode_16_64 0
		.amdhsa_float_denorm_mode_32 3
		.amdhsa_float_denorm_mode_16_64 3
		.amdhsa_dx10_clamp 1
		.amdhsa_ieee_mode 1
		.amdhsa_fp16_overflow 0
		.amdhsa_workgroup_processor_mode 1
		.amdhsa_memory_ordered 1
		.amdhsa_forward_progress 1
		.amdhsa_shared_vgpr_count 0
		.amdhsa_exception_fp_ieee_invalid_op 0
		.amdhsa_exception_fp_denorm_src 0
		.amdhsa_exception_fp_ieee_div_zero 0
		.amdhsa_exception_fp_ieee_overflow 0
		.amdhsa_exception_fp_ieee_underflow 0
		.amdhsa_exception_fp_ieee_inexact 0
		.amdhsa_exception_int_div_zero 0
	.end_amdhsa_kernel
	.section	.text._ZN9rocsparseL19gebsrmvn_1xn_kernelILj128ELj13ELj4EdEEvi20rocsparse_direction_NS_24const_host_device_scalarIT2_EEPKiS6_PKS3_S8_S4_PS3_21rocsparse_index_base_b,"axG",@progbits,_ZN9rocsparseL19gebsrmvn_1xn_kernelILj128ELj13ELj4EdEEvi20rocsparse_direction_NS_24const_host_device_scalarIT2_EEPKiS6_PKS3_S8_S4_PS3_21rocsparse_index_base_b,comdat
.Lfunc_end131:
	.size	_ZN9rocsparseL19gebsrmvn_1xn_kernelILj128ELj13ELj4EdEEvi20rocsparse_direction_NS_24const_host_device_scalarIT2_EEPKiS6_PKS3_S8_S4_PS3_21rocsparse_index_base_b, .Lfunc_end131-_ZN9rocsparseL19gebsrmvn_1xn_kernelILj128ELj13ELj4EdEEvi20rocsparse_direction_NS_24const_host_device_scalarIT2_EEPKiS6_PKS3_S8_S4_PS3_21rocsparse_index_base_b
                                        ; -- End function
	.set _ZN9rocsparseL19gebsrmvn_1xn_kernelILj128ELj13ELj4EdEEvi20rocsparse_direction_NS_24const_host_device_scalarIT2_EEPKiS6_PKS3_S8_S4_PS3_21rocsparse_index_base_b.num_vgpr, 68
	.set _ZN9rocsparseL19gebsrmvn_1xn_kernelILj128ELj13ELj4EdEEvi20rocsparse_direction_NS_24const_host_device_scalarIT2_EEPKiS6_PKS3_S8_S4_PS3_21rocsparse_index_base_b.num_agpr, 0
	.set _ZN9rocsparseL19gebsrmvn_1xn_kernelILj128ELj13ELj4EdEEvi20rocsparse_direction_NS_24const_host_device_scalarIT2_EEPKiS6_PKS3_S8_S4_PS3_21rocsparse_index_base_b.numbered_sgpr, 11
	.set _ZN9rocsparseL19gebsrmvn_1xn_kernelILj128ELj13ELj4EdEEvi20rocsparse_direction_NS_24const_host_device_scalarIT2_EEPKiS6_PKS3_S8_S4_PS3_21rocsparse_index_base_b.num_named_barrier, 0
	.set _ZN9rocsparseL19gebsrmvn_1xn_kernelILj128ELj13ELj4EdEEvi20rocsparse_direction_NS_24const_host_device_scalarIT2_EEPKiS6_PKS3_S8_S4_PS3_21rocsparse_index_base_b.private_seg_size, 0
	.set _ZN9rocsparseL19gebsrmvn_1xn_kernelILj128ELj13ELj4EdEEvi20rocsparse_direction_NS_24const_host_device_scalarIT2_EEPKiS6_PKS3_S8_S4_PS3_21rocsparse_index_base_b.uses_vcc, 1
	.set _ZN9rocsparseL19gebsrmvn_1xn_kernelILj128ELj13ELj4EdEEvi20rocsparse_direction_NS_24const_host_device_scalarIT2_EEPKiS6_PKS3_S8_S4_PS3_21rocsparse_index_base_b.uses_flat_scratch, 0
	.set _ZN9rocsparseL19gebsrmvn_1xn_kernelILj128ELj13ELj4EdEEvi20rocsparse_direction_NS_24const_host_device_scalarIT2_EEPKiS6_PKS3_S8_S4_PS3_21rocsparse_index_base_b.has_dyn_sized_stack, 0
	.set _ZN9rocsparseL19gebsrmvn_1xn_kernelILj128ELj13ELj4EdEEvi20rocsparse_direction_NS_24const_host_device_scalarIT2_EEPKiS6_PKS3_S8_S4_PS3_21rocsparse_index_base_b.has_recursion, 0
	.set _ZN9rocsparseL19gebsrmvn_1xn_kernelILj128ELj13ELj4EdEEvi20rocsparse_direction_NS_24const_host_device_scalarIT2_EEPKiS6_PKS3_S8_S4_PS3_21rocsparse_index_base_b.has_indirect_call, 0
	.section	.AMDGPU.csdata,"",@progbits
; Kernel info:
; codeLenInByte = 1720
; TotalNumSgprs: 13
; NumVgprs: 68
; ScratchSize: 0
; MemoryBound: 0
; FloatMode: 240
; IeeeMode: 1
; LDSByteSize: 0 bytes/workgroup (compile time only)
; SGPRBlocks: 0
; VGPRBlocks: 8
; NumSGPRsForWavesPerEU: 13
; NumVGPRsForWavesPerEU: 68
; Occupancy: 12
; WaveLimiterHint : 1
; COMPUTE_PGM_RSRC2:SCRATCH_EN: 0
; COMPUTE_PGM_RSRC2:USER_SGPR: 6
; COMPUTE_PGM_RSRC2:TRAP_HANDLER: 0
; COMPUTE_PGM_RSRC2:TGID_X_EN: 1
; COMPUTE_PGM_RSRC2:TGID_Y_EN: 0
; COMPUTE_PGM_RSRC2:TGID_Z_EN: 0
; COMPUTE_PGM_RSRC2:TIDIG_COMP_CNT: 0
	.section	.text._ZN9rocsparseL19gebsrmvn_1xn_kernelILj128ELj13ELj8EdEEvi20rocsparse_direction_NS_24const_host_device_scalarIT2_EEPKiS6_PKS3_S8_S4_PS3_21rocsparse_index_base_b,"axG",@progbits,_ZN9rocsparseL19gebsrmvn_1xn_kernelILj128ELj13ELj8EdEEvi20rocsparse_direction_NS_24const_host_device_scalarIT2_EEPKiS6_PKS3_S8_S4_PS3_21rocsparse_index_base_b,comdat
	.globl	_ZN9rocsparseL19gebsrmvn_1xn_kernelILj128ELj13ELj8EdEEvi20rocsparse_direction_NS_24const_host_device_scalarIT2_EEPKiS6_PKS3_S8_S4_PS3_21rocsparse_index_base_b ; -- Begin function _ZN9rocsparseL19gebsrmvn_1xn_kernelILj128ELj13ELj8EdEEvi20rocsparse_direction_NS_24const_host_device_scalarIT2_EEPKiS6_PKS3_S8_S4_PS3_21rocsparse_index_base_b
	.p2align	8
	.type	_ZN9rocsparseL19gebsrmvn_1xn_kernelILj128ELj13ELj8EdEEvi20rocsparse_direction_NS_24const_host_device_scalarIT2_EEPKiS6_PKS3_S8_S4_PS3_21rocsparse_index_base_b,@function
_ZN9rocsparseL19gebsrmvn_1xn_kernelILj128ELj13ELj8EdEEvi20rocsparse_direction_NS_24const_host_device_scalarIT2_EEPKiS6_PKS3_S8_S4_PS3_21rocsparse_index_base_b: ; @_ZN9rocsparseL19gebsrmvn_1xn_kernelILj128ELj13ELj8EdEEvi20rocsparse_direction_NS_24const_host_device_scalarIT2_EEPKiS6_PKS3_S8_S4_PS3_21rocsparse_index_base_b
; %bb.0:
	s_clause 0x2
	s_load_dwordx2 s[8:9], s[4:5], 0x40
	s_load_dwordx2 s[2:3], s[4:5], 0x8
	;; [unrolled: 1-line block ×3, first 2 shown]
	s_waitcnt lgkmcnt(0)
	s_bitcmp1_b32 s9, 0
	v_mov_b32_e32 v4, s3
	v_mov_b32_e32 v3, s2
	s_cselect_b32 s7, -1, 0
	s_and_b32 vcc_lo, exec_lo, s7
	s_xor_b32 s7, s7, -1
	s_cbranch_vccnz .LBB132_2
; %bb.1:
	v_mov_b32_e32 v1, s2
	v_mov_b32_e32 v2, s3
	flat_load_dwordx2 v[3:4], v[1:2]
.LBB132_2:
	v_mov_b32_e32 v2, s1
	v_mov_b32_e32 v1, s0
	s_andn2_b32 vcc_lo, exec_lo, s7
	s_cbranch_vccnz .LBB132_4
; %bb.3:
	v_mov_b32_e32 v2, s1
	v_mov_b32_e32 v1, s0
	flat_load_dwordx2 v[1:2], v[1:2]
.LBB132_4:
	s_waitcnt vmcnt(0) lgkmcnt(0)
	v_cmp_neq_f64_e32 vcc_lo, 0, v[3:4]
	v_cmp_neq_f64_e64 s0, 1.0, v[1:2]
	s_or_b32 s0, vcc_lo, s0
	s_and_saveexec_b32 s1, s0
	s_cbranch_execz .LBB132_15
; %bb.5:
	s_load_dword s0, s[4:5], 0x0
	v_lshrrev_b32_e32 v5, 3, v0
	v_lshl_or_b32 v5, s6, 4, v5
	s_waitcnt lgkmcnt(0)
	v_cmp_gt_i32_e32 vcc_lo, s0, v5
	s_and_b32 exec_lo, exec_lo, vcc_lo
	s_cbranch_execz .LBB132_15
; %bb.6:
	s_clause 0x1
	s_load_dwordx2 s[0:1], s[4:5], 0x10
	s_load_dwordx2 s[6:7], s[4:5], 0x38
	v_ashrrev_i32_e32 v6, 31, v5
	v_and_b32_e32 v0, 7, v0
	s_mov_b32 s9, exec_lo
	v_lshlrev_b64 v[7:8], 2, v[5:6]
	v_subrev_nc_u32_e32 v9, s8, v0
	s_waitcnt lgkmcnt(0)
	v_add_co_u32 v7, vcc_lo, s0, v7
	v_add_co_ci_u32_e64 v8, null, s1, v8, vcc_lo
	global_load_dwordx2 v[7:8], v[7:8], off
	s_waitcnt vmcnt(0)
	v_add_nc_u32_e32 v7, v7, v9
	v_mov_b32_e32 v9, 0
	v_subrev_nc_u32_e32 v15, s8, v8
	v_mov_b32_e32 v10, 0
	v_cmpx_lt_i32_e64 v7, v15
	s_cbranch_execz .LBB132_10
; %bb.7:
	s_clause 0x1
	s_load_dwordx4 s[0:3], s[4:5], 0x18
	s_load_dwordx2 s[4:5], s[4:5], 0x28
	v_mad_u64_u32 v[11:12], null, v7, 13, 12
	v_mov_b32_e32 v9, 0
	v_mov_b32_e32 v10, 0
	;; [unrolled: 1-line block ×3, first 2 shown]
	s_mov_b32 s10, 0
.LBB132_8:                              ; =>This Inner Loop Header: Depth=1
	v_ashrrev_i32_e32 v8, 31, v7
	v_mov_b32_e32 v17, v14
	v_lshlrev_b64 v[12:13], 2, v[7:8]
	v_add_nc_u32_e32 v7, 8, v7
	s_waitcnt lgkmcnt(0)
	v_add_co_u32 v12, vcc_lo, s0, v12
	v_add_co_ci_u32_e64 v13, null, s1, v13, vcc_lo
	global_load_dword v8, v[12:13], off
	v_add_nc_u32_e32 v13, -12, v11
	v_lshlrev_b64 v[18:19], 3, v[13:14]
	v_add_nc_u32_e32 v13, -11, v11
	v_lshlrev_b64 v[12:13], 3, v[13:14]
	v_add_co_u32 v18, vcc_lo, s2, v18
	v_add_co_ci_u32_e64 v19, null, s3, v19, vcc_lo
	v_add_co_u32 v20, vcc_lo, s2, v12
	v_add_co_ci_u32_e64 v21, null, s3, v13, vcc_lo
	s_waitcnt vmcnt(0)
	v_subrev_nc_u32_e32 v8, s8, v8
	v_mul_lo_u32 v16, v8, 13
	v_add_nc_u32_e32 v13, 1, v16
	v_lshlrev_b64 v[22:23], 3, v[16:17]
	v_lshlrev_b64 v[24:25], 3, v[13:14]
	v_add_nc_u32_e32 v13, -10, v11
	v_add_co_u32 v22, vcc_lo, s4, v22
	v_add_co_ci_u32_e64 v23, null, s5, v23, vcc_lo
	v_lshlrev_b64 v[26:27], 3, v[13:14]
	v_add_nc_u32_e32 v13, 2, v16
	v_add_co_u32 v24, vcc_lo, s4, v24
	v_add_co_ci_u32_e64 v25, null, s5, v25, vcc_lo
	v_lshlrev_b64 v[28:29], 3, v[13:14]
	v_add_nc_u32_e32 v13, -9, v11
	v_add_co_u32 v26, vcc_lo, s2, v26
	v_add_co_ci_u32_e64 v27, null, s3, v27, vcc_lo
	v_lshlrev_b64 v[30:31], 3, v[13:14]
	v_add_nc_u32_e32 v13, 3, v16
	v_add_co_u32 v28, vcc_lo, s4, v28
	v_add_co_ci_u32_e64 v29, null, s5, v29, vcc_lo
	;; [unrolled: 8-line block ×9, first 2 shown]
	v_lshlrev_b64 v[60:61], 3, v[13:14]
	v_add_co_u32 v58, vcc_lo, s2, v58
	v_add_co_ci_u32_e64 v59, null, s3, v59, vcc_lo
	v_add_nc_u32_e32 v13, -1, v11
	v_add_co_u32 v60, vcc_lo, s4, v60
	v_add_co_ci_u32_e64 v61, null, s5, v61, vcc_lo
	global_load_dwordx2 v[17:18], v[18:19], off
	global_load_dwordx2 v[22:23], v[22:23], off
	;; [unrolled: 1-line block ×22, first 2 shown]
	v_lshlrev_b64 v[62:63], 3, v[13:14]
	v_add_nc_u32_e32 v13, 11, v16
	v_lshlrev_b64 v[12:13], 3, v[13:14]
	v_add_co_u32 v62, vcc_lo, s2, v62
	v_add_co_ci_u32_e64 v63, null, s3, v63, vcc_lo
	v_add_co_u32 v64, vcc_lo, s4, v12
	v_add_co_ci_u32_e64 v65, null, s5, v13, vcc_lo
	global_load_dwordx2 v[62:63], v[62:63], off
	global_load_dwordx2 v[64:65], v[64:65], off
	v_mov_b32_e32 v12, v14
	v_add_nc_u32_e32 v13, 12, v16
	v_lshlrev_b64 v[66:67], 3, v[11:12]
	v_add_nc_u32_e32 v11, 0x68, v11
	v_add_co_u32 v12, vcc_lo, s2, v66
	s_waitcnt vmcnt(22)
	v_fma_f64 v[8:9], v[17:18], v[22:23], v[9:10]
	v_lshlrev_b64 v[16:17], 3, v[13:14]
	v_add_co_ci_u32_e64 v13, null, s3, v67, vcc_lo
	v_add_co_u32 v16, vcc_lo, s4, v16
	v_add_co_ci_u32_e64 v17, null, s5, v17, vcc_lo
	global_load_dwordx2 v[12:13], v[12:13], off
	global_load_dwordx2 v[16:17], v[16:17], off
	v_cmp_ge_i32_e32 vcc_lo, v7, v15
	s_or_b32 s10, vcc_lo, s10
	s_waitcnt vmcnt(22)
	v_fma_f64 v[8:9], v[19:20], v[24:25], v[8:9]
	s_waitcnt vmcnt(20)
	v_fma_f64 v[8:9], v[26:27], v[28:29], v[8:9]
	;; [unrolled: 2-line block ×12, first 2 shown]
	s_andn2_b32 exec_lo, exec_lo, s10
	s_cbranch_execnz .LBB132_8
; %bb.9:
	s_or_b32 exec_lo, exec_lo, s10
.LBB132_10:
	s_or_b32 exec_lo, exec_lo, s9
	v_mbcnt_lo_u32_b32 v11, -1, 0
	v_xor_b32_e32 v7, 4, v11
	v_cmp_gt_i32_e32 vcc_lo, 32, v7
	v_cndmask_b32_e32 v7, v11, v7, vcc_lo
	v_lshlrev_b32_e32 v8, 2, v7
	ds_bpermute_b32 v7, v8, v9
	ds_bpermute_b32 v8, v8, v10
	s_waitcnt lgkmcnt(0)
	v_add_f64 v[7:8], v[9:10], v[7:8]
	v_xor_b32_e32 v9, 2, v11
	v_cmp_gt_i32_e32 vcc_lo, 32, v9
	v_cndmask_b32_e32 v9, v11, v9, vcc_lo
	v_lshlrev_b32_e32 v10, 2, v9
	ds_bpermute_b32 v9, v10, v7
	ds_bpermute_b32 v10, v10, v8
	s_waitcnt lgkmcnt(0)
	v_add_f64 v[7:8], v[7:8], v[9:10]
	v_xor_b32_e32 v9, 1, v11
	v_cmp_gt_i32_e32 vcc_lo, 32, v9
	v_cndmask_b32_e32 v9, v11, v9, vcc_lo
	v_cmp_eq_u32_e32 vcc_lo, 7, v0
	v_lshlrev_b32_e32 v10, 2, v9
	ds_bpermute_b32 v9, v10, v7
	ds_bpermute_b32 v10, v10, v8
	s_and_b32 exec_lo, exec_lo, vcc_lo
	s_cbranch_execz .LBB132_15
; %bb.11:
	s_waitcnt lgkmcnt(0)
	v_add_f64 v[7:8], v[7:8], v[9:10]
	v_lshlrev_b64 v[5:6], 3, v[5:6]
	s_mov_b32 s0, exec_lo
	v_mul_f64 v[3:4], v[3:4], v[7:8]
	v_cmpx_eq_f64_e32 0, v[1:2]
	s_xor_b32 s0, exec_lo, s0
	s_cbranch_execz .LBB132_13
; %bb.12:
	v_add_co_u32 v0, vcc_lo, s6, v5
	v_add_co_ci_u32_e64 v1, null, s7, v6, vcc_lo
                                        ; implicit-def: $vgpr5_vgpr6
	global_store_dwordx2 v[0:1], v[3:4], off
                                        ; implicit-def: $vgpr1_vgpr2
                                        ; implicit-def: $vgpr3_vgpr4
.LBB132_13:
	s_andn2_saveexec_b32 s0, s0
	s_cbranch_execz .LBB132_15
; %bb.14:
	v_add_co_u32 v5, vcc_lo, s6, v5
	v_add_co_ci_u32_e64 v6, null, s7, v6, vcc_lo
	global_load_dwordx2 v[7:8], v[5:6], off
	s_waitcnt vmcnt(0)
	v_fma_f64 v[0:1], v[1:2], v[7:8], v[3:4]
	global_store_dwordx2 v[5:6], v[0:1], off
.LBB132_15:
	s_endpgm
	.section	.rodata,"a",@progbits
	.p2align	6, 0x0
	.amdhsa_kernel _ZN9rocsparseL19gebsrmvn_1xn_kernelILj128ELj13ELj8EdEEvi20rocsparse_direction_NS_24const_host_device_scalarIT2_EEPKiS6_PKS3_S8_S4_PS3_21rocsparse_index_base_b
		.amdhsa_group_segment_fixed_size 0
		.amdhsa_private_segment_fixed_size 0
		.amdhsa_kernarg_size 72
		.amdhsa_user_sgpr_count 6
		.amdhsa_user_sgpr_private_segment_buffer 1
		.amdhsa_user_sgpr_dispatch_ptr 0
		.amdhsa_user_sgpr_queue_ptr 0
		.amdhsa_user_sgpr_kernarg_segment_ptr 1
		.amdhsa_user_sgpr_dispatch_id 0
		.amdhsa_user_sgpr_flat_scratch_init 0
		.amdhsa_user_sgpr_private_segment_size 0
		.amdhsa_wavefront_size32 1
		.amdhsa_uses_dynamic_stack 0
		.amdhsa_system_sgpr_private_segment_wavefront_offset 0
		.amdhsa_system_sgpr_workgroup_id_x 1
		.amdhsa_system_sgpr_workgroup_id_y 0
		.amdhsa_system_sgpr_workgroup_id_z 0
		.amdhsa_system_sgpr_workgroup_info 0
		.amdhsa_system_vgpr_workitem_id 0
		.amdhsa_next_free_vgpr 68
		.amdhsa_next_free_sgpr 11
		.amdhsa_reserve_vcc 1
		.amdhsa_reserve_flat_scratch 0
		.amdhsa_float_round_mode_32 0
		.amdhsa_float_round_mode_16_64 0
		.amdhsa_float_denorm_mode_32 3
		.amdhsa_float_denorm_mode_16_64 3
		.amdhsa_dx10_clamp 1
		.amdhsa_ieee_mode 1
		.amdhsa_fp16_overflow 0
		.amdhsa_workgroup_processor_mode 1
		.amdhsa_memory_ordered 1
		.amdhsa_forward_progress 1
		.amdhsa_shared_vgpr_count 0
		.amdhsa_exception_fp_ieee_invalid_op 0
		.amdhsa_exception_fp_denorm_src 0
		.amdhsa_exception_fp_ieee_div_zero 0
		.amdhsa_exception_fp_ieee_overflow 0
		.amdhsa_exception_fp_ieee_underflow 0
		.amdhsa_exception_fp_ieee_inexact 0
		.amdhsa_exception_int_div_zero 0
	.end_amdhsa_kernel
	.section	.text._ZN9rocsparseL19gebsrmvn_1xn_kernelILj128ELj13ELj8EdEEvi20rocsparse_direction_NS_24const_host_device_scalarIT2_EEPKiS6_PKS3_S8_S4_PS3_21rocsparse_index_base_b,"axG",@progbits,_ZN9rocsparseL19gebsrmvn_1xn_kernelILj128ELj13ELj8EdEEvi20rocsparse_direction_NS_24const_host_device_scalarIT2_EEPKiS6_PKS3_S8_S4_PS3_21rocsparse_index_base_b,comdat
.Lfunc_end132:
	.size	_ZN9rocsparseL19gebsrmvn_1xn_kernelILj128ELj13ELj8EdEEvi20rocsparse_direction_NS_24const_host_device_scalarIT2_EEPKiS6_PKS3_S8_S4_PS3_21rocsparse_index_base_b, .Lfunc_end132-_ZN9rocsparseL19gebsrmvn_1xn_kernelILj128ELj13ELj8EdEEvi20rocsparse_direction_NS_24const_host_device_scalarIT2_EEPKiS6_PKS3_S8_S4_PS3_21rocsparse_index_base_b
                                        ; -- End function
	.set _ZN9rocsparseL19gebsrmvn_1xn_kernelILj128ELj13ELj8EdEEvi20rocsparse_direction_NS_24const_host_device_scalarIT2_EEPKiS6_PKS3_S8_S4_PS3_21rocsparse_index_base_b.num_vgpr, 68
	.set _ZN9rocsparseL19gebsrmvn_1xn_kernelILj128ELj13ELj8EdEEvi20rocsparse_direction_NS_24const_host_device_scalarIT2_EEPKiS6_PKS3_S8_S4_PS3_21rocsparse_index_base_b.num_agpr, 0
	.set _ZN9rocsparseL19gebsrmvn_1xn_kernelILj128ELj13ELj8EdEEvi20rocsparse_direction_NS_24const_host_device_scalarIT2_EEPKiS6_PKS3_S8_S4_PS3_21rocsparse_index_base_b.numbered_sgpr, 11
	.set _ZN9rocsparseL19gebsrmvn_1xn_kernelILj128ELj13ELj8EdEEvi20rocsparse_direction_NS_24const_host_device_scalarIT2_EEPKiS6_PKS3_S8_S4_PS3_21rocsparse_index_base_b.num_named_barrier, 0
	.set _ZN9rocsparseL19gebsrmvn_1xn_kernelILj128ELj13ELj8EdEEvi20rocsparse_direction_NS_24const_host_device_scalarIT2_EEPKiS6_PKS3_S8_S4_PS3_21rocsparse_index_base_b.private_seg_size, 0
	.set _ZN9rocsparseL19gebsrmvn_1xn_kernelILj128ELj13ELj8EdEEvi20rocsparse_direction_NS_24const_host_device_scalarIT2_EEPKiS6_PKS3_S8_S4_PS3_21rocsparse_index_base_b.uses_vcc, 1
	.set _ZN9rocsparseL19gebsrmvn_1xn_kernelILj128ELj13ELj8EdEEvi20rocsparse_direction_NS_24const_host_device_scalarIT2_EEPKiS6_PKS3_S8_S4_PS3_21rocsparse_index_base_b.uses_flat_scratch, 0
	.set _ZN9rocsparseL19gebsrmvn_1xn_kernelILj128ELj13ELj8EdEEvi20rocsparse_direction_NS_24const_host_device_scalarIT2_EEPKiS6_PKS3_S8_S4_PS3_21rocsparse_index_base_b.has_dyn_sized_stack, 0
	.set _ZN9rocsparseL19gebsrmvn_1xn_kernelILj128ELj13ELj8EdEEvi20rocsparse_direction_NS_24const_host_device_scalarIT2_EEPKiS6_PKS3_S8_S4_PS3_21rocsparse_index_base_b.has_recursion, 0
	.set _ZN9rocsparseL19gebsrmvn_1xn_kernelILj128ELj13ELj8EdEEvi20rocsparse_direction_NS_24const_host_device_scalarIT2_EEPKiS6_PKS3_S8_S4_PS3_21rocsparse_index_base_b.has_indirect_call, 0
	.section	.AMDGPU.csdata,"",@progbits
; Kernel info:
; codeLenInByte = 1768
; TotalNumSgprs: 13
; NumVgprs: 68
; ScratchSize: 0
; MemoryBound: 0
; FloatMode: 240
; IeeeMode: 1
; LDSByteSize: 0 bytes/workgroup (compile time only)
; SGPRBlocks: 0
; VGPRBlocks: 8
; NumSGPRsForWavesPerEU: 13
; NumVGPRsForWavesPerEU: 68
; Occupancy: 12
; WaveLimiterHint : 1
; COMPUTE_PGM_RSRC2:SCRATCH_EN: 0
; COMPUTE_PGM_RSRC2:USER_SGPR: 6
; COMPUTE_PGM_RSRC2:TRAP_HANDLER: 0
; COMPUTE_PGM_RSRC2:TGID_X_EN: 1
; COMPUTE_PGM_RSRC2:TGID_Y_EN: 0
; COMPUTE_PGM_RSRC2:TGID_Z_EN: 0
; COMPUTE_PGM_RSRC2:TIDIG_COMP_CNT: 0
	.section	.text._ZN9rocsparseL19gebsrmvn_1xn_kernelILj128ELj13ELj16EdEEvi20rocsparse_direction_NS_24const_host_device_scalarIT2_EEPKiS6_PKS3_S8_S4_PS3_21rocsparse_index_base_b,"axG",@progbits,_ZN9rocsparseL19gebsrmvn_1xn_kernelILj128ELj13ELj16EdEEvi20rocsparse_direction_NS_24const_host_device_scalarIT2_EEPKiS6_PKS3_S8_S4_PS3_21rocsparse_index_base_b,comdat
	.globl	_ZN9rocsparseL19gebsrmvn_1xn_kernelILj128ELj13ELj16EdEEvi20rocsparse_direction_NS_24const_host_device_scalarIT2_EEPKiS6_PKS3_S8_S4_PS3_21rocsparse_index_base_b ; -- Begin function _ZN9rocsparseL19gebsrmvn_1xn_kernelILj128ELj13ELj16EdEEvi20rocsparse_direction_NS_24const_host_device_scalarIT2_EEPKiS6_PKS3_S8_S4_PS3_21rocsparse_index_base_b
	.p2align	8
	.type	_ZN9rocsparseL19gebsrmvn_1xn_kernelILj128ELj13ELj16EdEEvi20rocsparse_direction_NS_24const_host_device_scalarIT2_EEPKiS6_PKS3_S8_S4_PS3_21rocsparse_index_base_b,@function
_ZN9rocsparseL19gebsrmvn_1xn_kernelILj128ELj13ELj16EdEEvi20rocsparse_direction_NS_24const_host_device_scalarIT2_EEPKiS6_PKS3_S8_S4_PS3_21rocsparse_index_base_b: ; @_ZN9rocsparseL19gebsrmvn_1xn_kernelILj128ELj13ELj16EdEEvi20rocsparse_direction_NS_24const_host_device_scalarIT2_EEPKiS6_PKS3_S8_S4_PS3_21rocsparse_index_base_b
; %bb.0:
	s_clause 0x2
	s_load_dwordx2 s[8:9], s[4:5], 0x40
	s_load_dwordx2 s[2:3], s[4:5], 0x8
	;; [unrolled: 1-line block ×3, first 2 shown]
	s_waitcnt lgkmcnt(0)
	s_bitcmp1_b32 s9, 0
	v_mov_b32_e32 v4, s3
	v_mov_b32_e32 v3, s2
	s_cselect_b32 s7, -1, 0
	s_and_b32 vcc_lo, exec_lo, s7
	s_xor_b32 s7, s7, -1
	s_cbranch_vccnz .LBB133_2
; %bb.1:
	v_mov_b32_e32 v1, s2
	v_mov_b32_e32 v2, s3
	flat_load_dwordx2 v[3:4], v[1:2]
.LBB133_2:
	v_mov_b32_e32 v2, s1
	v_mov_b32_e32 v1, s0
	s_andn2_b32 vcc_lo, exec_lo, s7
	s_cbranch_vccnz .LBB133_4
; %bb.3:
	v_mov_b32_e32 v2, s1
	v_mov_b32_e32 v1, s0
	flat_load_dwordx2 v[1:2], v[1:2]
.LBB133_4:
	s_waitcnt vmcnt(0) lgkmcnt(0)
	v_cmp_neq_f64_e32 vcc_lo, 0, v[3:4]
	v_cmp_neq_f64_e64 s0, 1.0, v[1:2]
	s_or_b32 s0, vcc_lo, s0
	s_and_saveexec_b32 s1, s0
	s_cbranch_execz .LBB133_15
; %bb.5:
	s_load_dword s0, s[4:5], 0x0
	v_lshrrev_b32_e32 v5, 4, v0
	v_lshl_or_b32 v5, s6, 3, v5
	s_waitcnt lgkmcnt(0)
	v_cmp_gt_i32_e32 vcc_lo, s0, v5
	s_and_b32 exec_lo, exec_lo, vcc_lo
	s_cbranch_execz .LBB133_15
; %bb.6:
	s_clause 0x1
	s_load_dwordx2 s[0:1], s[4:5], 0x10
	s_load_dwordx2 s[6:7], s[4:5], 0x38
	v_ashrrev_i32_e32 v6, 31, v5
	v_and_b32_e32 v0, 15, v0
	s_mov_b32 s9, exec_lo
	v_lshlrev_b64 v[7:8], 2, v[5:6]
	v_subrev_nc_u32_e32 v9, s8, v0
	s_waitcnt lgkmcnt(0)
	v_add_co_u32 v7, vcc_lo, s0, v7
	v_add_co_ci_u32_e64 v8, null, s1, v8, vcc_lo
	global_load_dwordx2 v[7:8], v[7:8], off
	s_waitcnt vmcnt(0)
	v_add_nc_u32_e32 v7, v7, v9
	v_mov_b32_e32 v9, 0
	v_subrev_nc_u32_e32 v15, s8, v8
	v_mov_b32_e32 v10, 0
	v_cmpx_lt_i32_e64 v7, v15
	s_cbranch_execz .LBB133_10
; %bb.7:
	s_clause 0x1
	s_load_dwordx4 s[0:3], s[4:5], 0x18
	s_load_dwordx2 s[4:5], s[4:5], 0x28
	v_mad_u64_u32 v[11:12], null, v7, 13, 12
	v_mov_b32_e32 v9, 0
	v_mov_b32_e32 v10, 0
	;; [unrolled: 1-line block ×3, first 2 shown]
	s_mov_b32 s10, 0
.LBB133_8:                              ; =>This Inner Loop Header: Depth=1
	v_ashrrev_i32_e32 v8, 31, v7
	v_mov_b32_e32 v17, v14
	v_lshlrev_b64 v[12:13], 2, v[7:8]
	v_add_nc_u32_e32 v7, 16, v7
	s_waitcnt lgkmcnt(0)
	v_add_co_u32 v12, vcc_lo, s0, v12
	v_add_co_ci_u32_e64 v13, null, s1, v13, vcc_lo
	global_load_dword v8, v[12:13], off
	v_add_nc_u32_e32 v13, -12, v11
	v_lshlrev_b64 v[18:19], 3, v[13:14]
	v_add_nc_u32_e32 v13, -11, v11
	v_lshlrev_b64 v[12:13], 3, v[13:14]
	v_add_co_u32 v18, vcc_lo, s2, v18
	v_add_co_ci_u32_e64 v19, null, s3, v19, vcc_lo
	v_add_co_u32 v20, vcc_lo, s2, v12
	v_add_co_ci_u32_e64 v21, null, s3, v13, vcc_lo
	s_waitcnt vmcnt(0)
	v_subrev_nc_u32_e32 v8, s8, v8
	v_mul_lo_u32 v16, v8, 13
	v_add_nc_u32_e32 v13, 1, v16
	v_lshlrev_b64 v[22:23], 3, v[16:17]
	v_lshlrev_b64 v[24:25], 3, v[13:14]
	v_add_nc_u32_e32 v13, -10, v11
	v_add_co_u32 v22, vcc_lo, s4, v22
	v_add_co_ci_u32_e64 v23, null, s5, v23, vcc_lo
	v_lshlrev_b64 v[26:27], 3, v[13:14]
	v_add_nc_u32_e32 v13, 2, v16
	v_add_co_u32 v24, vcc_lo, s4, v24
	v_add_co_ci_u32_e64 v25, null, s5, v25, vcc_lo
	v_lshlrev_b64 v[28:29], 3, v[13:14]
	v_add_nc_u32_e32 v13, -9, v11
	v_add_co_u32 v26, vcc_lo, s2, v26
	v_add_co_ci_u32_e64 v27, null, s3, v27, vcc_lo
	v_lshlrev_b64 v[30:31], 3, v[13:14]
	v_add_nc_u32_e32 v13, 3, v16
	v_add_co_u32 v28, vcc_lo, s4, v28
	v_add_co_ci_u32_e64 v29, null, s5, v29, vcc_lo
	;; [unrolled: 8-line block ×9, first 2 shown]
	v_lshlrev_b64 v[60:61], 3, v[13:14]
	v_add_co_u32 v58, vcc_lo, s2, v58
	v_add_co_ci_u32_e64 v59, null, s3, v59, vcc_lo
	v_add_nc_u32_e32 v13, -1, v11
	v_add_co_u32 v60, vcc_lo, s4, v60
	v_add_co_ci_u32_e64 v61, null, s5, v61, vcc_lo
	global_load_dwordx2 v[17:18], v[18:19], off
	global_load_dwordx2 v[22:23], v[22:23], off
	;; [unrolled: 1-line block ×22, first 2 shown]
	v_lshlrev_b64 v[62:63], 3, v[13:14]
	v_add_nc_u32_e32 v13, 11, v16
	v_lshlrev_b64 v[12:13], 3, v[13:14]
	v_add_co_u32 v62, vcc_lo, s2, v62
	v_add_co_ci_u32_e64 v63, null, s3, v63, vcc_lo
	v_add_co_u32 v64, vcc_lo, s4, v12
	v_add_co_ci_u32_e64 v65, null, s5, v13, vcc_lo
	global_load_dwordx2 v[62:63], v[62:63], off
	global_load_dwordx2 v[64:65], v[64:65], off
	v_mov_b32_e32 v12, v14
	v_add_nc_u32_e32 v13, 12, v16
	v_lshlrev_b64 v[66:67], 3, v[11:12]
	v_add_nc_u32_e32 v11, 0xd0, v11
	v_add_co_u32 v12, vcc_lo, s2, v66
	s_waitcnt vmcnt(22)
	v_fma_f64 v[8:9], v[17:18], v[22:23], v[9:10]
	v_lshlrev_b64 v[16:17], 3, v[13:14]
	v_add_co_ci_u32_e64 v13, null, s3, v67, vcc_lo
	v_add_co_u32 v16, vcc_lo, s4, v16
	v_add_co_ci_u32_e64 v17, null, s5, v17, vcc_lo
	global_load_dwordx2 v[12:13], v[12:13], off
	global_load_dwordx2 v[16:17], v[16:17], off
	v_cmp_ge_i32_e32 vcc_lo, v7, v15
	s_or_b32 s10, vcc_lo, s10
	s_waitcnt vmcnt(22)
	v_fma_f64 v[8:9], v[19:20], v[24:25], v[8:9]
	s_waitcnt vmcnt(20)
	v_fma_f64 v[8:9], v[26:27], v[28:29], v[8:9]
	;; [unrolled: 2-line block ×12, first 2 shown]
	s_andn2_b32 exec_lo, exec_lo, s10
	s_cbranch_execnz .LBB133_8
; %bb.9:
	s_or_b32 exec_lo, exec_lo, s10
.LBB133_10:
	s_or_b32 exec_lo, exec_lo, s9
	v_mbcnt_lo_u32_b32 v11, -1, 0
	v_xor_b32_e32 v7, 8, v11
	v_cmp_gt_i32_e32 vcc_lo, 32, v7
	v_cndmask_b32_e32 v7, v11, v7, vcc_lo
	v_lshlrev_b32_e32 v8, 2, v7
	ds_bpermute_b32 v7, v8, v9
	ds_bpermute_b32 v8, v8, v10
	s_waitcnt lgkmcnt(0)
	v_add_f64 v[7:8], v[9:10], v[7:8]
	v_xor_b32_e32 v9, 4, v11
	v_cmp_gt_i32_e32 vcc_lo, 32, v9
	v_cndmask_b32_e32 v9, v11, v9, vcc_lo
	v_lshlrev_b32_e32 v10, 2, v9
	ds_bpermute_b32 v9, v10, v7
	ds_bpermute_b32 v10, v10, v8
	s_waitcnt lgkmcnt(0)
	v_add_f64 v[7:8], v[7:8], v[9:10]
	;; [unrolled: 8-line block ×3, first 2 shown]
	v_xor_b32_e32 v9, 1, v11
	v_cmp_gt_i32_e32 vcc_lo, 32, v9
	v_cndmask_b32_e32 v9, v11, v9, vcc_lo
	v_cmp_eq_u32_e32 vcc_lo, 15, v0
	v_lshlrev_b32_e32 v10, 2, v9
	ds_bpermute_b32 v9, v10, v7
	ds_bpermute_b32 v10, v10, v8
	s_and_b32 exec_lo, exec_lo, vcc_lo
	s_cbranch_execz .LBB133_15
; %bb.11:
	s_waitcnt lgkmcnt(0)
	v_add_f64 v[7:8], v[7:8], v[9:10]
	v_lshlrev_b64 v[5:6], 3, v[5:6]
	s_mov_b32 s0, exec_lo
	v_mul_f64 v[3:4], v[3:4], v[7:8]
	v_cmpx_eq_f64_e32 0, v[1:2]
	s_xor_b32 s0, exec_lo, s0
	s_cbranch_execz .LBB133_13
; %bb.12:
	v_add_co_u32 v0, vcc_lo, s6, v5
	v_add_co_ci_u32_e64 v1, null, s7, v6, vcc_lo
                                        ; implicit-def: $vgpr5_vgpr6
	global_store_dwordx2 v[0:1], v[3:4], off
                                        ; implicit-def: $vgpr1_vgpr2
                                        ; implicit-def: $vgpr3_vgpr4
.LBB133_13:
	s_andn2_saveexec_b32 s0, s0
	s_cbranch_execz .LBB133_15
; %bb.14:
	v_add_co_u32 v5, vcc_lo, s6, v5
	v_add_co_ci_u32_e64 v6, null, s7, v6, vcc_lo
	global_load_dwordx2 v[7:8], v[5:6], off
	s_waitcnt vmcnt(0)
	v_fma_f64 v[0:1], v[1:2], v[7:8], v[3:4]
	global_store_dwordx2 v[5:6], v[0:1], off
.LBB133_15:
	s_endpgm
	.section	.rodata,"a",@progbits
	.p2align	6, 0x0
	.amdhsa_kernel _ZN9rocsparseL19gebsrmvn_1xn_kernelILj128ELj13ELj16EdEEvi20rocsparse_direction_NS_24const_host_device_scalarIT2_EEPKiS6_PKS3_S8_S4_PS3_21rocsparse_index_base_b
		.amdhsa_group_segment_fixed_size 0
		.amdhsa_private_segment_fixed_size 0
		.amdhsa_kernarg_size 72
		.amdhsa_user_sgpr_count 6
		.amdhsa_user_sgpr_private_segment_buffer 1
		.amdhsa_user_sgpr_dispatch_ptr 0
		.amdhsa_user_sgpr_queue_ptr 0
		.amdhsa_user_sgpr_kernarg_segment_ptr 1
		.amdhsa_user_sgpr_dispatch_id 0
		.amdhsa_user_sgpr_flat_scratch_init 0
		.amdhsa_user_sgpr_private_segment_size 0
		.amdhsa_wavefront_size32 1
		.amdhsa_uses_dynamic_stack 0
		.amdhsa_system_sgpr_private_segment_wavefront_offset 0
		.amdhsa_system_sgpr_workgroup_id_x 1
		.amdhsa_system_sgpr_workgroup_id_y 0
		.amdhsa_system_sgpr_workgroup_id_z 0
		.amdhsa_system_sgpr_workgroup_info 0
		.amdhsa_system_vgpr_workitem_id 0
		.amdhsa_next_free_vgpr 68
		.amdhsa_next_free_sgpr 11
		.amdhsa_reserve_vcc 1
		.amdhsa_reserve_flat_scratch 0
		.amdhsa_float_round_mode_32 0
		.amdhsa_float_round_mode_16_64 0
		.amdhsa_float_denorm_mode_32 3
		.amdhsa_float_denorm_mode_16_64 3
		.amdhsa_dx10_clamp 1
		.amdhsa_ieee_mode 1
		.amdhsa_fp16_overflow 0
		.amdhsa_workgroup_processor_mode 1
		.amdhsa_memory_ordered 1
		.amdhsa_forward_progress 1
		.amdhsa_shared_vgpr_count 0
		.amdhsa_exception_fp_ieee_invalid_op 0
		.amdhsa_exception_fp_denorm_src 0
		.amdhsa_exception_fp_ieee_div_zero 0
		.amdhsa_exception_fp_ieee_overflow 0
		.amdhsa_exception_fp_ieee_underflow 0
		.amdhsa_exception_fp_ieee_inexact 0
		.amdhsa_exception_int_div_zero 0
	.end_amdhsa_kernel
	.section	.text._ZN9rocsparseL19gebsrmvn_1xn_kernelILj128ELj13ELj16EdEEvi20rocsparse_direction_NS_24const_host_device_scalarIT2_EEPKiS6_PKS3_S8_S4_PS3_21rocsparse_index_base_b,"axG",@progbits,_ZN9rocsparseL19gebsrmvn_1xn_kernelILj128ELj13ELj16EdEEvi20rocsparse_direction_NS_24const_host_device_scalarIT2_EEPKiS6_PKS3_S8_S4_PS3_21rocsparse_index_base_b,comdat
.Lfunc_end133:
	.size	_ZN9rocsparseL19gebsrmvn_1xn_kernelILj128ELj13ELj16EdEEvi20rocsparse_direction_NS_24const_host_device_scalarIT2_EEPKiS6_PKS3_S8_S4_PS3_21rocsparse_index_base_b, .Lfunc_end133-_ZN9rocsparseL19gebsrmvn_1xn_kernelILj128ELj13ELj16EdEEvi20rocsparse_direction_NS_24const_host_device_scalarIT2_EEPKiS6_PKS3_S8_S4_PS3_21rocsparse_index_base_b
                                        ; -- End function
	.set _ZN9rocsparseL19gebsrmvn_1xn_kernelILj128ELj13ELj16EdEEvi20rocsparse_direction_NS_24const_host_device_scalarIT2_EEPKiS6_PKS3_S8_S4_PS3_21rocsparse_index_base_b.num_vgpr, 68
	.set _ZN9rocsparseL19gebsrmvn_1xn_kernelILj128ELj13ELj16EdEEvi20rocsparse_direction_NS_24const_host_device_scalarIT2_EEPKiS6_PKS3_S8_S4_PS3_21rocsparse_index_base_b.num_agpr, 0
	.set _ZN9rocsparseL19gebsrmvn_1xn_kernelILj128ELj13ELj16EdEEvi20rocsparse_direction_NS_24const_host_device_scalarIT2_EEPKiS6_PKS3_S8_S4_PS3_21rocsparse_index_base_b.numbered_sgpr, 11
	.set _ZN9rocsparseL19gebsrmvn_1xn_kernelILj128ELj13ELj16EdEEvi20rocsparse_direction_NS_24const_host_device_scalarIT2_EEPKiS6_PKS3_S8_S4_PS3_21rocsparse_index_base_b.num_named_barrier, 0
	.set _ZN9rocsparseL19gebsrmvn_1xn_kernelILj128ELj13ELj16EdEEvi20rocsparse_direction_NS_24const_host_device_scalarIT2_EEPKiS6_PKS3_S8_S4_PS3_21rocsparse_index_base_b.private_seg_size, 0
	.set _ZN9rocsparseL19gebsrmvn_1xn_kernelILj128ELj13ELj16EdEEvi20rocsparse_direction_NS_24const_host_device_scalarIT2_EEPKiS6_PKS3_S8_S4_PS3_21rocsparse_index_base_b.uses_vcc, 1
	.set _ZN9rocsparseL19gebsrmvn_1xn_kernelILj128ELj13ELj16EdEEvi20rocsparse_direction_NS_24const_host_device_scalarIT2_EEPKiS6_PKS3_S8_S4_PS3_21rocsparse_index_base_b.uses_flat_scratch, 0
	.set _ZN9rocsparseL19gebsrmvn_1xn_kernelILj128ELj13ELj16EdEEvi20rocsparse_direction_NS_24const_host_device_scalarIT2_EEPKiS6_PKS3_S8_S4_PS3_21rocsparse_index_base_b.has_dyn_sized_stack, 0
	.set _ZN9rocsparseL19gebsrmvn_1xn_kernelILj128ELj13ELj16EdEEvi20rocsparse_direction_NS_24const_host_device_scalarIT2_EEPKiS6_PKS3_S8_S4_PS3_21rocsparse_index_base_b.has_recursion, 0
	.set _ZN9rocsparseL19gebsrmvn_1xn_kernelILj128ELj13ELj16EdEEvi20rocsparse_direction_NS_24const_host_device_scalarIT2_EEPKiS6_PKS3_S8_S4_PS3_21rocsparse_index_base_b.has_indirect_call, 0
	.section	.AMDGPU.csdata,"",@progbits
; Kernel info:
; codeLenInByte = 1812
; TotalNumSgprs: 13
; NumVgprs: 68
; ScratchSize: 0
; MemoryBound: 0
; FloatMode: 240
; IeeeMode: 1
; LDSByteSize: 0 bytes/workgroup (compile time only)
; SGPRBlocks: 0
; VGPRBlocks: 8
; NumSGPRsForWavesPerEU: 13
; NumVGPRsForWavesPerEU: 68
; Occupancy: 12
; WaveLimiterHint : 1
; COMPUTE_PGM_RSRC2:SCRATCH_EN: 0
; COMPUTE_PGM_RSRC2:USER_SGPR: 6
; COMPUTE_PGM_RSRC2:TRAP_HANDLER: 0
; COMPUTE_PGM_RSRC2:TGID_X_EN: 1
; COMPUTE_PGM_RSRC2:TGID_Y_EN: 0
; COMPUTE_PGM_RSRC2:TGID_Z_EN: 0
; COMPUTE_PGM_RSRC2:TIDIG_COMP_CNT: 0
	.section	.text._ZN9rocsparseL19gebsrmvn_1xn_kernelILj128ELj13ELj32EdEEvi20rocsparse_direction_NS_24const_host_device_scalarIT2_EEPKiS6_PKS3_S8_S4_PS3_21rocsparse_index_base_b,"axG",@progbits,_ZN9rocsparseL19gebsrmvn_1xn_kernelILj128ELj13ELj32EdEEvi20rocsparse_direction_NS_24const_host_device_scalarIT2_EEPKiS6_PKS3_S8_S4_PS3_21rocsparse_index_base_b,comdat
	.globl	_ZN9rocsparseL19gebsrmvn_1xn_kernelILj128ELj13ELj32EdEEvi20rocsparse_direction_NS_24const_host_device_scalarIT2_EEPKiS6_PKS3_S8_S4_PS3_21rocsparse_index_base_b ; -- Begin function _ZN9rocsparseL19gebsrmvn_1xn_kernelILj128ELj13ELj32EdEEvi20rocsparse_direction_NS_24const_host_device_scalarIT2_EEPKiS6_PKS3_S8_S4_PS3_21rocsparse_index_base_b
	.p2align	8
	.type	_ZN9rocsparseL19gebsrmvn_1xn_kernelILj128ELj13ELj32EdEEvi20rocsparse_direction_NS_24const_host_device_scalarIT2_EEPKiS6_PKS3_S8_S4_PS3_21rocsparse_index_base_b,@function
_ZN9rocsparseL19gebsrmvn_1xn_kernelILj128ELj13ELj32EdEEvi20rocsparse_direction_NS_24const_host_device_scalarIT2_EEPKiS6_PKS3_S8_S4_PS3_21rocsparse_index_base_b: ; @_ZN9rocsparseL19gebsrmvn_1xn_kernelILj128ELj13ELj32EdEEvi20rocsparse_direction_NS_24const_host_device_scalarIT2_EEPKiS6_PKS3_S8_S4_PS3_21rocsparse_index_base_b
; %bb.0:
	s_clause 0x2
	s_load_dwordx2 s[8:9], s[4:5], 0x40
	s_load_dwordx2 s[2:3], s[4:5], 0x8
	s_load_dwordx2 s[0:1], s[4:5], 0x30
	s_waitcnt lgkmcnt(0)
	s_bitcmp1_b32 s9, 0
	v_mov_b32_e32 v4, s3
	v_mov_b32_e32 v3, s2
	s_cselect_b32 s7, -1, 0
	s_and_b32 vcc_lo, exec_lo, s7
	s_xor_b32 s7, s7, -1
	s_cbranch_vccnz .LBB134_2
; %bb.1:
	v_mov_b32_e32 v1, s2
	v_mov_b32_e32 v2, s3
	flat_load_dwordx2 v[3:4], v[1:2]
.LBB134_2:
	v_mov_b32_e32 v2, s1
	v_mov_b32_e32 v1, s0
	s_andn2_b32 vcc_lo, exec_lo, s7
	s_cbranch_vccnz .LBB134_4
; %bb.3:
	v_mov_b32_e32 v2, s1
	v_mov_b32_e32 v1, s0
	flat_load_dwordx2 v[1:2], v[1:2]
.LBB134_4:
	s_waitcnt vmcnt(0) lgkmcnt(0)
	v_cmp_neq_f64_e32 vcc_lo, 0, v[3:4]
	v_cmp_neq_f64_e64 s0, 1.0, v[1:2]
	s_or_b32 s0, vcc_lo, s0
	s_and_saveexec_b32 s1, s0
	s_cbranch_execz .LBB134_15
; %bb.5:
	s_load_dword s0, s[4:5], 0x0
	v_lshrrev_b32_e32 v5, 5, v0
	v_lshl_or_b32 v5, s6, 2, v5
	s_waitcnt lgkmcnt(0)
	v_cmp_gt_i32_e32 vcc_lo, s0, v5
	s_and_b32 exec_lo, exec_lo, vcc_lo
	s_cbranch_execz .LBB134_15
; %bb.6:
	s_clause 0x1
	s_load_dwordx2 s[0:1], s[4:5], 0x10
	s_load_dwordx2 s[6:7], s[4:5], 0x38
	v_ashrrev_i32_e32 v6, 31, v5
	v_and_b32_e32 v0, 31, v0
	s_mov_b32 s9, exec_lo
	v_lshlrev_b64 v[7:8], 2, v[5:6]
	v_subrev_nc_u32_e32 v9, s8, v0
	s_waitcnt lgkmcnt(0)
	v_add_co_u32 v7, vcc_lo, s0, v7
	v_add_co_ci_u32_e64 v8, null, s1, v8, vcc_lo
	global_load_dwordx2 v[7:8], v[7:8], off
	s_waitcnt vmcnt(0)
	v_add_nc_u32_e32 v7, v7, v9
	v_mov_b32_e32 v9, 0
	v_subrev_nc_u32_e32 v15, s8, v8
	v_mov_b32_e32 v10, 0
	v_cmpx_lt_i32_e64 v7, v15
	s_cbranch_execz .LBB134_10
; %bb.7:
	s_clause 0x1
	s_load_dwordx4 s[0:3], s[4:5], 0x18
	s_load_dwordx2 s[4:5], s[4:5], 0x28
	v_mad_u64_u32 v[11:12], null, v7, 13, 12
	v_mov_b32_e32 v9, 0
	v_mov_b32_e32 v10, 0
	v_mov_b32_e32 v14, 0
	s_mov_b32 s10, 0
.LBB134_8:                              ; =>This Inner Loop Header: Depth=1
	v_ashrrev_i32_e32 v8, 31, v7
	v_mov_b32_e32 v17, v14
	v_lshlrev_b64 v[12:13], 2, v[7:8]
	v_add_nc_u32_e32 v7, 32, v7
	s_waitcnt lgkmcnt(0)
	v_add_co_u32 v12, vcc_lo, s0, v12
	v_add_co_ci_u32_e64 v13, null, s1, v13, vcc_lo
	global_load_dword v8, v[12:13], off
	v_add_nc_u32_e32 v13, -12, v11
	v_lshlrev_b64 v[18:19], 3, v[13:14]
	v_add_nc_u32_e32 v13, -11, v11
	v_lshlrev_b64 v[12:13], 3, v[13:14]
	v_add_co_u32 v18, vcc_lo, s2, v18
	v_add_co_ci_u32_e64 v19, null, s3, v19, vcc_lo
	v_add_co_u32 v20, vcc_lo, s2, v12
	v_add_co_ci_u32_e64 v21, null, s3, v13, vcc_lo
	s_waitcnt vmcnt(0)
	v_subrev_nc_u32_e32 v8, s8, v8
	v_mul_lo_u32 v16, v8, 13
	v_add_nc_u32_e32 v13, 1, v16
	v_lshlrev_b64 v[22:23], 3, v[16:17]
	v_lshlrev_b64 v[24:25], 3, v[13:14]
	v_add_nc_u32_e32 v13, -10, v11
	v_add_co_u32 v22, vcc_lo, s4, v22
	v_add_co_ci_u32_e64 v23, null, s5, v23, vcc_lo
	v_lshlrev_b64 v[26:27], 3, v[13:14]
	v_add_nc_u32_e32 v13, 2, v16
	v_add_co_u32 v24, vcc_lo, s4, v24
	v_add_co_ci_u32_e64 v25, null, s5, v25, vcc_lo
	v_lshlrev_b64 v[28:29], 3, v[13:14]
	v_add_nc_u32_e32 v13, -9, v11
	v_add_co_u32 v26, vcc_lo, s2, v26
	v_add_co_ci_u32_e64 v27, null, s3, v27, vcc_lo
	v_lshlrev_b64 v[30:31], 3, v[13:14]
	v_add_nc_u32_e32 v13, 3, v16
	v_add_co_u32 v28, vcc_lo, s4, v28
	v_add_co_ci_u32_e64 v29, null, s5, v29, vcc_lo
	;; [unrolled: 8-line block ×9, first 2 shown]
	v_lshlrev_b64 v[60:61], 3, v[13:14]
	v_add_co_u32 v58, vcc_lo, s2, v58
	v_add_co_ci_u32_e64 v59, null, s3, v59, vcc_lo
	v_add_nc_u32_e32 v13, -1, v11
	v_add_co_u32 v60, vcc_lo, s4, v60
	v_add_co_ci_u32_e64 v61, null, s5, v61, vcc_lo
	global_load_dwordx2 v[17:18], v[18:19], off
	global_load_dwordx2 v[22:23], v[22:23], off
	;; [unrolled: 1-line block ×22, first 2 shown]
	v_lshlrev_b64 v[62:63], 3, v[13:14]
	v_add_nc_u32_e32 v13, 11, v16
	v_lshlrev_b64 v[12:13], 3, v[13:14]
	v_add_co_u32 v62, vcc_lo, s2, v62
	v_add_co_ci_u32_e64 v63, null, s3, v63, vcc_lo
	v_add_co_u32 v64, vcc_lo, s4, v12
	v_add_co_ci_u32_e64 v65, null, s5, v13, vcc_lo
	global_load_dwordx2 v[62:63], v[62:63], off
	global_load_dwordx2 v[64:65], v[64:65], off
	v_mov_b32_e32 v12, v14
	v_add_nc_u32_e32 v13, 12, v16
	v_lshlrev_b64 v[66:67], 3, v[11:12]
	v_add_nc_u32_e32 v11, 0x1a0, v11
	v_add_co_u32 v12, vcc_lo, s2, v66
	s_waitcnt vmcnt(22)
	v_fma_f64 v[8:9], v[17:18], v[22:23], v[9:10]
	v_lshlrev_b64 v[16:17], 3, v[13:14]
	v_add_co_ci_u32_e64 v13, null, s3, v67, vcc_lo
	v_add_co_u32 v16, vcc_lo, s4, v16
	v_add_co_ci_u32_e64 v17, null, s5, v17, vcc_lo
	global_load_dwordx2 v[12:13], v[12:13], off
	global_load_dwordx2 v[16:17], v[16:17], off
	v_cmp_ge_i32_e32 vcc_lo, v7, v15
	s_or_b32 s10, vcc_lo, s10
	s_waitcnt vmcnt(22)
	v_fma_f64 v[8:9], v[19:20], v[24:25], v[8:9]
	s_waitcnt vmcnt(20)
	v_fma_f64 v[8:9], v[26:27], v[28:29], v[8:9]
	;; [unrolled: 2-line block ×12, first 2 shown]
	s_andn2_b32 exec_lo, exec_lo, s10
	s_cbranch_execnz .LBB134_8
; %bb.9:
	s_or_b32 exec_lo, exec_lo, s10
.LBB134_10:
	s_or_b32 exec_lo, exec_lo, s9
	v_mbcnt_lo_u32_b32 v11, -1, 0
	v_xor_b32_e32 v7, 16, v11
	v_cmp_gt_i32_e32 vcc_lo, 32, v7
	v_cndmask_b32_e32 v7, v11, v7, vcc_lo
	v_lshlrev_b32_e32 v8, 2, v7
	ds_bpermute_b32 v7, v8, v9
	ds_bpermute_b32 v8, v8, v10
	s_waitcnt lgkmcnt(0)
	v_add_f64 v[7:8], v[9:10], v[7:8]
	v_xor_b32_e32 v9, 8, v11
	v_cmp_gt_i32_e32 vcc_lo, 32, v9
	v_cndmask_b32_e32 v9, v11, v9, vcc_lo
	v_lshlrev_b32_e32 v10, 2, v9
	ds_bpermute_b32 v9, v10, v7
	ds_bpermute_b32 v10, v10, v8
	s_waitcnt lgkmcnt(0)
	v_add_f64 v[7:8], v[7:8], v[9:10]
	v_xor_b32_e32 v9, 4, v11
	v_cmp_gt_i32_e32 vcc_lo, 32, v9
	v_cndmask_b32_e32 v9, v11, v9, vcc_lo
	v_lshlrev_b32_e32 v10, 2, v9
	ds_bpermute_b32 v9, v10, v7
	ds_bpermute_b32 v10, v10, v8
	s_waitcnt lgkmcnt(0)
	v_add_f64 v[7:8], v[7:8], v[9:10]
	v_xor_b32_e32 v9, 2, v11
	v_cmp_gt_i32_e32 vcc_lo, 32, v9
	v_cndmask_b32_e32 v9, v11, v9, vcc_lo
	v_lshlrev_b32_e32 v10, 2, v9
	ds_bpermute_b32 v9, v10, v7
	ds_bpermute_b32 v10, v10, v8
	s_waitcnt lgkmcnt(0)
	v_add_f64 v[7:8], v[7:8], v[9:10]
	v_xor_b32_e32 v9, 1, v11
	v_cmp_gt_i32_e32 vcc_lo, 32, v9
	v_cndmask_b32_e32 v9, v11, v9, vcc_lo
	v_cmp_eq_u32_e32 vcc_lo, 31, v0
	v_lshlrev_b32_e32 v10, 2, v9
	ds_bpermute_b32 v9, v10, v7
	ds_bpermute_b32 v10, v10, v8
	s_and_b32 exec_lo, exec_lo, vcc_lo
	s_cbranch_execz .LBB134_15
; %bb.11:
	s_waitcnt lgkmcnt(0)
	v_add_f64 v[7:8], v[7:8], v[9:10]
	v_lshlrev_b64 v[5:6], 3, v[5:6]
	s_mov_b32 s0, exec_lo
	v_mul_f64 v[3:4], v[3:4], v[7:8]
	v_cmpx_eq_f64_e32 0, v[1:2]
	s_xor_b32 s0, exec_lo, s0
	s_cbranch_execz .LBB134_13
; %bb.12:
	v_add_co_u32 v0, vcc_lo, s6, v5
	v_add_co_ci_u32_e64 v1, null, s7, v6, vcc_lo
                                        ; implicit-def: $vgpr5_vgpr6
	global_store_dwordx2 v[0:1], v[3:4], off
                                        ; implicit-def: $vgpr1_vgpr2
                                        ; implicit-def: $vgpr3_vgpr4
.LBB134_13:
	s_andn2_saveexec_b32 s0, s0
	s_cbranch_execz .LBB134_15
; %bb.14:
	v_add_co_u32 v5, vcc_lo, s6, v5
	v_add_co_ci_u32_e64 v6, null, s7, v6, vcc_lo
	global_load_dwordx2 v[7:8], v[5:6], off
	s_waitcnt vmcnt(0)
	v_fma_f64 v[0:1], v[1:2], v[7:8], v[3:4]
	global_store_dwordx2 v[5:6], v[0:1], off
.LBB134_15:
	s_endpgm
	.section	.rodata,"a",@progbits
	.p2align	6, 0x0
	.amdhsa_kernel _ZN9rocsparseL19gebsrmvn_1xn_kernelILj128ELj13ELj32EdEEvi20rocsparse_direction_NS_24const_host_device_scalarIT2_EEPKiS6_PKS3_S8_S4_PS3_21rocsparse_index_base_b
		.amdhsa_group_segment_fixed_size 0
		.amdhsa_private_segment_fixed_size 0
		.amdhsa_kernarg_size 72
		.amdhsa_user_sgpr_count 6
		.amdhsa_user_sgpr_private_segment_buffer 1
		.amdhsa_user_sgpr_dispatch_ptr 0
		.amdhsa_user_sgpr_queue_ptr 0
		.amdhsa_user_sgpr_kernarg_segment_ptr 1
		.amdhsa_user_sgpr_dispatch_id 0
		.amdhsa_user_sgpr_flat_scratch_init 0
		.amdhsa_user_sgpr_private_segment_size 0
		.amdhsa_wavefront_size32 1
		.amdhsa_uses_dynamic_stack 0
		.amdhsa_system_sgpr_private_segment_wavefront_offset 0
		.amdhsa_system_sgpr_workgroup_id_x 1
		.amdhsa_system_sgpr_workgroup_id_y 0
		.amdhsa_system_sgpr_workgroup_id_z 0
		.amdhsa_system_sgpr_workgroup_info 0
		.amdhsa_system_vgpr_workitem_id 0
		.amdhsa_next_free_vgpr 68
		.amdhsa_next_free_sgpr 11
		.amdhsa_reserve_vcc 1
		.amdhsa_reserve_flat_scratch 0
		.amdhsa_float_round_mode_32 0
		.amdhsa_float_round_mode_16_64 0
		.amdhsa_float_denorm_mode_32 3
		.amdhsa_float_denorm_mode_16_64 3
		.amdhsa_dx10_clamp 1
		.amdhsa_ieee_mode 1
		.amdhsa_fp16_overflow 0
		.amdhsa_workgroup_processor_mode 1
		.amdhsa_memory_ordered 1
		.amdhsa_forward_progress 1
		.amdhsa_shared_vgpr_count 0
		.amdhsa_exception_fp_ieee_invalid_op 0
		.amdhsa_exception_fp_denorm_src 0
		.amdhsa_exception_fp_ieee_div_zero 0
		.amdhsa_exception_fp_ieee_overflow 0
		.amdhsa_exception_fp_ieee_underflow 0
		.amdhsa_exception_fp_ieee_inexact 0
		.amdhsa_exception_int_div_zero 0
	.end_amdhsa_kernel
	.section	.text._ZN9rocsparseL19gebsrmvn_1xn_kernelILj128ELj13ELj32EdEEvi20rocsparse_direction_NS_24const_host_device_scalarIT2_EEPKiS6_PKS3_S8_S4_PS3_21rocsparse_index_base_b,"axG",@progbits,_ZN9rocsparseL19gebsrmvn_1xn_kernelILj128ELj13ELj32EdEEvi20rocsparse_direction_NS_24const_host_device_scalarIT2_EEPKiS6_PKS3_S8_S4_PS3_21rocsparse_index_base_b,comdat
.Lfunc_end134:
	.size	_ZN9rocsparseL19gebsrmvn_1xn_kernelILj128ELj13ELj32EdEEvi20rocsparse_direction_NS_24const_host_device_scalarIT2_EEPKiS6_PKS3_S8_S4_PS3_21rocsparse_index_base_b, .Lfunc_end134-_ZN9rocsparseL19gebsrmvn_1xn_kernelILj128ELj13ELj32EdEEvi20rocsparse_direction_NS_24const_host_device_scalarIT2_EEPKiS6_PKS3_S8_S4_PS3_21rocsparse_index_base_b
                                        ; -- End function
	.set _ZN9rocsparseL19gebsrmvn_1xn_kernelILj128ELj13ELj32EdEEvi20rocsparse_direction_NS_24const_host_device_scalarIT2_EEPKiS6_PKS3_S8_S4_PS3_21rocsparse_index_base_b.num_vgpr, 68
	.set _ZN9rocsparseL19gebsrmvn_1xn_kernelILj128ELj13ELj32EdEEvi20rocsparse_direction_NS_24const_host_device_scalarIT2_EEPKiS6_PKS3_S8_S4_PS3_21rocsparse_index_base_b.num_agpr, 0
	.set _ZN9rocsparseL19gebsrmvn_1xn_kernelILj128ELj13ELj32EdEEvi20rocsparse_direction_NS_24const_host_device_scalarIT2_EEPKiS6_PKS3_S8_S4_PS3_21rocsparse_index_base_b.numbered_sgpr, 11
	.set _ZN9rocsparseL19gebsrmvn_1xn_kernelILj128ELj13ELj32EdEEvi20rocsparse_direction_NS_24const_host_device_scalarIT2_EEPKiS6_PKS3_S8_S4_PS3_21rocsparse_index_base_b.num_named_barrier, 0
	.set _ZN9rocsparseL19gebsrmvn_1xn_kernelILj128ELj13ELj32EdEEvi20rocsparse_direction_NS_24const_host_device_scalarIT2_EEPKiS6_PKS3_S8_S4_PS3_21rocsparse_index_base_b.private_seg_size, 0
	.set _ZN9rocsparseL19gebsrmvn_1xn_kernelILj128ELj13ELj32EdEEvi20rocsparse_direction_NS_24const_host_device_scalarIT2_EEPKiS6_PKS3_S8_S4_PS3_21rocsparse_index_base_b.uses_vcc, 1
	.set _ZN9rocsparseL19gebsrmvn_1xn_kernelILj128ELj13ELj32EdEEvi20rocsparse_direction_NS_24const_host_device_scalarIT2_EEPKiS6_PKS3_S8_S4_PS3_21rocsparse_index_base_b.uses_flat_scratch, 0
	.set _ZN9rocsparseL19gebsrmvn_1xn_kernelILj128ELj13ELj32EdEEvi20rocsparse_direction_NS_24const_host_device_scalarIT2_EEPKiS6_PKS3_S8_S4_PS3_21rocsparse_index_base_b.has_dyn_sized_stack, 0
	.set _ZN9rocsparseL19gebsrmvn_1xn_kernelILj128ELj13ELj32EdEEvi20rocsparse_direction_NS_24const_host_device_scalarIT2_EEPKiS6_PKS3_S8_S4_PS3_21rocsparse_index_base_b.has_recursion, 0
	.set _ZN9rocsparseL19gebsrmvn_1xn_kernelILj128ELj13ELj32EdEEvi20rocsparse_direction_NS_24const_host_device_scalarIT2_EEPKiS6_PKS3_S8_S4_PS3_21rocsparse_index_base_b.has_indirect_call, 0
	.section	.AMDGPU.csdata,"",@progbits
; Kernel info:
; codeLenInByte = 1856
; TotalNumSgprs: 13
; NumVgprs: 68
; ScratchSize: 0
; MemoryBound: 0
; FloatMode: 240
; IeeeMode: 1
; LDSByteSize: 0 bytes/workgroup (compile time only)
; SGPRBlocks: 0
; VGPRBlocks: 8
; NumSGPRsForWavesPerEU: 13
; NumVGPRsForWavesPerEU: 68
; Occupancy: 12
; WaveLimiterHint : 1
; COMPUTE_PGM_RSRC2:SCRATCH_EN: 0
; COMPUTE_PGM_RSRC2:USER_SGPR: 6
; COMPUTE_PGM_RSRC2:TRAP_HANDLER: 0
; COMPUTE_PGM_RSRC2:TGID_X_EN: 1
; COMPUTE_PGM_RSRC2:TGID_Y_EN: 0
; COMPUTE_PGM_RSRC2:TGID_Z_EN: 0
; COMPUTE_PGM_RSRC2:TIDIG_COMP_CNT: 0
	.section	.text._ZN9rocsparseL19gebsrmvn_1xn_kernelILj128ELj13ELj64EdEEvi20rocsparse_direction_NS_24const_host_device_scalarIT2_EEPKiS6_PKS3_S8_S4_PS3_21rocsparse_index_base_b,"axG",@progbits,_ZN9rocsparseL19gebsrmvn_1xn_kernelILj128ELj13ELj64EdEEvi20rocsparse_direction_NS_24const_host_device_scalarIT2_EEPKiS6_PKS3_S8_S4_PS3_21rocsparse_index_base_b,comdat
	.globl	_ZN9rocsparseL19gebsrmvn_1xn_kernelILj128ELj13ELj64EdEEvi20rocsparse_direction_NS_24const_host_device_scalarIT2_EEPKiS6_PKS3_S8_S4_PS3_21rocsparse_index_base_b ; -- Begin function _ZN9rocsparseL19gebsrmvn_1xn_kernelILj128ELj13ELj64EdEEvi20rocsparse_direction_NS_24const_host_device_scalarIT2_EEPKiS6_PKS3_S8_S4_PS3_21rocsparse_index_base_b
	.p2align	8
	.type	_ZN9rocsparseL19gebsrmvn_1xn_kernelILj128ELj13ELj64EdEEvi20rocsparse_direction_NS_24const_host_device_scalarIT2_EEPKiS6_PKS3_S8_S4_PS3_21rocsparse_index_base_b,@function
_ZN9rocsparseL19gebsrmvn_1xn_kernelILj128ELj13ELj64EdEEvi20rocsparse_direction_NS_24const_host_device_scalarIT2_EEPKiS6_PKS3_S8_S4_PS3_21rocsparse_index_base_b: ; @_ZN9rocsparseL19gebsrmvn_1xn_kernelILj128ELj13ELj64EdEEvi20rocsparse_direction_NS_24const_host_device_scalarIT2_EEPKiS6_PKS3_S8_S4_PS3_21rocsparse_index_base_b
; %bb.0:
	s_clause 0x2
	s_load_dwordx2 s[8:9], s[4:5], 0x40
	s_load_dwordx2 s[2:3], s[4:5], 0x8
	;; [unrolled: 1-line block ×3, first 2 shown]
	s_waitcnt lgkmcnt(0)
	s_bitcmp1_b32 s9, 0
	v_mov_b32_e32 v4, s3
	v_mov_b32_e32 v3, s2
	s_cselect_b32 s7, -1, 0
	s_and_b32 vcc_lo, exec_lo, s7
	s_xor_b32 s7, s7, -1
	s_cbranch_vccnz .LBB135_2
; %bb.1:
	v_mov_b32_e32 v1, s2
	v_mov_b32_e32 v2, s3
	flat_load_dwordx2 v[3:4], v[1:2]
.LBB135_2:
	v_mov_b32_e32 v2, s1
	v_mov_b32_e32 v1, s0
	s_andn2_b32 vcc_lo, exec_lo, s7
	s_cbranch_vccnz .LBB135_4
; %bb.3:
	v_mov_b32_e32 v2, s1
	v_mov_b32_e32 v1, s0
	flat_load_dwordx2 v[1:2], v[1:2]
.LBB135_4:
	s_waitcnt vmcnt(0) lgkmcnt(0)
	v_cmp_neq_f64_e32 vcc_lo, 0, v[3:4]
	v_cmp_neq_f64_e64 s0, 1.0, v[1:2]
	s_or_b32 s0, vcc_lo, s0
	s_and_saveexec_b32 s1, s0
	s_cbranch_execz .LBB135_15
; %bb.5:
	s_load_dword s0, s[4:5], 0x0
	v_lshrrev_b32_e32 v5, 6, v0
	v_lshl_or_b32 v5, s6, 1, v5
	s_waitcnt lgkmcnt(0)
	v_cmp_gt_i32_e32 vcc_lo, s0, v5
	s_and_b32 exec_lo, exec_lo, vcc_lo
	s_cbranch_execz .LBB135_15
; %bb.6:
	s_clause 0x1
	s_load_dwordx2 s[0:1], s[4:5], 0x10
	s_load_dwordx2 s[6:7], s[4:5], 0x38
	v_ashrrev_i32_e32 v6, 31, v5
	v_and_b32_e32 v0, 63, v0
	s_mov_b32 s9, exec_lo
	v_lshlrev_b64 v[7:8], 2, v[5:6]
	v_subrev_nc_u32_e32 v9, s8, v0
	s_waitcnt lgkmcnt(0)
	v_add_co_u32 v7, vcc_lo, s0, v7
	v_add_co_ci_u32_e64 v8, null, s1, v8, vcc_lo
	global_load_dwordx2 v[7:8], v[7:8], off
	s_waitcnt vmcnt(0)
	v_add_nc_u32_e32 v7, v7, v9
	v_mov_b32_e32 v9, 0
	v_subrev_nc_u32_e32 v15, s8, v8
	v_mov_b32_e32 v10, 0
	v_cmpx_lt_i32_e64 v7, v15
	s_cbranch_execz .LBB135_10
; %bb.7:
	s_clause 0x1
	s_load_dwordx4 s[0:3], s[4:5], 0x18
	s_load_dwordx2 s[4:5], s[4:5], 0x28
	v_mad_u64_u32 v[11:12], null, v7, 13, 12
	v_mov_b32_e32 v9, 0
	v_mov_b32_e32 v10, 0
	;; [unrolled: 1-line block ×3, first 2 shown]
	s_mov_b32 s10, 0
.LBB135_8:                              ; =>This Inner Loop Header: Depth=1
	v_ashrrev_i32_e32 v8, 31, v7
	v_mov_b32_e32 v17, v14
	v_lshlrev_b64 v[12:13], 2, v[7:8]
	v_add_nc_u32_e32 v7, 64, v7
	s_waitcnt lgkmcnt(0)
	v_add_co_u32 v12, vcc_lo, s0, v12
	v_add_co_ci_u32_e64 v13, null, s1, v13, vcc_lo
	global_load_dword v8, v[12:13], off
	v_add_nc_u32_e32 v13, -12, v11
	v_lshlrev_b64 v[18:19], 3, v[13:14]
	v_add_nc_u32_e32 v13, -11, v11
	v_lshlrev_b64 v[12:13], 3, v[13:14]
	v_add_co_u32 v18, vcc_lo, s2, v18
	v_add_co_ci_u32_e64 v19, null, s3, v19, vcc_lo
	v_add_co_u32 v20, vcc_lo, s2, v12
	v_add_co_ci_u32_e64 v21, null, s3, v13, vcc_lo
	s_waitcnt vmcnt(0)
	v_subrev_nc_u32_e32 v8, s8, v8
	v_mul_lo_u32 v16, v8, 13
	v_add_nc_u32_e32 v13, 1, v16
	v_lshlrev_b64 v[22:23], 3, v[16:17]
	v_lshlrev_b64 v[24:25], 3, v[13:14]
	v_add_nc_u32_e32 v13, -10, v11
	v_add_co_u32 v22, vcc_lo, s4, v22
	v_add_co_ci_u32_e64 v23, null, s5, v23, vcc_lo
	v_lshlrev_b64 v[26:27], 3, v[13:14]
	v_add_nc_u32_e32 v13, 2, v16
	v_add_co_u32 v24, vcc_lo, s4, v24
	v_add_co_ci_u32_e64 v25, null, s5, v25, vcc_lo
	v_lshlrev_b64 v[28:29], 3, v[13:14]
	v_add_nc_u32_e32 v13, -9, v11
	v_add_co_u32 v26, vcc_lo, s2, v26
	v_add_co_ci_u32_e64 v27, null, s3, v27, vcc_lo
	v_lshlrev_b64 v[30:31], 3, v[13:14]
	v_add_nc_u32_e32 v13, 3, v16
	v_add_co_u32 v28, vcc_lo, s4, v28
	v_add_co_ci_u32_e64 v29, null, s5, v29, vcc_lo
	;; [unrolled: 8-line block ×9, first 2 shown]
	v_lshlrev_b64 v[60:61], 3, v[13:14]
	v_add_co_u32 v58, vcc_lo, s2, v58
	v_add_co_ci_u32_e64 v59, null, s3, v59, vcc_lo
	v_add_nc_u32_e32 v13, -1, v11
	v_add_co_u32 v60, vcc_lo, s4, v60
	v_add_co_ci_u32_e64 v61, null, s5, v61, vcc_lo
	global_load_dwordx2 v[17:18], v[18:19], off
	global_load_dwordx2 v[22:23], v[22:23], off
	;; [unrolled: 1-line block ×22, first 2 shown]
	v_lshlrev_b64 v[62:63], 3, v[13:14]
	v_add_nc_u32_e32 v13, 11, v16
	v_lshlrev_b64 v[12:13], 3, v[13:14]
	v_add_co_u32 v62, vcc_lo, s2, v62
	v_add_co_ci_u32_e64 v63, null, s3, v63, vcc_lo
	v_add_co_u32 v64, vcc_lo, s4, v12
	v_add_co_ci_u32_e64 v65, null, s5, v13, vcc_lo
	global_load_dwordx2 v[62:63], v[62:63], off
	global_load_dwordx2 v[64:65], v[64:65], off
	v_mov_b32_e32 v12, v14
	v_add_nc_u32_e32 v13, 12, v16
	v_lshlrev_b64 v[66:67], 3, v[11:12]
	v_add_nc_u32_e32 v11, 0x340, v11
	v_add_co_u32 v12, vcc_lo, s2, v66
	s_waitcnt vmcnt(22)
	v_fma_f64 v[8:9], v[17:18], v[22:23], v[9:10]
	v_lshlrev_b64 v[16:17], 3, v[13:14]
	v_add_co_ci_u32_e64 v13, null, s3, v67, vcc_lo
	v_add_co_u32 v16, vcc_lo, s4, v16
	v_add_co_ci_u32_e64 v17, null, s5, v17, vcc_lo
	global_load_dwordx2 v[12:13], v[12:13], off
	global_load_dwordx2 v[16:17], v[16:17], off
	v_cmp_ge_i32_e32 vcc_lo, v7, v15
	s_or_b32 s10, vcc_lo, s10
	s_waitcnt vmcnt(22)
	v_fma_f64 v[8:9], v[19:20], v[24:25], v[8:9]
	s_waitcnt vmcnt(20)
	v_fma_f64 v[8:9], v[26:27], v[28:29], v[8:9]
	;; [unrolled: 2-line block ×12, first 2 shown]
	s_andn2_b32 exec_lo, exec_lo, s10
	s_cbranch_execnz .LBB135_8
; %bb.9:
	s_or_b32 exec_lo, exec_lo, s10
.LBB135_10:
	s_or_b32 exec_lo, exec_lo, s9
	v_mbcnt_lo_u32_b32 v11, -1, 0
	v_or_b32_e32 v7, 32, v11
	v_cmp_gt_i32_e32 vcc_lo, 32, v7
	v_cndmask_b32_e32 v7, v11, v7, vcc_lo
	v_lshlrev_b32_e32 v8, 2, v7
	ds_bpermute_b32 v7, v8, v9
	ds_bpermute_b32 v8, v8, v10
	s_waitcnt lgkmcnt(0)
	v_add_f64 v[7:8], v[9:10], v[7:8]
	v_xor_b32_e32 v9, 16, v11
	v_cmp_gt_i32_e32 vcc_lo, 32, v9
	v_cndmask_b32_e32 v9, v11, v9, vcc_lo
	v_lshlrev_b32_e32 v10, 2, v9
	ds_bpermute_b32 v9, v10, v7
	ds_bpermute_b32 v10, v10, v8
	s_waitcnt lgkmcnt(0)
	v_add_f64 v[7:8], v[7:8], v[9:10]
	v_xor_b32_e32 v9, 8, v11
	;; [unrolled: 8-line block ×5, first 2 shown]
	v_cmp_gt_i32_e32 vcc_lo, 32, v9
	v_cndmask_b32_e32 v9, v11, v9, vcc_lo
	v_cmp_eq_u32_e32 vcc_lo, 63, v0
	v_lshlrev_b32_e32 v10, 2, v9
	ds_bpermute_b32 v9, v10, v7
	ds_bpermute_b32 v10, v10, v8
	s_and_b32 exec_lo, exec_lo, vcc_lo
	s_cbranch_execz .LBB135_15
; %bb.11:
	s_waitcnt lgkmcnt(0)
	v_add_f64 v[7:8], v[7:8], v[9:10]
	v_lshlrev_b64 v[5:6], 3, v[5:6]
	s_mov_b32 s0, exec_lo
	v_mul_f64 v[3:4], v[3:4], v[7:8]
	v_cmpx_eq_f64_e32 0, v[1:2]
	s_xor_b32 s0, exec_lo, s0
	s_cbranch_execz .LBB135_13
; %bb.12:
	v_add_co_u32 v0, vcc_lo, s6, v5
	v_add_co_ci_u32_e64 v1, null, s7, v6, vcc_lo
                                        ; implicit-def: $vgpr5_vgpr6
	global_store_dwordx2 v[0:1], v[3:4], off
                                        ; implicit-def: $vgpr1_vgpr2
                                        ; implicit-def: $vgpr3_vgpr4
.LBB135_13:
	s_andn2_saveexec_b32 s0, s0
	s_cbranch_execz .LBB135_15
; %bb.14:
	v_add_co_u32 v5, vcc_lo, s6, v5
	v_add_co_ci_u32_e64 v6, null, s7, v6, vcc_lo
	global_load_dwordx2 v[7:8], v[5:6], off
	s_waitcnt vmcnt(0)
	v_fma_f64 v[0:1], v[1:2], v[7:8], v[3:4]
	global_store_dwordx2 v[5:6], v[0:1], off
.LBB135_15:
	s_endpgm
	.section	.rodata,"a",@progbits
	.p2align	6, 0x0
	.amdhsa_kernel _ZN9rocsparseL19gebsrmvn_1xn_kernelILj128ELj13ELj64EdEEvi20rocsparse_direction_NS_24const_host_device_scalarIT2_EEPKiS6_PKS3_S8_S4_PS3_21rocsparse_index_base_b
		.amdhsa_group_segment_fixed_size 0
		.amdhsa_private_segment_fixed_size 0
		.amdhsa_kernarg_size 72
		.amdhsa_user_sgpr_count 6
		.amdhsa_user_sgpr_private_segment_buffer 1
		.amdhsa_user_sgpr_dispatch_ptr 0
		.amdhsa_user_sgpr_queue_ptr 0
		.amdhsa_user_sgpr_kernarg_segment_ptr 1
		.amdhsa_user_sgpr_dispatch_id 0
		.amdhsa_user_sgpr_flat_scratch_init 0
		.amdhsa_user_sgpr_private_segment_size 0
		.amdhsa_wavefront_size32 1
		.amdhsa_uses_dynamic_stack 0
		.amdhsa_system_sgpr_private_segment_wavefront_offset 0
		.amdhsa_system_sgpr_workgroup_id_x 1
		.amdhsa_system_sgpr_workgroup_id_y 0
		.amdhsa_system_sgpr_workgroup_id_z 0
		.amdhsa_system_sgpr_workgroup_info 0
		.amdhsa_system_vgpr_workitem_id 0
		.amdhsa_next_free_vgpr 68
		.amdhsa_next_free_sgpr 11
		.amdhsa_reserve_vcc 1
		.amdhsa_reserve_flat_scratch 0
		.amdhsa_float_round_mode_32 0
		.amdhsa_float_round_mode_16_64 0
		.amdhsa_float_denorm_mode_32 3
		.amdhsa_float_denorm_mode_16_64 3
		.amdhsa_dx10_clamp 1
		.amdhsa_ieee_mode 1
		.amdhsa_fp16_overflow 0
		.amdhsa_workgroup_processor_mode 1
		.amdhsa_memory_ordered 1
		.amdhsa_forward_progress 1
		.amdhsa_shared_vgpr_count 0
		.amdhsa_exception_fp_ieee_invalid_op 0
		.amdhsa_exception_fp_denorm_src 0
		.amdhsa_exception_fp_ieee_div_zero 0
		.amdhsa_exception_fp_ieee_overflow 0
		.amdhsa_exception_fp_ieee_underflow 0
		.amdhsa_exception_fp_ieee_inexact 0
		.amdhsa_exception_int_div_zero 0
	.end_amdhsa_kernel
	.section	.text._ZN9rocsparseL19gebsrmvn_1xn_kernelILj128ELj13ELj64EdEEvi20rocsparse_direction_NS_24const_host_device_scalarIT2_EEPKiS6_PKS3_S8_S4_PS3_21rocsparse_index_base_b,"axG",@progbits,_ZN9rocsparseL19gebsrmvn_1xn_kernelILj128ELj13ELj64EdEEvi20rocsparse_direction_NS_24const_host_device_scalarIT2_EEPKiS6_PKS3_S8_S4_PS3_21rocsparse_index_base_b,comdat
.Lfunc_end135:
	.size	_ZN9rocsparseL19gebsrmvn_1xn_kernelILj128ELj13ELj64EdEEvi20rocsparse_direction_NS_24const_host_device_scalarIT2_EEPKiS6_PKS3_S8_S4_PS3_21rocsparse_index_base_b, .Lfunc_end135-_ZN9rocsparseL19gebsrmvn_1xn_kernelILj128ELj13ELj64EdEEvi20rocsparse_direction_NS_24const_host_device_scalarIT2_EEPKiS6_PKS3_S8_S4_PS3_21rocsparse_index_base_b
                                        ; -- End function
	.set _ZN9rocsparseL19gebsrmvn_1xn_kernelILj128ELj13ELj64EdEEvi20rocsparse_direction_NS_24const_host_device_scalarIT2_EEPKiS6_PKS3_S8_S4_PS3_21rocsparse_index_base_b.num_vgpr, 68
	.set _ZN9rocsparseL19gebsrmvn_1xn_kernelILj128ELj13ELj64EdEEvi20rocsparse_direction_NS_24const_host_device_scalarIT2_EEPKiS6_PKS3_S8_S4_PS3_21rocsparse_index_base_b.num_agpr, 0
	.set _ZN9rocsparseL19gebsrmvn_1xn_kernelILj128ELj13ELj64EdEEvi20rocsparse_direction_NS_24const_host_device_scalarIT2_EEPKiS6_PKS3_S8_S4_PS3_21rocsparse_index_base_b.numbered_sgpr, 11
	.set _ZN9rocsparseL19gebsrmvn_1xn_kernelILj128ELj13ELj64EdEEvi20rocsparse_direction_NS_24const_host_device_scalarIT2_EEPKiS6_PKS3_S8_S4_PS3_21rocsparse_index_base_b.num_named_barrier, 0
	.set _ZN9rocsparseL19gebsrmvn_1xn_kernelILj128ELj13ELj64EdEEvi20rocsparse_direction_NS_24const_host_device_scalarIT2_EEPKiS6_PKS3_S8_S4_PS3_21rocsparse_index_base_b.private_seg_size, 0
	.set _ZN9rocsparseL19gebsrmvn_1xn_kernelILj128ELj13ELj64EdEEvi20rocsparse_direction_NS_24const_host_device_scalarIT2_EEPKiS6_PKS3_S8_S4_PS3_21rocsparse_index_base_b.uses_vcc, 1
	.set _ZN9rocsparseL19gebsrmvn_1xn_kernelILj128ELj13ELj64EdEEvi20rocsparse_direction_NS_24const_host_device_scalarIT2_EEPKiS6_PKS3_S8_S4_PS3_21rocsparse_index_base_b.uses_flat_scratch, 0
	.set _ZN9rocsparseL19gebsrmvn_1xn_kernelILj128ELj13ELj64EdEEvi20rocsparse_direction_NS_24const_host_device_scalarIT2_EEPKiS6_PKS3_S8_S4_PS3_21rocsparse_index_base_b.has_dyn_sized_stack, 0
	.set _ZN9rocsparseL19gebsrmvn_1xn_kernelILj128ELj13ELj64EdEEvi20rocsparse_direction_NS_24const_host_device_scalarIT2_EEPKiS6_PKS3_S8_S4_PS3_21rocsparse_index_base_b.has_recursion, 0
	.set _ZN9rocsparseL19gebsrmvn_1xn_kernelILj128ELj13ELj64EdEEvi20rocsparse_direction_NS_24const_host_device_scalarIT2_EEPKiS6_PKS3_S8_S4_PS3_21rocsparse_index_base_b.has_indirect_call, 0
	.section	.AMDGPU.csdata,"",@progbits
; Kernel info:
; codeLenInByte = 1900
; TotalNumSgprs: 13
; NumVgprs: 68
; ScratchSize: 0
; MemoryBound: 0
; FloatMode: 240
; IeeeMode: 1
; LDSByteSize: 0 bytes/workgroup (compile time only)
; SGPRBlocks: 0
; VGPRBlocks: 8
; NumSGPRsForWavesPerEU: 13
; NumVGPRsForWavesPerEU: 68
; Occupancy: 12
; WaveLimiterHint : 1
; COMPUTE_PGM_RSRC2:SCRATCH_EN: 0
; COMPUTE_PGM_RSRC2:USER_SGPR: 6
; COMPUTE_PGM_RSRC2:TRAP_HANDLER: 0
; COMPUTE_PGM_RSRC2:TGID_X_EN: 1
; COMPUTE_PGM_RSRC2:TGID_Y_EN: 0
; COMPUTE_PGM_RSRC2:TGID_Z_EN: 0
; COMPUTE_PGM_RSRC2:TIDIG_COMP_CNT: 0
	.section	.text._ZN9rocsparseL19gebsrmvn_1xn_kernelILj128ELj14ELj4EdEEvi20rocsparse_direction_NS_24const_host_device_scalarIT2_EEPKiS6_PKS3_S8_S4_PS3_21rocsparse_index_base_b,"axG",@progbits,_ZN9rocsparseL19gebsrmvn_1xn_kernelILj128ELj14ELj4EdEEvi20rocsparse_direction_NS_24const_host_device_scalarIT2_EEPKiS6_PKS3_S8_S4_PS3_21rocsparse_index_base_b,comdat
	.globl	_ZN9rocsparseL19gebsrmvn_1xn_kernelILj128ELj14ELj4EdEEvi20rocsparse_direction_NS_24const_host_device_scalarIT2_EEPKiS6_PKS3_S8_S4_PS3_21rocsparse_index_base_b ; -- Begin function _ZN9rocsparseL19gebsrmvn_1xn_kernelILj128ELj14ELj4EdEEvi20rocsparse_direction_NS_24const_host_device_scalarIT2_EEPKiS6_PKS3_S8_S4_PS3_21rocsparse_index_base_b
	.p2align	8
	.type	_ZN9rocsparseL19gebsrmvn_1xn_kernelILj128ELj14ELj4EdEEvi20rocsparse_direction_NS_24const_host_device_scalarIT2_EEPKiS6_PKS3_S8_S4_PS3_21rocsparse_index_base_b,@function
_ZN9rocsparseL19gebsrmvn_1xn_kernelILj128ELj14ELj4EdEEvi20rocsparse_direction_NS_24const_host_device_scalarIT2_EEPKiS6_PKS3_S8_S4_PS3_21rocsparse_index_base_b: ; @_ZN9rocsparseL19gebsrmvn_1xn_kernelILj128ELj14ELj4EdEEvi20rocsparse_direction_NS_24const_host_device_scalarIT2_EEPKiS6_PKS3_S8_S4_PS3_21rocsparse_index_base_b
; %bb.0:
	s_clause 0x2
	s_load_dwordx2 s[8:9], s[4:5], 0x40
	s_load_dwordx2 s[2:3], s[4:5], 0x8
	;; [unrolled: 1-line block ×3, first 2 shown]
	s_waitcnt lgkmcnt(0)
	s_bitcmp1_b32 s9, 0
	v_mov_b32_e32 v4, s3
	v_mov_b32_e32 v3, s2
	s_cselect_b32 s7, -1, 0
	s_and_b32 vcc_lo, exec_lo, s7
	s_xor_b32 s7, s7, -1
	s_cbranch_vccnz .LBB136_2
; %bb.1:
	v_mov_b32_e32 v1, s2
	v_mov_b32_e32 v2, s3
	flat_load_dwordx2 v[3:4], v[1:2]
.LBB136_2:
	v_mov_b32_e32 v2, s1
	v_mov_b32_e32 v1, s0
	s_andn2_b32 vcc_lo, exec_lo, s7
	s_cbranch_vccnz .LBB136_4
; %bb.3:
	v_mov_b32_e32 v2, s1
	v_mov_b32_e32 v1, s0
	flat_load_dwordx2 v[1:2], v[1:2]
.LBB136_4:
	s_waitcnt vmcnt(0) lgkmcnt(0)
	v_cmp_neq_f64_e32 vcc_lo, 0, v[3:4]
	v_cmp_neq_f64_e64 s0, 1.0, v[1:2]
	s_or_b32 s0, vcc_lo, s0
	s_and_saveexec_b32 s1, s0
	s_cbranch_execz .LBB136_15
; %bb.5:
	s_load_dword s0, s[4:5], 0x0
	v_lshrrev_b32_e32 v5, 2, v0
	v_lshl_or_b32 v5, s6, 5, v5
	s_waitcnt lgkmcnt(0)
	v_cmp_gt_i32_e32 vcc_lo, s0, v5
	s_and_b32 exec_lo, exec_lo, vcc_lo
	s_cbranch_execz .LBB136_15
; %bb.6:
	s_clause 0x1
	s_load_dwordx2 s[0:1], s[4:5], 0x10
	s_load_dwordx2 s[6:7], s[4:5], 0x38
	v_ashrrev_i32_e32 v6, 31, v5
	v_and_b32_e32 v0, 3, v0
	v_mov_b32_e32 v12, 0
	v_mov_b32_e32 v13, 0
	s_mov_b32 s9, exec_lo
	v_lshlrev_b64 v[7:8], 2, v[5:6]
	v_subrev_nc_u32_e32 v9, s8, v0
	s_waitcnt lgkmcnt(0)
	v_add_co_u32 v7, vcc_lo, s0, v7
	v_add_co_ci_u32_e64 v8, null, s1, v8, vcc_lo
	global_load_dwordx2 v[7:8], v[7:8], off
	s_waitcnt vmcnt(0)
	v_subrev_nc_u32_e32 v14, s8, v8
	v_add_nc_u32_e32 v7, v7, v9
	v_cmpx_lt_i32_e64 v7, v14
	s_cbranch_execz .LBB136_10
; %bb.7:
	s_clause 0x1
	s_load_dwordx4 s[0:3], s[4:5], 0x18
	s_load_dwordx2 s[4:5], s[4:5], 0x28
	v_mad_u64_u32 v[9:10], null, v7, 14, 13
	v_mov_b32_e32 v12, 0
	v_mov_b32_e32 v13, 0
	;; [unrolled: 1-line block ×3, first 2 shown]
	s_mov_b32 s10, 0
.LBB136_8:                              ; =>This Inner Loop Header: Depth=1
	v_ashrrev_i32_e32 v8, 31, v7
	v_add_nc_u32_e32 v10, -13, v9
	v_mov_b32_e32 v40, v11
	v_lshlrev_b64 v[15:16], 2, v[7:8]
	v_add_nc_u32_e32 v7, 4, v7
	s_waitcnt lgkmcnt(0)
	v_add_co_u32 v15, vcc_lo, s0, v15
	v_add_co_ci_u32_e64 v16, null, s1, v16, vcc_lo
	global_load_dword v8, v[15:16], off
	v_lshlrev_b64 v[15:16], 3, v[10:11]
	v_add_nc_u32_e32 v10, -11, v9
	v_lshlrev_b64 v[23:24], 3, v[10:11]
	v_add_co_u32 v15, vcc_lo, s2, v15
	v_add_co_ci_u32_e64 v16, null, s3, v16, vcc_lo
	global_load_dwordx4 v[15:18], v[15:16], off
	s_waitcnt vmcnt(1)
	v_subrev_nc_u32_e32 v8, s8, v8
	v_mul_lo_u32 v39, v8, 14
	v_lshlrev_b64 v[19:20], 3, v[39:40]
	v_add_nc_u32_e32 v10, 2, v39
	v_lshlrev_b64 v[25:26], 3, v[10:11]
	v_add_co_u32 v19, vcc_lo, s4, v19
	v_add_co_ci_u32_e64 v20, null, s5, v20, vcc_lo
	v_add_co_u32 v23, vcc_lo, s2, v23
	v_add_co_ci_u32_e64 v24, null, s3, v24, vcc_lo
	global_load_dwordx4 v[19:22], v[19:20], off
	v_add_co_u32 v25, vcc_lo, s4, v25
	v_add_co_ci_u32_e64 v26, null, s5, v26, vcc_lo
	global_load_dwordx2 v[43:44], v[23:24], off
	global_load_dwordx4 v[23:26], v[25:26], off
	v_add_nc_u32_e32 v10, -10, v9
	v_lshlrev_b64 v[27:28], 3, v[10:11]
	v_add_nc_u32_e32 v10, -9, v9
	v_add_co_u32 v27, vcc_lo, s2, v27
	v_add_co_ci_u32_e64 v28, null, s3, v28, vcc_lo
	global_load_dwordx2 v[45:46], v[27:28], off
	v_lshlrev_b64 v[27:28], 3, v[10:11]
	v_add_nc_u32_e32 v10, 4, v39
	v_lshlrev_b64 v[29:30], 3, v[10:11]
	v_add_co_u32 v27, vcc_lo, s2, v27
	v_add_co_ci_u32_e64 v28, null, s3, v28, vcc_lo
	v_add_nc_u32_e32 v10, -8, v9
	v_add_co_u32 v29, vcc_lo, s4, v29
	v_add_co_ci_u32_e64 v30, null, s5, v30, vcc_lo
	global_load_dwordx2 v[47:48], v[27:28], off
	global_load_dwordx4 v[27:30], v[29:30], off
	v_lshlrev_b64 v[31:32], 3, v[10:11]
	v_add_nc_u32_e32 v10, -7, v9
	v_add_co_u32 v31, vcc_lo, s2, v31
	v_add_co_ci_u32_e64 v32, null, s3, v32, vcc_lo
	global_load_dwordx2 v[49:50], v[31:32], off
	v_lshlrev_b64 v[31:32], 3, v[10:11]
	v_add_nc_u32_e32 v10, 6, v39
	v_lshlrev_b64 v[33:34], 3, v[10:11]
	v_add_co_u32 v31, vcc_lo, s2, v31
	v_add_co_ci_u32_e64 v32, null, s3, v32, vcc_lo
	v_add_nc_u32_e32 v10, -6, v9
	v_add_co_u32 v33, vcc_lo, s4, v33
	v_add_co_ci_u32_e64 v34, null, s5, v34, vcc_lo
	global_load_dwordx2 v[51:52], v[31:32], off
	global_load_dwordx4 v[31:34], v[33:34], off
	;; [unrolled: 15-line block ×3, first 2 shown]
	v_lshlrev_b64 v[40:41], 3, v[10:11]
	v_add_nc_u32_e32 v10, -3, v9
	v_lshlrev_b64 v[57:58], 3, v[10:11]
	v_add_co_u32 v40, vcc_lo, s2, v40
	v_add_co_ci_u32_e64 v41, null, s3, v41, vcc_lo
	v_add_nc_u32_e32 v10, 10, v39
	v_add_co_u32 v57, vcc_lo, s2, v57
	global_load_dwordx2 v[59:60], v[40:41], off
	v_add_co_ci_u32_e64 v58, null, s3, v58, vcc_lo
	global_load_dwordx2 v[57:58], v[57:58], off
	v_lshlrev_b64 v[40:41], 3, v[10:11]
	v_add_nc_u32_e32 v10, -2, v9
	v_lshlrev_b64 v[61:62], 3, v[10:11]
	v_add_co_u32 v40, vcc_lo, s4, v40
	v_add_co_ci_u32_e64 v41, null, s5, v41, vcc_lo
	v_add_nc_u32_e32 v10, -1, v9
	v_add_co_u32 v61, vcc_lo, s2, v61
	v_add_co_ci_u32_e64 v62, null, s3, v62, vcc_lo
	v_lshlrev_b64 v[63:64], 3, v[10:11]
	v_add_nc_u32_e32 v10, 12, v39
	global_load_dwordx4 v[39:42], v[40:41], off
	global_load_dwordx2 v[61:62], v[61:62], off
	s_waitcnt vmcnt(15)
	v_fma_f64 v[12:13], v[15:16], v[19:20], v[12:13]
	v_lshlrev_b64 v[15:16], 3, v[10:11]
	v_mov_b32_e32 v10, v11
	v_fma_f64 v[12:13], v[17:18], v[21:22], v[12:13]
	v_add_co_u32 v17, vcc_lo, s2, v63
	v_add_co_ci_u32_e64 v18, null, s3, v64, vcc_lo
	v_add_co_u32 v15, vcc_lo, s4, v15
	v_add_co_ci_u32_e64 v16, null, s5, v16, vcc_lo
	global_load_dwordx2 v[19:20], v[17:18], off
	global_load_dwordx4 v[15:18], v[15:16], off
	v_lshlrev_b64 v[21:22], 3, v[9:10]
	v_add_nc_u32_e32 v9, 56, v9
	v_add_co_u32 v21, vcc_lo, s2, v21
	v_add_co_ci_u32_e64 v22, null, s3, v22, vcc_lo
	s_waitcnt vmcnt(15)
	v_fma_f64 v[12:13], v[43:44], v[23:24], v[12:13]
	v_cmp_ge_i32_e32 vcc_lo, v7, v14
	global_load_dwordx2 v[21:22], v[21:22], off
	s_or_b32 s10, vcc_lo, s10
	s_waitcnt vmcnt(15)
	v_fma_f64 v[12:13], v[45:46], v[25:26], v[12:13]
	s_waitcnt vmcnt(13)
	v_fma_f64 v[12:13], v[47:48], v[27:28], v[12:13]
	s_waitcnt vmcnt(12)
	v_fma_f64 v[12:13], v[49:50], v[29:30], v[12:13]
	s_waitcnt vmcnt(10)
	v_fma_f64 v[12:13], v[51:52], v[31:32], v[12:13]
	s_waitcnt vmcnt(9)
	v_fma_f64 v[12:13], v[53:54], v[33:34], v[12:13]
	s_waitcnt vmcnt(7)
	v_fma_f64 v[12:13], v[55:56], v[35:36], v[12:13]
	s_waitcnt vmcnt(6)
	v_fma_f64 v[12:13], v[59:60], v[37:38], v[12:13]
	s_waitcnt vmcnt(4)
	v_fma_f64 v[12:13], v[57:58], v[39:40], v[12:13]
	s_waitcnt vmcnt(3)
	v_fma_f64 v[12:13], v[61:62], v[41:42], v[12:13]
	s_waitcnt vmcnt(1)
	v_fma_f64 v[12:13], v[19:20], v[15:16], v[12:13]
	s_waitcnt vmcnt(0)
	v_fma_f64 v[12:13], v[21:22], v[17:18], v[12:13]
	s_andn2_b32 exec_lo, exec_lo, s10
	s_cbranch_execnz .LBB136_8
; %bb.9:
	s_or_b32 exec_lo, exec_lo, s10
.LBB136_10:
	s_or_b32 exec_lo, exec_lo, s9
	v_mbcnt_lo_u32_b32 v9, -1, 0
	v_xor_b32_e32 v7, 2, v9
	v_xor_b32_e32 v10, 1, v9
	v_cmp_gt_i32_e32 vcc_lo, 32, v7
	v_cndmask_b32_e32 v7, v9, v7, vcc_lo
	v_cmp_gt_i32_e32 vcc_lo, 32, v10
	v_lshlrev_b32_e32 v8, 2, v7
	v_cndmask_b32_e32 v9, v9, v10, vcc_lo
	v_cmp_eq_u32_e32 vcc_lo, 3, v0
	ds_bpermute_b32 v7, v8, v12
	ds_bpermute_b32 v8, v8, v13
	v_lshlrev_b32_e32 v10, 2, v9
	s_waitcnt lgkmcnt(0)
	v_add_f64 v[7:8], v[12:13], v[7:8]
	ds_bpermute_b32 v9, v10, v7
	ds_bpermute_b32 v10, v10, v8
	s_and_b32 exec_lo, exec_lo, vcc_lo
	s_cbranch_execz .LBB136_15
; %bb.11:
	s_waitcnt lgkmcnt(0)
	v_add_f64 v[7:8], v[7:8], v[9:10]
	v_lshlrev_b64 v[5:6], 3, v[5:6]
	s_mov_b32 s0, exec_lo
	v_mul_f64 v[3:4], v[3:4], v[7:8]
	v_cmpx_eq_f64_e32 0, v[1:2]
	s_xor_b32 s0, exec_lo, s0
	s_cbranch_execz .LBB136_13
; %bb.12:
	v_add_co_u32 v0, vcc_lo, s6, v5
	v_add_co_ci_u32_e64 v1, null, s7, v6, vcc_lo
                                        ; implicit-def: $vgpr5_vgpr6
	global_store_dwordx2 v[0:1], v[3:4], off
                                        ; implicit-def: $vgpr1_vgpr2
                                        ; implicit-def: $vgpr3_vgpr4
.LBB136_13:
	s_andn2_saveexec_b32 s0, s0
	s_cbranch_execz .LBB136_15
; %bb.14:
	v_add_co_u32 v5, vcc_lo, s6, v5
	v_add_co_ci_u32_e64 v6, null, s7, v6, vcc_lo
	global_load_dwordx2 v[7:8], v[5:6], off
	s_waitcnt vmcnt(0)
	v_fma_f64 v[0:1], v[1:2], v[7:8], v[3:4]
	global_store_dwordx2 v[5:6], v[0:1], off
.LBB136_15:
	s_endpgm
	.section	.rodata,"a",@progbits
	.p2align	6, 0x0
	.amdhsa_kernel _ZN9rocsparseL19gebsrmvn_1xn_kernelILj128ELj14ELj4EdEEvi20rocsparse_direction_NS_24const_host_device_scalarIT2_EEPKiS6_PKS3_S8_S4_PS3_21rocsparse_index_base_b
		.amdhsa_group_segment_fixed_size 0
		.amdhsa_private_segment_fixed_size 0
		.amdhsa_kernarg_size 72
		.amdhsa_user_sgpr_count 6
		.amdhsa_user_sgpr_private_segment_buffer 1
		.amdhsa_user_sgpr_dispatch_ptr 0
		.amdhsa_user_sgpr_queue_ptr 0
		.amdhsa_user_sgpr_kernarg_segment_ptr 1
		.amdhsa_user_sgpr_dispatch_id 0
		.amdhsa_user_sgpr_flat_scratch_init 0
		.amdhsa_user_sgpr_private_segment_size 0
		.amdhsa_wavefront_size32 1
		.amdhsa_uses_dynamic_stack 0
		.amdhsa_system_sgpr_private_segment_wavefront_offset 0
		.amdhsa_system_sgpr_workgroup_id_x 1
		.amdhsa_system_sgpr_workgroup_id_y 0
		.amdhsa_system_sgpr_workgroup_id_z 0
		.amdhsa_system_sgpr_workgroup_info 0
		.amdhsa_system_vgpr_workitem_id 0
		.amdhsa_next_free_vgpr 65
		.amdhsa_next_free_sgpr 11
		.amdhsa_reserve_vcc 1
		.amdhsa_reserve_flat_scratch 0
		.amdhsa_float_round_mode_32 0
		.amdhsa_float_round_mode_16_64 0
		.amdhsa_float_denorm_mode_32 3
		.amdhsa_float_denorm_mode_16_64 3
		.amdhsa_dx10_clamp 1
		.amdhsa_ieee_mode 1
		.amdhsa_fp16_overflow 0
		.amdhsa_workgroup_processor_mode 1
		.amdhsa_memory_ordered 1
		.amdhsa_forward_progress 1
		.amdhsa_shared_vgpr_count 0
		.amdhsa_exception_fp_ieee_invalid_op 0
		.amdhsa_exception_fp_denorm_src 0
		.amdhsa_exception_fp_ieee_div_zero 0
		.amdhsa_exception_fp_ieee_overflow 0
		.amdhsa_exception_fp_ieee_underflow 0
		.amdhsa_exception_fp_ieee_inexact 0
		.amdhsa_exception_int_div_zero 0
	.end_amdhsa_kernel
	.section	.text._ZN9rocsparseL19gebsrmvn_1xn_kernelILj128ELj14ELj4EdEEvi20rocsparse_direction_NS_24const_host_device_scalarIT2_EEPKiS6_PKS3_S8_S4_PS3_21rocsparse_index_base_b,"axG",@progbits,_ZN9rocsparseL19gebsrmvn_1xn_kernelILj128ELj14ELj4EdEEvi20rocsparse_direction_NS_24const_host_device_scalarIT2_EEPKiS6_PKS3_S8_S4_PS3_21rocsparse_index_base_b,comdat
.Lfunc_end136:
	.size	_ZN9rocsparseL19gebsrmvn_1xn_kernelILj128ELj14ELj4EdEEvi20rocsparse_direction_NS_24const_host_device_scalarIT2_EEPKiS6_PKS3_S8_S4_PS3_21rocsparse_index_base_b, .Lfunc_end136-_ZN9rocsparseL19gebsrmvn_1xn_kernelILj128ELj14ELj4EdEEvi20rocsparse_direction_NS_24const_host_device_scalarIT2_EEPKiS6_PKS3_S8_S4_PS3_21rocsparse_index_base_b
                                        ; -- End function
	.set _ZN9rocsparseL19gebsrmvn_1xn_kernelILj128ELj14ELj4EdEEvi20rocsparse_direction_NS_24const_host_device_scalarIT2_EEPKiS6_PKS3_S8_S4_PS3_21rocsparse_index_base_b.num_vgpr, 65
	.set _ZN9rocsparseL19gebsrmvn_1xn_kernelILj128ELj14ELj4EdEEvi20rocsparse_direction_NS_24const_host_device_scalarIT2_EEPKiS6_PKS3_S8_S4_PS3_21rocsparse_index_base_b.num_agpr, 0
	.set _ZN9rocsparseL19gebsrmvn_1xn_kernelILj128ELj14ELj4EdEEvi20rocsparse_direction_NS_24const_host_device_scalarIT2_EEPKiS6_PKS3_S8_S4_PS3_21rocsparse_index_base_b.numbered_sgpr, 11
	.set _ZN9rocsparseL19gebsrmvn_1xn_kernelILj128ELj14ELj4EdEEvi20rocsparse_direction_NS_24const_host_device_scalarIT2_EEPKiS6_PKS3_S8_S4_PS3_21rocsparse_index_base_b.num_named_barrier, 0
	.set _ZN9rocsparseL19gebsrmvn_1xn_kernelILj128ELj14ELj4EdEEvi20rocsparse_direction_NS_24const_host_device_scalarIT2_EEPKiS6_PKS3_S8_S4_PS3_21rocsparse_index_base_b.private_seg_size, 0
	.set _ZN9rocsparseL19gebsrmvn_1xn_kernelILj128ELj14ELj4EdEEvi20rocsparse_direction_NS_24const_host_device_scalarIT2_EEPKiS6_PKS3_S8_S4_PS3_21rocsparse_index_base_b.uses_vcc, 1
	.set _ZN9rocsparseL19gebsrmvn_1xn_kernelILj128ELj14ELj4EdEEvi20rocsparse_direction_NS_24const_host_device_scalarIT2_EEPKiS6_PKS3_S8_S4_PS3_21rocsparse_index_base_b.uses_flat_scratch, 0
	.set _ZN9rocsparseL19gebsrmvn_1xn_kernelILj128ELj14ELj4EdEEvi20rocsparse_direction_NS_24const_host_device_scalarIT2_EEPKiS6_PKS3_S8_S4_PS3_21rocsparse_index_base_b.has_dyn_sized_stack, 0
	.set _ZN9rocsparseL19gebsrmvn_1xn_kernelILj128ELj14ELj4EdEEvi20rocsparse_direction_NS_24const_host_device_scalarIT2_EEPKiS6_PKS3_S8_S4_PS3_21rocsparse_index_base_b.has_recursion, 0
	.set _ZN9rocsparseL19gebsrmvn_1xn_kernelILj128ELj14ELj4EdEEvi20rocsparse_direction_NS_24const_host_device_scalarIT2_EEPKiS6_PKS3_S8_S4_PS3_21rocsparse_index_base_b.has_indirect_call, 0
	.section	.AMDGPU.csdata,"",@progbits
; Kernel info:
; codeLenInByte = 1512
; TotalNumSgprs: 13
; NumVgprs: 65
; ScratchSize: 0
; MemoryBound: 0
; FloatMode: 240
; IeeeMode: 1
; LDSByteSize: 0 bytes/workgroup (compile time only)
; SGPRBlocks: 0
; VGPRBlocks: 8
; NumSGPRsForWavesPerEU: 13
; NumVGPRsForWavesPerEU: 65
; Occupancy: 12
; WaveLimiterHint : 1
; COMPUTE_PGM_RSRC2:SCRATCH_EN: 0
; COMPUTE_PGM_RSRC2:USER_SGPR: 6
; COMPUTE_PGM_RSRC2:TRAP_HANDLER: 0
; COMPUTE_PGM_RSRC2:TGID_X_EN: 1
; COMPUTE_PGM_RSRC2:TGID_Y_EN: 0
; COMPUTE_PGM_RSRC2:TGID_Z_EN: 0
; COMPUTE_PGM_RSRC2:TIDIG_COMP_CNT: 0
	.section	.text._ZN9rocsparseL19gebsrmvn_1xn_kernelILj128ELj14ELj8EdEEvi20rocsparse_direction_NS_24const_host_device_scalarIT2_EEPKiS6_PKS3_S8_S4_PS3_21rocsparse_index_base_b,"axG",@progbits,_ZN9rocsparseL19gebsrmvn_1xn_kernelILj128ELj14ELj8EdEEvi20rocsparse_direction_NS_24const_host_device_scalarIT2_EEPKiS6_PKS3_S8_S4_PS3_21rocsparse_index_base_b,comdat
	.globl	_ZN9rocsparseL19gebsrmvn_1xn_kernelILj128ELj14ELj8EdEEvi20rocsparse_direction_NS_24const_host_device_scalarIT2_EEPKiS6_PKS3_S8_S4_PS3_21rocsparse_index_base_b ; -- Begin function _ZN9rocsparseL19gebsrmvn_1xn_kernelILj128ELj14ELj8EdEEvi20rocsparse_direction_NS_24const_host_device_scalarIT2_EEPKiS6_PKS3_S8_S4_PS3_21rocsparse_index_base_b
	.p2align	8
	.type	_ZN9rocsparseL19gebsrmvn_1xn_kernelILj128ELj14ELj8EdEEvi20rocsparse_direction_NS_24const_host_device_scalarIT2_EEPKiS6_PKS3_S8_S4_PS3_21rocsparse_index_base_b,@function
_ZN9rocsparseL19gebsrmvn_1xn_kernelILj128ELj14ELj8EdEEvi20rocsparse_direction_NS_24const_host_device_scalarIT2_EEPKiS6_PKS3_S8_S4_PS3_21rocsparse_index_base_b: ; @_ZN9rocsparseL19gebsrmvn_1xn_kernelILj128ELj14ELj8EdEEvi20rocsparse_direction_NS_24const_host_device_scalarIT2_EEPKiS6_PKS3_S8_S4_PS3_21rocsparse_index_base_b
; %bb.0:
	s_clause 0x2
	s_load_dwordx2 s[8:9], s[4:5], 0x40
	s_load_dwordx2 s[2:3], s[4:5], 0x8
	;; [unrolled: 1-line block ×3, first 2 shown]
	s_waitcnt lgkmcnt(0)
	s_bitcmp1_b32 s9, 0
	v_mov_b32_e32 v4, s3
	v_mov_b32_e32 v3, s2
	s_cselect_b32 s7, -1, 0
	s_and_b32 vcc_lo, exec_lo, s7
	s_xor_b32 s7, s7, -1
	s_cbranch_vccnz .LBB137_2
; %bb.1:
	v_mov_b32_e32 v1, s2
	v_mov_b32_e32 v2, s3
	flat_load_dwordx2 v[3:4], v[1:2]
.LBB137_2:
	v_mov_b32_e32 v2, s1
	v_mov_b32_e32 v1, s0
	s_andn2_b32 vcc_lo, exec_lo, s7
	s_cbranch_vccnz .LBB137_4
; %bb.3:
	v_mov_b32_e32 v2, s1
	v_mov_b32_e32 v1, s0
	flat_load_dwordx2 v[1:2], v[1:2]
.LBB137_4:
	s_waitcnt vmcnt(0) lgkmcnt(0)
	v_cmp_neq_f64_e32 vcc_lo, 0, v[3:4]
	v_cmp_neq_f64_e64 s0, 1.0, v[1:2]
	s_or_b32 s0, vcc_lo, s0
	s_and_saveexec_b32 s1, s0
	s_cbranch_execz .LBB137_15
; %bb.5:
	s_load_dword s0, s[4:5], 0x0
	v_lshrrev_b32_e32 v5, 3, v0
	v_lshl_or_b32 v5, s6, 4, v5
	s_waitcnt lgkmcnt(0)
	v_cmp_gt_i32_e32 vcc_lo, s0, v5
	s_and_b32 exec_lo, exec_lo, vcc_lo
	s_cbranch_execz .LBB137_15
; %bb.6:
	s_clause 0x1
	s_load_dwordx2 s[0:1], s[4:5], 0x10
	s_load_dwordx2 s[6:7], s[4:5], 0x38
	v_ashrrev_i32_e32 v6, 31, v5
	v_and_b32_e32 v0, 7, v0
	v_mov_b32_e32 v12, 0
	v_mov_b32_e32 v13, 0
	s_mov_b32 s9, exec_lo
	v_lshlrev_b64 v[7:8], 2, v[5:6]
	v_subrev_nc_u32_e32 v9, s8, v0
	s_waitcnt lgkmcnt(0)
	v_add_co_u32 v7, vcc_lo, s0, v7
	v_add_co_ci_u32_e64 v8, null, s1, v8, vcc_lo
	global_load_dwordx2 v[7:8], v[7:8], off
	s_waitcnt vmcnt(0)
	v_subrev_nc_u32_e32 v14, s8, v8
	v_add_nc_u32_e32 v7, v7, v9
	v_cmpx_lt_i32_e64 v7, v14
	s_cbranch_execz .LBB137_10
; %bb.7:
	s_clause 0x1
	s_load_dwordx4 s[0:3], s[4:5], 0x18
	s_load_dwordx2 s[4:5], s[4:5], 0x28
	v_mad_u64_u32 v[9:10], null, v7, 14, 13
	v_mov_b32_e32 v12, 0
	v_mov_b32_e32 v13, 0
	;; [unrolled: 1-line block ×3, first 2 shown]
	s_mov_b32 s10, 0
.LBB137_8:                              ; =>This Inner Loop Header: Depth=1
	v_ashrrev_i32_e32 v8, 31, v7
	v_add_nc_u32_e32 v10, -13, v9
	v_mov_b32_e32 v40, v11
	v_lshlrev_b64 v[15:16], 2, v[7:8]
	v_add_nc_u32_e32 v7, 8, v7
	s_waitcnt lgkmcnt(0)
	v_add_co_u32 v15, vcc_lo, s0, v15
	v_add_co_ci_u32_e64 v16, null, s1, v16, vcc_lo
	global_load_dword v8, v[15:16], off
	v_lshlrev_b64 v[15:16], 3, v[10:11]
	v_add_nc_u32_e32 v10, -11, v9
	v_lshlrev_b64 v[23:24], 3, v[10:11]
	v_add_co_u32 v15, vcc_lo, s2, v15
	v_add_co_ci_u32_e64 v16, null, s3, v16, vcc_lo
	global_load_dwordx4 v[15:18], v[15:16], off
	s_waitcnt vmcnt(1)
	v_subrev_nc_u32_e32 v8, s8, v8
	v_mul_lo_u32 v39, v8, 14
	v_lshlrev_b64 v[19:20], 3, v[39:40]
	v_add_nc_u32_e32 v10, 2, v39
	v_lshlrev_b64 v[25:26], 3, v[10:11]
	v_add_co_u32 v19, vcc_lo, s4, v19
	v_add_co_ci_u32_e64 v20, null, s5, v20, vcc_lo
	v_add_co_u32 v23, vcc_lo, s2, v23
	v_add_co_ci_u32_e64 v24, null, s3, v24, vcc_lo
	global_load_dwordx4 v[19:22], v[19:20], off
	v_add_co_u32 v25, vcc_lo, s4, v25
	v_add_co_ci_u32_e64 v26, null, s5, v26, vcc_lo
	global_load_dwordx2 v[43:44], v[23:24], off
	global_load_dwordx4 v[23:26], v[25:26], off
	v_add_nc_u32_e32 v10, -10, v9
	v_lshlrev_b64 v[27:28], 3, v[10:11]
	v_add_nc_u32_e32 v10, -9, v9
	v_add_co_u32 v27, vcc_lo, s2, v27
	v_add_co_ci_u32_e64 v28, null, s3, v28, vcc_lo
	global_load_dwordx2 v[45:46], v[27:28], off
	v_lshlrev_b64 v[27:28], 3, v[10:11]
	v_add_nc_u32_e32 v10, 4, v39
	v_lshlrev_b64 v[29:30], 3, v[10:11]
	v_add_co_u32 v27, vcc_lo, s2, v27
	v_add_co_ci_u32_e64 v28, null, s3, v28, vcc_lo
	v_add_nc_u32_e32 v10, -8, v9
	v_add_co_u32 v29, vcc_lo, s4, v29
	v_add_co_ci_u32_e64 v30, null, s5, v30, vcc_lo
	global_load_dwordx2 v[47:48], v[27:28], off
	global_load_dwordx4 v[27:30], v[29:30], off
	v_lshlrev_b64 v[31:32], 3, v[10:11]
	v_add_nc_u32_e32 v10, -7, v9
	v_add_co_u32 v31, vcc_lo, s2, v31
	v_add_co_ci_u32_e64 v32, null, s3, v32, vcc_lo
	global_load_dwordx2 v[49:50], v[31:32], off
	v_lshlrev_b64 v[31:32], 3, v[10:11]
	v_add_nc_u32_e32 v10, 6, v39
	v_lshlrev_b64 v[33:34], 3, v[10:11]
	v_add_co_u32 v31, vcc_lo, s2, v31
	v_add_co_ci_u32_e64 v32, null, s3, v32, vcc_lo
	v_add_nc_u32_e32 v10, -6, v9
	v_add_co_u32 v33, vcc_lo, s4, v33
	v_add_co_ci_u32_e64 v34, null, s5, v34, vcc_lo
	global_load_dwordx2 v[51:52], v[31:32], off
	global_load_dwordx4 v[31:34], v[33:34], off
	;; [unrolled: 15-line block ×3, first 2 shown]
	v_lshlrev_b64 v[40:41], 3, v[10:11]
	v_add_nc_u32_e32 v10, -3, v9
	v_lshlrev_b64 v[57:58], 3, v[10:11]
	v_add_co_u32 v40, vcc_lo, s2, v40
	v_add_co_ci_u32_e64 v41, null, s3, v41, vcc_lo
	v_add_nc_u32_e32 v10, 10, v39
	v_add_co_u32 v57, vcc_lo, s2, v57
	global_load_dwordx2 v[59:60], v[40:41], off
	v_add_co_ci_u32_e64 v58, null, s3, v58, vcc_lo
	global_load_dwordx2 v[57:58], v[57:58], off
	v_lshlrev_b64 v[40:41], 3, v[10:11]
	v_add_nc_u32_e32 v10, -2, v9
	v_lshlrev_b64 v[61:62], 3, v[10:11]
	v_add_co_u32 v40, vcc_lo, s4, v40
	v_add_co_ci_u32_e64 v41, null, s5, v41, vcc_lo
	v_add_nc_u32_e32 v10, -1, v9
	v_add_co_u32 v61, vcc_lo, s2, v61
	v_add_co_ci_u32_e64 v62, null, s3, v62, vcc_lo
	v_lshlrev_b64 v[63:64], 3, v[10:11]
	v_add_nc_u32_e32 v10, 12, v39
	global_load_dwordx4 v[39:42], v[40:41], off
	global_load_dwordx2 v[61:62], v[61:62], off
	s_waitcnt vmcnt(15)
	v_fma_f64 v[12:13], v[15:16], v[19:20], v[12:13]
	v_lshlrev_b64 v[15:16], 3, v[10:11]
	v_mov_b32_e32 v10, v11
	v_fma_f64 v[12:13], v[17:18], v[21:22], v[12:13]
	v_add_co_u32 v17, vcc_lo, s2, v63
	v_add_co_ci_u32_e64 v18, null, s3, v64, vcc_lo
	v_add_co_u32 v15, vcc_lo, s4, v15
	v_add_co_ci_u32_e64 v16, null, s5, v16, vcc_lo
	global_load_dwordx2 v[19:20], v[17:18], off
	global_load_dwordx4 v[15:18], v[15:16], off
	v_lshlrev_b64 v[21:22], 3, v[9:10]
	v_add_nc_u32_e32 v9, 0x70, v9
	v_add_co_u32 v21, vcc_lo, s2, v21
	v_add_co_ci_u32_e64 v22, null, s3, v22, vcc_lo
	s_waitcnt vmcnt(15)
	v_fma_f64 v[12:13], v[43:44], v[23:24], v[12:13]
	v_cmp_ge_i32_e32 vcc_lo, v7, v14
	global_load_dwordx2 v[21:22], v[21:22], off
	s_or_b32 s10, vcc_lo, s10
	s_waitcnt vmcnt(15)
	v_fma_f64 v[12:13], v[45:46], v[25:26], v[12:13]
	s_waitcnt vmcnt(13)
	v_fma_f64 v[12:13], v[47:48], v[27:28], v[12:13]
	;; [unrolled: 2-line block ×11, first 2 shown]
	s_andn2_b32 exec_lo, exec_lo, s10
	s_cbranch_execnz .LBB137_8
; %bb.9:
	s_or_b32 exec_lo, exec_lo, s10
.LBB137_10:
	s_or_b32 exec_lo, exec_lo, s9
	v_mbcnt_lo_u32_b32 v11, -1, 0
	v_xor_b32_e32 v7, 4, v11
	v_xor_b32_e32 v9, 2, v11
	v_cmp_gt_i32_e32 vcc_lo, 32, v7
	v_cndmask_b32_e32 v7, v11, v7, vcc_lo
	v_cmp_gt_i32_e32 vcc_lo, 32, v9
	v_lshlrev_b32_e32 v8, 2, v7
	v_cndmask_b32_e32 v9, v11, v9, vcc_lo
	ds_bpermute_b32 v7, v8, v12
	ds_bpermute_b32 v8, v8, v13
	v_lshlrev_b32_e32 v10, 2, v9
	s_waitcnt lgkmcnt(0)
	v_add_f64 v[7:8], v[12:13], v[7:8]
	ds_bpermute_b32 v9, v10, v7
	ds_bpermute_b32 v10, v10, v8
	s_waitcnt lgkmcnt(0)
	v_add_f64 v[7:8], v[7:8], v[9:10]
	v_xor_b32_e32 v9, 1, v11
	v_cmp_gt_i32_e32 vcc_lo, 32, v9
	v_cndmask_b32_e32 v9, v11, v9, vcc_lo
	v_cmp_eq_u32_e32 vcc_lo, 7, v0
	v_lshlrev_b32_e32 v10, 2, v9
	ds_bpermute_b32 v9, v10, v7
	ds_bpermute_b32 v10, v10, v8
	s_and_b32 exec_lo, exec_lo, vcc_lo
	s_cbranch_execz .LBB137_15
; %bb.11:
	s_waitcnt lgkmcnt(0)
	v_add_f64 v[7:8], v[7:8], v[9:10]
	v_lshlrev_b64 v[5:6], 3, v[5:6]
	s_mov_b32 s0, exec_lo
	v_mul_f64 v[3:4], v[3:4], v[7:8]
	v_cmpx_eq_f64_e32 0, v[1:2]
	s_xor_b32 s0, exec_lo, s0
	s_cbranch_execz .LBB137_13
; %bb.12:
	v_add_co_u32 v0, vcc_lo, s6, v5
	v_add_co_ci_u32_e64 v1, null, s7, v6, vcc_lo
                                        ; implicit-def: $vgpr5_vgpr6
	global_store_dwordx2 v[0:1], v[3:4], off
                                        ; implicit-def: $vgpr1_vgpr2
                                        ; implicit-def: $vgpr3_vgpr4
.LBB137_13:
	s_andn2_saveexec_b32 s0, s0
	s_cbranch_execz .LBB137_15
; %bb.14:
	v_add_co_u32 v5, vcc_lo, s6, v5
	v_add_co_ci_u32_e64 v6, null, s7, v6, vcc_lo
	global_load_dwordx2 v[7:8], v[5:6], off
	s_waitcnt vmcnt(0)
	v_fma_f64 v[0:1], v[1:2], v[7:8], v[3:4]
	global_store_dwordx2 v[5:6], v[0:1], off
.LBB137_15:
	s_endpgm
	.section	.rodata,"a",@progbits
	.p2align	6, 0x0
	.amdhsa_kernel _ZN9rocsparseL19gebsrmvn_1xn_kernelILj128ELj14ELj8EdEEvi20rocsparse_direction_NS_24const_host_device_scalarIT2_EEPKiS6_PKS3_S8_S4_PS3_21rocsparse_index_base_b
		.amdhsa_group_segment_fixed_size 0
		.amdhsa_private_segment_fixed_size 0
		.amdhsa_kernarg_size 72
		.amdhsa_user_sgpr_count 6
		.amdhsa_user_sgpr_private_segment_buffer 1
		.amdhsa_user_sgpr_dispatch_ptr 0
		.amdhsa_user_sgpr_queue_ptr 0
		.amdhsa_user_sgpr_kernarg_segment_ptr 1
		.amdhsa_user_sgpr_dispatch_id 0
		.amdhsa_user_sgpr_flat_scratch_init 0
		.amdhsa_user_sgpr_private_segment_size 0
		.amdhsa_wavefront_size32 1
		.amdhsa_uses_dynamic_stack 0
		.amdhsa_system_sgpr_private_segment_wavefront_offset 0
		.amdhsa_system_sgpr_workgroup_id_x 1
		.amdhsa_system_sgpr_workgroup_id_y 0
		.amdhsa_system_sgpr_workgroup_id_z 0
		.amdhsa_system_sgpr_workgroup_info 0
		.amdhsa_system_vgpr_workitem_id 0
		.amdhsa_next_free_vgpr 65
		.amdhsa_next_free_sgpr 11
		.amdhsa_reserve_vcc 1
		.amdhsa_reserve_flat_scratch 0
		.amdhsa_float_round_mode_32 0
		.amdhsa_float_round_mode_16_64 0
		.amdhsa_float_denorm_mode_32 3
		.amdhsa_float_denorm_mode_16_64 3
		.amdhsa_dx10_clamp 1
		.amdhsa_ieee_mode 1
		.amdhsa_fp16_overflow 0
		.amdhsa_workgroup_processor_mode 1
		.amdhsa_memory_ordered 1
		.amdhsa_forward_progress 1
		.amdhsa_shared_vgpr_count 0
		.amdhsa_exception_fp_ieee_invalid_op 0
		.amdhsa_exception_fp_denorm_src 0
		.amdhsa_exception_fp_ieee_div_zero 0
		.amdhsa_exception_fp_ieee_overflow 0
		.amdhsa_exception_fp_ieee_underflow 0
		.amdhsa_exception_fp_ieee_inexact 0
		.amdhsa_exception_int_div_zero 0
	.end_amdhsa_kernel
	.section	.text._ZN9rocsparseL19gebsrmvn_1xn_kernelILj128ELj14ELj8EdEEvi20rocsparse_direction_NS_24const_host_device_scalarIT2_EEPKiS6_PKS3_S8_S4_PS3_21rocsparse_index_base_b,"axG",@progbits,_ZN9rocsparseL19gebsrmvn_1xn_kernelILj128ELj14ELj8EdEEvi20rocsparse_direction_NS_24const_host_device_scalarIT2_EEPKiS6_PKS3_S8_S4_PS3_21rocsparse_index_base_b,comdat
.Lfunc_end137:
	.size	_ZN9rocsparseL19gebsrmvn_1xn_kernelILj128ELj14ELj8EdEEvi20rocsparse_direction_NS_24const_host_device_scalarIT2_EEPKiS6_PKS3_S8_S4_PS3_21rocsparse_index_base_b, .Lfunc_end137-_ZN9rocsparseL19gebsrmvn_1xn_kernelILj128ELj14ELj8EdEEvi20rocsparse_direction_NS_24const_host_device_scalarIT2_EEPKiS6_PKS3_S8_S4_PS3_21rocsparse_index_base_b
                                        ; -- End function
	.set _ZN9rocsparseL19gebsrmvn_1xn_kernelILj128ELj14ELj8EdEEvi20rocsparse_direction_NS_24const_host_device_scalarIT2_EEPKiS6_PKS3_S8_S4_PS3_21rocsparse_index_base_b.num_vgpr, 65
	.set _ZN9rocsparseL19gebsrmvn_1xn_kernelILj128ELj14ELj8EdEEvi20rocsparse_direction_NS_24const_host_device_scalarIT2_EEPKiS6_PKS3_S8_S4_PS3_21rocsparse_index_base_b.num_agpr, 0
	.set _ZN9rocsparseL19gebsrmvn_1xn_kernelILj128ELj14ELj8EdEEvi20rocsparse_direction_NS_24const_host_device_scalarIT2_EEPKiS6_PKS3_S8_S4_PS3_21rocsparse_index_base_b.numbered_sgpr, 11
	.set _ZN9rocsparseL19gebsrmvn_1xn_kernelILj128ELj14ELj8EdEEvi20rocsparse_direction_NS_24const_host_device_scalarIT2_EEPKiS6_PKS3_S8_S4_PS3_21rocsparse_index_base_b.num_named_barrier, 0
	.set _ZN9rocsparseL19gebsrmvn_1xn_kernelILj128ELj14ELj8EdEEvi20rocsparse_direction_NS_24const_host_device_scalarIT2_EEPKiS6_PKS3_S8_S4_PS3_21rocsparse_index_base_b.private_seg_size, 0
	.set _ZN9rocsparseL19gebsrmvn_1xn_kernelILj128ELj14ELj8EdEEvi20rocsparse_direction_NS_24const_host_device_scalarIT2_EEPKiS6_PKS3_S8_S4_PS3_21rocsparse_index_base_b.uses_vcc, 1
	.set _ZN9rocsparseL19gebsrmvn_1xn_kernelILj128ELj14ELj8EdEEvi20rocsparse_direction_NS_24const_host_device_scalarIT2_EEPKiS6_PKS3_S8_S4_PS3_21rocsparse_index_base_b.uses_flat_scratch, 0
	.set _ZN9rocsparseL19gebsrmvn_1xn_kernelILj128ELj14ELj8EdEEvi20rocsparse_direction_NS_24const_host_device_scalarIT2_EEPKiS6_PKS3_S8_S4_PS3_21rocsparse_index_base_b.has_dyn_sized_stack, 0
	.set _ZN9rocsparseL19gebsrmvn_1xn_kernelILj128ELj14ELj8EdEEvi20rocsparse_direction_NS_24const_host_device_scalarIT2_EEPKiS6_PKS3_S8_S4_PS3_21rocsparse_index_base_b.has_recursion, 0
	.set _ZN9rocsparseL19gebsrmvn_1xn_kernelILj128ELj14ELj8EdEEvi20rocsparse_direction_NS_24const_host_device_scalarIT2_EEPKiS6_PKS3_S8_S4_PS3_21rocsparse_index_base_b.has_indirect_call, 0
	.section	.AMDGPU.csdata,"",@progbits
; Kernel info:
; codeLenInByte = 1560
; TotalNumSgprs: 13
; NumVgprs: 65
; ScratchSize: 0
; MemoryBound: 0
; FloatMode: 240
; IeeeMode: 1
; LDSByteSize: 0 bytes/workgroup (compile time only)
; SGPRBlocks: 0
; VGPRBlocks: 8
; NumSGPRsForWavesPerEU: 13
; NumVGPRsForWavesPerEU: 65
; Occupancy: 12
; WaveLimiterHint : 1
; COMPUTE_PGM_RSRC2:SCRATCH_EN: 0
; COMPUTE_PGM_RSRC2:USER_SGPR: 6
; COMPUTE_PGM_RSRC2:TRAP_HANDLER: 0
; COMPUTE_PGM_RSRC2:TGID_X_EN: 1
; COMPUTE_PGM_RSRC2:TGID_Y_EN: 0
; COMPUTE_PGM_RSRC2:TGID_Z_EN: 0
; COMPUTE_PGM_RSRC2:TIDIG_COMP_CNT: 0
	.section	.text._ZN9rocsparseL19gebsrmvn_1xn_kernelILj128ELj14ELj16EdEEvi20rocsparse_direction_NS_24const_host_device_scalarIT2_EEPKiS6_PKS3_S8_S4_PS3_21rocsparse_index_base_b,"axG",@progbits,_ZN9rocsparseL19gebsrmvn_1xn_kernelILj128ELj14ELj16EdEEvi20rocsparse_direction_NS_24const_host_device_scalarIT2_EEPKiS6_PKS3_S8_S4_PS3_21rocsparse_index_base_b,comdat
	.globl	_ZN9rocsparseL19gebsrmvn_1xn_kernelILj128ELj14ELj16EdEEvi20rocsparse_direction_NS_24const_host_device_scalarIT2_EEPKiS6_PKS3_S8_S4_PS3_21rocsparse_index_base_b ; -- Begin function _ZN9rocsparseL19gebsrmvn_1xn_kernelILj128ELj14ELj16EdEEvi20rocsparse_direction_NS_24const_host_device_scalarIT2_EEPKiS6_PKS3_S8_S4_PS3_21rocsparse_index_base_b
	.p2align	8
	.type	_ZN9rocsparseL19gebsrmvn_1xn_kernelILj128ELj14ELj16EdEEvi20rocsparse_direction_NS_24const_host_device_scalarIT2_EEPKiS6_PKS3_S8_S4_PS3_21rocsparse_index_base_b,@function
_ZN9rocsparseL19gebsrmvn_1xn_kernelILj128ELj14ELj16EdEEvi20rocsparse_direction_NS_24const_host_device_scalarIT2_EEPKiS6_PKS3_S8_S4_PS3_21rocsparse_index_base_b: ; @_ZN9rocsparseL19gebsrmvn_1xn_kernelILj128ELj14ELj16EdEEvi20rocsparse_direction_NS_24const_host_device_scalarIT2_EEPKiS6_PKS3_S8_S4_PS3_21rocsparse_index_base_b
; %bb.0:
	s_clause 0x2
	s_load_dwordx2 s[8:9], s[4:5], 0x40
	s_load_dwordx2 s[2:3], s[4:5], 0x8
	;; [unrolled: 1-line block ×3, first 2 shown]
	s_waitcnt lgkmcnt(0)
	s_bitcmp1_b32 s9, 0
	v_mov_b32_e32 v4, s3
	v_mov_b32_e32 v3, s2
	s_cselect_b32 s7, -1, 0
	s_and_b32 vcc_lo, exec_lo, s7
	s_xor_b32 s7, s7, -1
	s_cbranch_vccnz .LBB138_2
; %bb.1:
	v_mov_b32_e32 v1, s2
	v_mov_b32_e32 v2, s3
	flat_load_dwordx2 v[3:4], v[1:2]
.LBB138_2:
	v_mov_b32_e32 v2, s1
	v_mov_b32_e32 v1, s0
	s_andn2_b32 vcc_lo, exec_lo, s7
	s_cbranch_vccnz .LBB138_4
; %bb.3:
	v_mov_b32_e32 v2, s1
	v_mov_b32_e32 v1, s0
	flat_load_dwordx2 v[1:2], v[1:2]
.LBB138_4:
	s_waitcnt vmcnt(0) lgkmcnt(0)
	v_cmp_neq_f64_e32 vcc_lo, 0, v[3:4]
	v_cmp_neq_f64_e64 s0, 1.0, v[1:2]
	s_or_b32 s0, vcc_lo, s0
	s_and_saveexec_b32 s1, s0
	s_cbranch_execz .LBB138_15
; %bb.5:
	s_load_dword s0, s[4:5], 0x0
	v_lshrrev_b32_e32 v5, 4, v0
	v_lshl_or_b32 v5, s6, 3, v5
	s_waitcnt lgkmcnt(0)
	v_cmp_gt_i32_e32 vcc_lo, s0, v5
	s_and_b32 exec_lo, exec_lo, vcc_lo
	s_cbranch_execz .LBB138_15
; %bb.6:
	s_clause 0x1
	s_load_dwordx2 s[0:1], s[4:5], 0x10
	s_load_dwordx2 s[6:7], s[4:5], 0x38
	v_ashrrev_i32_e32 v6, 31, v5
	v_and_b32_e32 v0, 15, v0
	v_mov_b32_e32 v12, 0
	v_mov_b32_e32 v13, 0
	s_mov_b32 s9, exec_lo
	v_lshlrev_b64 v[7:8], 2, v[5:6]
	v_subrev_nc_u32_e32 v9, s8, v0
	s_waitcnt lgkmcnt(0)
	v_add_co_u32 v7, vcc_lo, s0, v7
	v_add_co_ci_u32_e64 v8, null, s1, v8, vcc_lo
	global_load_dwordx2 v[7:8], v[7:8], off
	s_waitcnt vmcnt(0)
	v_subrev_nc_u32_e32 v14, s8, v8
	v_add_nc_u32_e32 v7, v7, v9
	v_cmpx_lt_i32_e64 v7, v14
	s_cbranch_execz .LBB138_10
; %bb.7:
	s_clause 0x1
	s_load_dwordx4 s[0:3], s[4:5], 0x18
	s_load_dwordx2 s[4:5], s[4:5], 0x28
	v_mad_u64_u32 v[9:10], null, v7, 14, 13
	v_mov_b32_e32 v12, 0
	v_mov_b32_e32 v13, 0
	;; [unrolled: 1-line block ×3, first 2 shown]
	s_mov_b32 s10, 0
.LBB138_8:                              ; =>This Inner Loop Header: Depth=1
	v_ashrrev_i32_e32 v8, 31, v7
	v_add_nc_u32_e32 v10, -13, v9
	v_mov_b32_e32 v40, v11
	v_lshlrev_b64 v[15:16], 2, v[7:8]
	v_add_nc_u32_e32 v7, 16, v7
	s_waitcnt lgkmcnt(0)
	v_add_co_u32 v15, vcc_lo, s0, v15
	v_add_co_ci_u32_e64 v16, null, s1, v16, vcc_lo
	global_load_dword v8, v[15:16], off
	v_lshlrev_b64 v[15:16], 3, v[10:11]
	v_add_nc_u32_e32 v10, -11, v9
	v_lshlrev_b64 v[23:24], 3, v[10:11]
	v_add_co_u32 v15, vcc_lo, s2, v15
	v_add_co_ci_u32_e64 v16, null, s3, v16, vcc_lo
	global_load_dwordx4 v[15:18], v[15:16], off
	s_waitcnt vmcnt(1)
	v_subrev_nc_u32_e32 v8, s8, v8
	v_mul_lo_u32 v39, v8, 14
	v_lshlrev_b64 v[19:20], 3, v[39:40]
	v_add_nc_u32_e32 v10, 2, v39
	v_lshlrev_b64 v[25:26], 3, v[10:11]
	v_add_co_u32 v19, vcc_lo, s4, v19
	v_add_co_ci_u32_e64 v20, null, s5, v20, vcc_lo
	v_add_co_u32 v23, vcc_lo, s2, v23
	v_add_co_ci_u32_e64 v24, null, s3, v24, vcc_lo
	global_load_dwordx4 v[19:22], v[19:20], off
	v_add_co_u32 v25, vcc_lo, s4, v25
	v_add_co_ci_u32_e64 v26, null, s5, v26, vcc_lo
	global_load_dwordx2 v[43:44], v[23:24], off
	global_load_dwordx4 v[23:26], v[25:26], off
	v_add_nc_u32_e32 v10, -10, v9
	v_lshlrev_b64 v[27:28], 3, v[10:11]
	v_add_nc_u32_e32 v10, -9, v9
	v_add_co_u32 v27, vcc_lo, s2, v27
	v_add_co_ci_u32_e64 v28, null, s3, v28, vcc_lo
	global_load_dwordx2 v[45:46], v[27:28], off
	v_lshlrev_b64 v[27:28], 3, v[10:11]
	v_add_nc_u32_e32 v10, 4, v39
	v_lshlrev_b64 v[29:30], 3, v[10:11]
	v_add_co_u32 v27, vcc_lo, s2, v27
	v_add_co_ci_u32_e64 v28, null, s3, v28, vcc_lo
	v_add_nc_u32_e32 v10, -8, v9
	v_add_co_u32 v29, vcc_lo, s4, v29
	v_add_co_ci_u32_e64 v30, null, s5, v30, vcc_lo
	global_load_dwordx2 v[47:48], v[27:28], off
	global_load_dwordx4 v[27:30], v[29:30], off
	v_lshlrev_b64 v[31:32], 3, v[10:11]
	v_add_nc_u32_e32 v10, -7, v9
	v_add_co_u32 v31, vcc_lo, s2, v31
	v_add_co_ci_u32_e64 v32, null, s3, v32, vcc_lo
	global_load_dwordx2 v[49:50], v[31:32], off
	v_lshlrev_b64 v[31:32], 3, v[10:11]
	v_add_nc_u32_e32 v10, 6, v39
	v_lshlrev_b64 v[33:34], 3, v[10:11]
	v_add_co_u32 v31, vcc_lo, s2, v31
	v_add_co_ci_u32_e64 v32, null, s3, v32, vcc_lo
	v_add_nc_u32_e32 v10, -6, v9
	v_add_co_u32 v33, vcc_lo, s4, v33
	v_add_co_ci_u32_e64 v34, null, s5, v34, vcc_lo
	global_load_dwordx2 v[51:52], v[31:32], off
	global_load_dwordx4 v[31:34], v[33:34], off
	;; [unrolled: 15-line block ×3, first 2 shown]
	v_lshlrev_b64 v[40:41], 3, v[10:11]
	v_add_nc_u32_e32 v10, -3, v9
	v_lshlrev_b64 v[57:58], 3, v[10:11]
	v_add_co_u32 v40, vcc_lo, s2, v40
	v_add_co_ci_u32_e64 v41, null, s3, v41, vcc_lo
	v_add_nc_u32_e32 v10, 10, v39
	v_add_co_u32 v57, vcc_lo, s2, v57
	global_load_dwordx2 v[59:60], v[40:41], off
	v_add_co_ci_u32_e64 v58, null, s3, v58, vcc_lo
	global_load_dwordx2 v[57:58], v[57:58], off
	v_lshlrev_b64 v[40:41], 3, v[10:11]
	v_add_nc_u32_e32 v10, -2, v9
	v_lshlrev_b64 v[61:62], 3, v[10:11]
	v_add_co_u32 v40, vcc_lo, s4, v40
	v_add_co_ci_u32_e64 v41, null, s5, v41, vcc_lo
	v_add_nc_u32_e32 v10, -1, v9
	v_add_co_u32 v61, vcc_lo, s2, v61
	v_add_co_ci_u32_e64 v62, null, s3, v62, vcc_lo
	v_lshlrev_b64 v[63:64], 3, v[10:11]
	v_add_nc_u32_e32 v10, 12, v39
	global_load_dwordx4 v[39:42], v[40:41], off
	global_load_dwordx2 v[61:62], v[61:62], off
	s_waitcnt vmcnt(15)
	v_fma_f64 v[12:13], v[15:16], v[19:20], v[12:13]
	v_lshlrev_b64 v[15:16], 3, v[10:11]
	v_mov_b32_e32 v10, v11
	v_fma_f64 v[12:13], v[17:18], v[21:22], v[12:13]
	v_add_co_u32 v17, vcc_lo, s2, v63
	v_add_co_ci_u32_e64 v18, null, s3, v64, vcc_lo
	v_add_co_u32 v15, vcc_lo, s4, v15
	v_add_co_ci_u32_e64 v16, null, s5, v16, vcc_lo
	global_load_dwordx2 v[19:20], v[17:18], off
	global_load_dwordx4 v[15:18], v[15:16], off
	v_lshlrev_b64 v[21:22], 3, v[9:10]
	v_add_nc_u32_e32 v9, 0xe0, v9
	v_add_co_u32 v21, vcc_lo, s2, v21
	v_add_co_ci_u32_e64 v22, null, s3, v22, vcc_lo
	s_waitcnt vmcnt(15)
	v_fma_f64 v[12:13], v[43:44], v[23:24], v[12:13]
	v_cmp_ge_i32_e32 vcc_lo, v7, v14
	global_load_dwordx2 v[21:22], v[21:22], off
	s_or_b32 s10, vcc_lo, s10
	s_waitcnt vmcnt(15)
	v_fma_f64 v[12:13], v[45:46], v[25:26], v[12:13]
	s_waitcnt vmcnt(13)
	v_fma_f64 v[12:13], v[47:48], v[27:28], v[12:13]
	;; [unrolled: 2-line block ×11, first 2 shown]
	s_andn2_b32 exec_lo, exec_lo, s10
	s_cbranch_execnz .LBB138_8
; %bb.9:
	s_or_b32 exec_lo, exec_lo, s10
.LBB138_10:
	s_or_b32 exec_lo, exec_lo, s9
	v_mbcnt_lo_u32_b32 v11, -1, 0
	v_xor_b32_e32 v7, 8, v11
	v_xor_b32_e32 v9, 4, v11
	v_cmp_gt_i32_e32 vcc_lo, 32, v7
	v_cndmask_b32_e32 v7, v11, v7, vcc_lo
	v_cmp_gt_i32_e32 vcc_lo, 32, v9
	v_lshlrev_b32_e32 v8, 2, v7
	v_cndmask_b32_e32 v9, v11, v9, vcc_lo
	ds_bpermute_b32 v7, v8, v12
	ds_bpermute_b32 v8, v8, v13
	v_lshlrev_b32_e32 v10, 2, v9
	s_waitcnt lgkmcnt(0)
	v_add_f64 v[7:8], v[12:13], v[7:8]
	ds_bpermute_b32 v9, v10, v7
	ds_bpermute_b32 v10, v10, v8
	s_waitcnt lgkmcnt(0)
	v_add_f64 v[7:8], v[7:8], v[9:10]
	v_xor_b32_e32 v9, 2, v11
	v_cmp_gt_i32_e32 vcc_lo, 32, v9
	v_cndmask_b32_e32 v9, v11, v9, vcc_lo
	v_lshlrev_b32_e32 v10, 2, v9
	ds_bpermute_b32 v9, v10, v7
	ds_bpermute_b32 v10, v10, v8
	s_waitcnt lgkmcnt(0)
	v_add_f64 v[7:8], v[7:8], v[9:10]
	v_xor_b32_e32 v9, 1, v11
	v_cmp_gt_i32_e32 vcc_lo, 32, v9
	v_cndmask_b32_e32 v9, v11, v9, vcc_lo
	v_cmp_eq_u32_e32 vcc_lo, 15, v0
	v_lshlrev_b32_e32 v10, 2, v9
	ds_bpermute_b32 v9, v10, v7
	ds_bpermute_b32 v10, v10, v8
	s_and_b32 exec_lo, exec_lo, vcc_lo
	s_cbranch_execz .LBB138_15
; %bb.11:
	s_waitcnt lgkmcnt(0)
	v_add_f64 v[7:8], v[7:8], v[9:10]
	v_lshlrev_b64 v[5:6], 3, v[5:6]
	s_mov_b32 s0, exec_lo
	v_mul_f64 v[3:4], v[3:4], v[7:8]
	v_cmpx_eq_f64_e32 0, v[1:2]
	s_xor_b32 s0, exec_lo, s0
	s_cbranch_execz .LBB138_13
; %bb.12:
	v_add_co_u32 v0, vcc_lo, s6, v5
	v_add_co_ci_u32_e64 v1, null, s7, v6, vcc_lo
                                        ; implicit-def: $vgpr5_vgpr6
	global_store_dwordx2 v[0:1], v[3:4], off
                                        ; implicit-def: $vgpr1_vgpr2
                                        ; implicit-def: $vgpr3_vgpr4
.LBB138_13:
	s_andn2_saveexec_b32 s0, s0
	s_cbranch_execz .LBB138_15
; %bb.14:
	v_add_co_u32 v5, vcc_lo, s6, v5
	v_add_co_ci_u32_e64 v6, null, s7, v6, vcc_lo
	global_load_dwordx2 v[7:8], v[5:6], off
	s_waitcnt vmcnt(0)
	v_fma_f64 v[0:1], v[1:2], v[7:8], v[3:4]
	global_store_dwordx2 v[5:6], v[0:1], off
.LBB138_15:
	s_endpgm
	.section	.rodata,"a",@progbits
	.p2align	6, 0x0
	.amdhsa_kernel _ZN9rocsparseL19gebsrmvn_1xn_kernelILj128ELj14ELj16EdEEvi20rocsparse_direction_NS_24const_host_device_scalarIT2_EEPKiS6_PKS3_S8_S4_PS3_21rocsparse_index_base_b
		.amdhsa_group_segment_fixed_size 0
		.amdhsa_private_segment_fixed_size 0
		.amdhsa_kernarg_size 72
		.amdhsa_user_sgpr_count 6
		.amdhsa_user_sgpr_private_segment_buffer 1
		.amdhsa_user_sgpr_dispatch_ptr 0
		.amdhsa_user_sgpr_queue_ptr 0
		.amdhsa_user_sgpr_kernarg_segment_ptr 1
		.amdhsa_user_sgpr_dispatch_id 0
		.amdhsa_user_sgpr_flat_scratch_init 0
		.amdhsa_user_sgpr_private_segment_size 0
		.amdhsa_wavefront_size32 1
		.amdhsa_uses_dynamic_stack 0
		.amdhsa_system_sgpr_private_segment_wavefront_offset 0
		.amdhsa_system_sgpr_workgroup_id_x 1
		.amdhsa_system_sgpr_workgroup_id_y 0
		.amdhsa_system_sgpr_workgroup_id_z 0
		.amdhsa_system_sgpr_workgroup_info 0
		.amdhsa_system_vgpr_workitem_id 0
		.amdhsa_next_free_vgpr 65
		.amdhsa_next_free_sgpr 11
		.amdhsa_reserve_vcc 1
		.amdhsa_reserve_flat_scratch 0
		.amdhsa_float_round_mode_32 0
		.amdhsa_float_round_mode_16_64 0
		.amdhsa_float_denorm_mode_32 3
		.amdhsa_float_denorm_mode_16_64 3
		.amdhsa_dx10_clamp 1
		.amdhsa_ieee_mode 1
		.amdhsa_fp16_overflow 0
		.amdhsa_workgroup_processor_mode 1
		.amdhsa_memory_ordered 1
		.amdhsa_forward_progress 1
		.amdhsa_shared_vgpr_count 0
		.amdhsa_exception_fp_ieee_invalid_op 0
		.amdhsa_exception_fp_denorm_src 0
		.amdhsa_exception_fp_ieee_div_zero 0
		.amdhsa_exception_fp_ieee_overflow 0
		.amdhsa_exception_fp_ieee_underflow 0
		.amdhsa_exception_fp_ieee_inexact 0
		.amdhsa_exception_int_div_zero 0
	.end_amdhsa_kernel
	.section	.text._ZN9rocsparseL19gebsrmvn_1xn_kernelILj128ELj14ELj16EdEEvi20rocsparse_direction_NS_24const_host_device_scalarIT2_EEPKiS6_PKS3_S8_S4_PS3_21rocsparse_index_base_b,"axG",@progbits,_ZN9rocsparseL19gebsrmvn_1xn_kernelILj128ELj14ELj16EdEEvi20rocsparse_direction_NS_24const_host_device_scalarIT2_EEPKiS6_PKS3_S8_S4_PS3_21rocsparse_index_base_b,comdat
.Lfunc_end138:
	.size	_ZN9rocsparseL19gebsrmvn_1xn_kernelILj128ELj14ELj16EdEEvi20rocsparse_direction_NS_24const_host_device_scalarIT2_EEPKiS6_PKS3_S8_S4_PS3_21rocsparse_index_base_b, .Lfunc_end138-_ZN9rocsparseL19gebsrmvn_1xn_kernelILj128ELj14ELj16EdEEvi20rocsparse_direction_NS_24const_host_device_scalarIT2_EEPKiS6_PKS3_S8_S4_PS3_21rocsparse_index_base_b
                                        ; -- End function
	.set _ZN9rocsparseL19gebsrmvn_1xn_kernelILj128ELj14ELj16EdEEvi20rocsparse_direction_NS_24const_host_device_scalarIT2_EEPKiS6_PKS3_S8_S4_PS3_21rocsparse_index_base_b.num_vgpr, 65
	.set _ZN9rocsparseL19gebsrmvn_1xn_kernelILj128ELj14ELj16EdEEvi20rocsparse_direction_NS_24const_host_device_scalarIT2_EEPKiS6_PKS3_S8_S4_PS3_21rocsparse_index_base_b.num_agpr, 0
	.set _ZN9rocsparseL19gebsrmvn_1xn_kernelILj128ELj14ELj16EdEEvi20rocsparse_direction_NS_24const_host_device_scalarIT2_EEPKiS6_PKS3_S8_S4_PS3_21rocsparse_index_base_b.numbered_sgpr, 11
	.set _ZN9rocsparseL19gebsrmvn_1xn_kernelILj128ELj14ELj16EdEEvi20rocsparse_direction_NS_24const_host_device_scalarIT2_EEPKiS6_PKS3_S8_S4_PS3_21rocsparse_index_base_b.num_named_barrier, 0
	.set _ZN9rocsparseL19gebsrmvn_1xn_kernelILj128ELj14ELj16EdEEvi20rocsparse_direction_NS_24const_host_device_scalarIT2_EEPKiS6_PKS3_S8_S4_PS3_21rocsparse_index_base_b.private_seg_size, 0
	.set _ZN9rocsparseL19gebsrmvn_1xn_kernelILj128ELj14ELj16EdEEvi20rocsparse_direction_NS_24const_host_device_scalarIT2_EEPKiS6_PKS3_S8_S4_PS3_21rocsparse_index_base_b.uses_vcc, 1
	.set _ZN9rocsparseL19gebsrmvn_1xn_kernelILj128ELj14ELj16EdEEvi20rocsparse_direction_NS_24const_host_device_scalarIT2_EEPKiS6_PKS3_S8_S4_PS3_21rocsparse_index_base_b.uses_flat_scratch, 0
	.set _ZN9rocsparseL19gebsrmvn_1xn_kernelILj128ELj14ELj16EdEEvi20rocsparse_direction_NS_24const_host_device_scalarIT2_EEPKiS6_PKS3_S8_S4_PS3_21rocsparse_index_base_b.has_dyn_sized_stack, 0
	.set _ZN9rocsparseL19gebsrmvn_1xn_kernelILj128ELj14ELj16EdEEvi20rocsparse_direction_NS_24const_host_device_scalarIT2_EEPKiS6_PKS3_S8_S4_PS3_21rocsparse_index_base_b.has_recursion, 0
	.set _ZN9rocsparseL19gebsrmvn_1xn_kernelILj128ELj14ELj16EdEEvi20rocsparse_direction_NS_24const_host_device_scalarIT2_EEPKiS6_PKS3_S8_S4_PS3_21rocsparse_index_base_b.has_indirect_call, 0
	.section	.AMDGPU.csdata,"",@progbits
; Kernel info:
; codeLenInByte = 1604
; TotalNumSgprs: 13
; NumVgprs: 65
; ScratchSize: 0
; MemoryBound: 0
; FloatMode: 240
; IeeeMode: 1
; LDSByteSize: 0 bytes/workgroup (compile time only)
; SGPRBlocks: 0
; VGPRBlocks: 8
; NumSGPRsForWavesPerEU: 13
; NumVGPRsForWavesPerEU: 65
; Occupancy: 12
; WaveLimiterHint : 1
; COMPUTE_PGM_RSRC2:SCRATCH_EN: 0
; COMPUTE_PGM_RSRC2:USER_SGPR: 6
; COMPUTE_PGM_RSRC2:TRAP_HANDLER: 0
; COMPUTE_PGM_RSRC2:TGID_X_EN: 1
; COMPUTE_PGM_RSRC2:TGID_Y_EN: 0
; COMPUTE_PGM_RSRC2:TGID_Z_EN: 0
; COMPUTE_PGM_RSRC2:TIDIG_COMP_CNT: 0
	.section	.text._ZN9rocsparseL19gebsrmvn_1xn_kernelILj128ELj14ELj32EdEEvi20rocsparse_direction_NS_24const_host_device_scalarIT2_EEPKiS6_PKS3_S8_S4_PS3_21rocsparse_index_base_b,"axG",@progbits,_ZN9rocsparseL19gebsrmvn_1xn_kernelILj128ELj14ELj32EdEEvi20rocsparse_direction_NS_24const_host_device_scalarIT2_EEPKiS6_PKS3_S8_S4_PS3_21rocsparse_index_base_b,comdat
	.globl	_ZN9rocsparseL19gebsrmvn_1xn_kernelILj128ELj14ELj32EdEEvi20rocsparse_direction_NS_24const_host_device_scalarIT2_EEPKiS6_PKS3_S8_S4_PS3_21rocsparse_index_base_b ; -- Begin function _ZN9rocsparseL19gebsrmvn_1xn_kernelILj128ELj14ELj32EdEEvi20rocsparse_direction_NS_24const_host_device_scalarIT2_EEPKiS6_PKS3_S8_S4_PS3_21rocsparse_index_base_b
	.p2align	8
	.type	_ZN9rocsparseL19gebsrmvn_1xn_kernelILj128ELj14ELj32EdEEvi20rocsparse_direction_NS_24const_host_device_scalarIT2_EEPKiS6_PKS3_S8_S4_PS3_21rocsparse_index_base_b,@function
_ZN9rocsparseL19gebsrmvn_1xn_kernelILj128ELj14ELj32EdEEvi20rocsparse_direction_NS_24const_host_device_scalarIT2_EEPKiS6_PKS3_S8_S4_PS3_21rocsparse_index_base_b: ; @_ZN9rocsparseL19gebsrmvn_1xn_kernelILj128ELj14ELj32EdEEvi20rocsparse_direction_NS_24const_host_device_scalarIT2_EEPKiS6_PKS3_S8_S4_PS3_21rocsparse_index_base_b
; %bb.0:
	s_clause 0x2
	s_load_dwordx2 s[8:9], s[4:5], 0x40
	s_load_dwordx2 s[2:3], s[4:5], 0x8
	;; [unrolled: 1-line block ×3, first 2 shown]
	s_waitcnt lgkmcnt(0)
	s_bitcmp1_b32 s9, 0
	v_mov_b32_e32 v4, s3
	v_mov_b32_e32 v3, s2
	s_cselect_b32 s7, -1, 0
	s_and_b32 vcc_lo, exec_lo, s7
	s_xor_b32 s7, s7, -1
	s_cbranch_vccnz .LBB139_2
; %bb.1:
	v_mov_b32_e32 v1, s2
	v_mov_b32_e32 v2, s3
	flat_load_dwordx2 v[3:4], v[1:2]
.LBB139_2:
	v_mov_b32_e32 v2, s1
	v_mov_b32_e32 v1, s0
	s_andn2_b32 vcc_lo, exec_lo, s7
	s_cbranch_vccnz .LBB139_4
; %bb.3:
	v_mov_b32_e32 v2, s1
	v_mov_b32_e32 v1, s0
	flat_load_dwordx2 v[1:2], v[1:2]
.LBB139_4:
	s_waitcnt vmcnt(0) lgkmcnt(0)
	v_cmp_neq_f64_e32 vcc_lo, 0, v[3:4]
	v_cmp_neq_f64_e64 s0, 1.0, v[1:2]
	s_or_b32 s0, vcc_lo, s0
	s_and_saveexec_b32 s1, s0
	s_cbranch_execz .LBB139_15
; %bb.5:
	s_load_dword s0, s[4:5], 0x0
	v_lshrrev_b32_e32 v5, 5, v0
	v_lshl_or_b32 v5, s6, 2, v5
	s_waitcnt lgkmcnt(0)
	v_cmp_gt_i32_e32 vcc_lo, s0, v5
	s_and_b32 exec_lo, exec_lo, vcc_lo
	s_cbranch_execz .LBB139_15
; %bb.6:
	s_clause 0x1
	s_load_dwordx2 s[0:1], s[4:5], 0x10
	s_load_dwordx2 s[6:7], s[4:5], 0x38
	v_ashrrev_i32_e32 v6, 31, v5
	v_and_b32_e32 v0, 31, v0
	v_mov_b32_e32 v12, 0
	v_mov_b32_e32 v13, 0
	s_mov_b32 s9, exec_lo
	v_lshlrev_b64 v[7:8], 2, v[5:6]
	v_subrev_nc_u32_e32 v9, s8, v0
	s_waitcnt lgkmcnt(0)
	v_add_co_u32 v7, vcc_lo, s0, v7
	v_add_co_ci_u32_e64 v8, null, s1, v8, vcc_lo
	global_load_dwordx2 v[7:8], v[7:8], off
	s_waitcnt vmcnt(0)
	v_subrev_nc_u32_e32 v14, s8, v8
	v_add_nc_u32_e32 v7, v7, v9
	v_cmpx_lt_i32_e64 v7, v14
	s_cbranch_execz .LBB139_10
; %bb.7:
	s_clause 0x1
	s_load_dwordx4 s[0:3], s[4:5], 0x18
	s_load_dwordx2 s[4:5], s[4:5], 0x28
	v_mad_u64_u32 v[9:10], null, v7, 14, 13
	v_mov_b32_e32 v12, 0
	v_mov_b32_e32 v13, 0
	;; [unrolled: 1-line block ×3, first 2 shown]
	s_mov_b32 s10, 0
.LBB139_8:                              ; =>This Inner Loop Header: Depth=1
	v_ashrrev_i32_e32 v8, 31, v7
	v_add_nc_u32_e32 v10, -13, v9
	v_mov_b32_e32 v40, v11
	v_lshlrev_b64 v[15:16], 2, v[7:8]
	v_add_nc_u32_e32 v7, 32, v7
	s_waitcnt lgkmcnt(0)
	v_add_co_u32 v15, vcc_lo, s0, v15
	v_add_co_ci_u32_e64 v16, null, s1, v16, vcc_lo
	global_load_dword v8, v[15:16], off
	v_lshlrev_b64 v[15:16], 3, v[10:11]
	v_add_nc_u32_e32 v10, -11, v9
	v_lshlrev_b64 v[23:24], 3, v[10:11]
	v_add_co_u32 v15, vcc_lo, s2, v15
	v_add_co_ci_u32_e64 v16, null, s3, v16, vcc_lo
	global_load_dwordx4 v[15:18], v[15:16], off
	s_waitcnt vmcnt(1)
	v_subrev_nc_u32_e32 v8, s8, v8
	v_mul_lo_u32 v39, v8, 14
	v_lshlrev_b64 v[19:20], 3, v[39:40]
	v_add_nc_u32_e32 v10, 2, v39
	v_lshlrev_b64 v[25:26], 3, v[10:11]
	v_add_co_u32 v19, vcc_lo, s4, v19
	v_add_co_ci_u32_e64 v20, null, s5, v20, vcc_lo
	v_add_co_u32 v23, vcc_lo, s2, v23
	v_add_co_ci_u32_e64 v24, null, s3, v24, vcc_lo
	global_load_dwordx4 v[19:22], v[19:20], off
	v_add_co_u32 v25, vcc_lo, s4, v25
	v_add_co_ci_u32_e64 v26, null, s5, v26, vcc_lo
	global_load_dwordx2 v[43:44], v[23:24], off
	global_load_dwordx4 v[23:26], v[25:26], off
	v_add_nc_u32_e32 v10, -10, v9
	v_lshlrev_b64 v[27:28], 3, v[10:11]
	v_add_nc_u32_e32 v10, -9, v9
	v_add_co_u32 v27, vcc_lo, s2, v27
	v_add_co_ci_u32_e64 v28, null, s3, v28, vcc_lo
	global_load_dwordx2 v[45:46], v[27:28], off
	v_lshlrev_b64 v[27:28], 3, v[10:11]
	v_add_nc_u32_e32 v10, 4, v39
	v_lshlrev_b64 v[29:30], 3, v[10:11]
	v_add_co_u32 v27, vcc_lo, s2, v27
	v_add_co_ci_u32_e64 v28, null, s3, v28, vcc_lo
	v_add_nc_u32_e32 v10, -8, v9
	v_add_co_u32 v29, vcc_lo, s4, v29
	v_add_co_ci_u32_e64 v30, null, s5, v30, vcc_lo
	global_load_dwordx2 v[47:48], v[27:28], off
	global_load_dwordx4 v[27:30], v[29:30], off
	v_lshlrev_b64 v[31:32], 3, v[10:11]
	v_add_nc_u32_e32 v10, -7, v9
	v_add_co_u32 v31, vcc_lo, s2, v31
	v_add_co_ci_u32_e64 v32, null, s3, v32, vcc_lo
	global_load_dwordx2 v[49:50], v[31:32], off
	v_lshlrev_b64 v[31:32], 3, v[10:11]
	v_add_nc_u32_e32 v10, 6, v39
	v_lshlrev_b64 v[33:34], 3, v[10:11]
	v_add_co_u32 v31, vcc_lo, s2, v31
	v_add_co_ci_u32_e64 v32, null, s3, v32, vcc_lo
	v_add_nc_u32_e32 v10, -6, v9
	v_add_co_u32 v33, vcc_lo, s4, v33
	v_add_co_ci_u32_e64 v34, null, s5, v34, vcc_lo
	global_load_dwordx2 v[51:52], v[31:32], off
	global_load_dwordx4 v[31:34], v[33:34], off
	;; [unrolled: 15-line block ×3, first 2 shown]
	v_lshlrev_b64 v[40:41], 3, v[10:11]
	v_add_nc_u32_e32 v10, -3, v9
	v_lshlrev_b64 v[57:58], 3, v[10:11]
	v_add_co_u32 v40, vcc_lo, s2, v40
	v_add_co_ci_u32_e64 v41, null, s3, v41, vcc_lo
	v_add_nc_u32_e32 v10, 10, v39
	v_add_co_u32 v57, vcc_lo, s2, v57
	global_load_dwordx2 v[59:60], v[40:41], off
	v_add_co_ci_u32_e64 v58, null, s3, v58, vcc_lo
	global_load_dwordx2 v[57:58], v[57:58], off
	v_lshlrev_b64 v[40:41], 3, v[10:11]
	v_add_nc_u32_e32 v10, -2, v9
	v_lshlrev_b64 v[61:62], 3, v[10:11]
	v_add_co_u32 v40, vcc_lo, s4, v40
	v_add_co_ci_u32_e64 v41, null, s5, v41, vcc_lo
	v_add_nc_u32_e32 v10, -1, v9
	v_add_co_u32 v61, vcc_lo, s2, v61
	v_add_co_ci_u32_e64 v62, null, s3, v62, vcc_lo
	v_lshlrev_b64 v[63:64], 3, v[10:11]
	v_add_nc_u32_e32 v10, 12, v39
	global_load_dwordx4 v[39:42], v[40:41], off
	global_load_dwordx2 v[61:62], v[61:62], off
	s_waitcnt vmcnt(15)
	v_fma_f64 v[12:13], v[15:16], v[19:20], v[12:13]
	v_lshlrev_b64 v[15:16], 3, v[10:11]
	v_mov_b32_e32 v10, v11
	v_fma_f64 v[12:13], v[17:18], v[21:22], v[12:13]
	v_add_co_u32 v17, vcc_lo, s2, v63
	v_add_co_ci_u32_e64 v18, null, s3, v64, vcc_lo
	v_add_co_u32 v15, vcc_lo, s4, v15
	v_add_co_ci_u32_e64 v16, null, s5, v16, vcc_lo
	global_load_dwordx2 v[19:20], v[17:18], off
	global_load_dwordx4 v[15:18], v[15:16], off
	v_lshlrev_b64 v[21:22], 3, v[9:10]
	v_add_nc_u32_e32 v9, 0x1c0, v9
	v_add_co_u32 v21, vcc_lo, s2, v21
	v_add_co_ci_u32_e64 v22, null, s3, v22, vcc_lo
	s_waitcnt vmcnt(15)
	v_fma_f64 v[12:13], v[43:44], v[23:24], v[12:13]
	v_cmp_ge_i32_e32 vcc_lo, v7, v14
	global_load_dwordx2 v[21:22], v[21:22], off
	s_or_b32 s10, vcc_lo, s10
	s_waitcnt vmcnt(15)
	v_fma_f64 v[12:13], v[45:46], v[25:26], v[12:13]
	s_waitcnt vmcnt(13)
	v_fma_f64 v[12:13], v[47:48], v[27:28], v[12:13]
	;; [unrolled: 2-line block ×11, first 2 shown]
	s_andn2_b32 exec_lo, exec_lo, s10
	s_cbranch_execnz .LBB139_8
; %bb.9:
	s_or_b32 exec_lo, exec_lo, s10
.LBB139_10:
	s_or_b32 exec_lo, exec_lo, s9
	v_mbcnt_lo_u32_b32 v11, -1, 0
	v_xor_b32_e32 v7, 16, v11
	v_xor_b32_e32 v9, 8, v11
	v_cmp_gt_i32_e32 vcc_lo, 32, v7
	v_cndmask_b32_e32 v7, v11, v7, vcc_lo
	v_cmp_gt_i32_e32 vcc_lo, 32, v9
	v_lshlrev_b32_e32 v8, 2, v7
	v_cndmask_b32_e32 v9, v11, v9, vcc_lo
	ds_bpermute_b32 v7, v8, v12
	ds_bpermute_b32 v8, v8, v13
	v_lshlrev_b32_e32 v10, 2, v9
	s_waitcnt lgkmcnt(0)
	v_add_f64 v[7:8], v[12:13], v[7:8]
	ds_bpermute_b32 v9, v10, v7
	ds_bpermute_b32 v10, v10, v8
	s_waitcnt lgkmcnt(0)
	v_add_f64 v[7:8], v[7:8], v[9:10]
	v_xor_b32_e32 v9, 4, v11
	v_cmp_gt_i32_e32 vcc_lo, 32, v9
	v_cndmask_b32_e32 v9, v11, v9, vcc_lo
	v_lshlrev_b32_e32 v10, 2, v9
	ds_bpermute_b32 v9, v10, v7
	ds_bpermute_b32 v10, v10, v8
	s_waitcnt lgkmcnt(0)
	v_add_f64 v[7:8], v[7:8], v[9:10]
	v_xor_b32_e32 v9, 2, v11
	v_cmp_gt_i32_e32 vcc_lo, 32, v9
	v_cndmask_b32_e32 v9, v11, v9, vcc_lo
	v_lshlrev_b32_e32 v10, 2, v9
	ds_bpermute_b32 v9, v10, v7
	ds_bpermute_b32 v10, v10, v8
	s_waitcnt lgkmcnt(0)
	v_add_f64 v[7:8], v[7:8], v[9:10]
	v_xor_b32_e32 v9, 1, v11
	v_cmp_gt_i32_e32 vcc_lo, 32, v9
	v_cndmask_b32_e32 v9, v11, v9, vcc_lo
	v_cmp_eq_u32_e32 vcc_lo, 31, v0
	v_lshlrev_b32_e32 v10, 2, v9
	ds_bpermute_b32 v9, v10, v7
	ds_bpermute_b32 v10, v10, v8
	s_and_b32 exec_lo, exec_lo, vcc_lo
	s_cbranch_execz .LBB139_15
; %bb.11:
	s_waitcnt lgkmcnt(0)
	v_add_f64 v[7:8], v[7:8], v[9:10]
	v_lshlrev_b64 v[5:6], 3, v[5:6]
	s_mov_b32 s0, exec_lo
	v_mul_f64 v[3:4], v[3:4], v[7:8]
	v_cmpx_eq_f64_e32 0, v[1:2]
	s_xor_b32 s0, exec_lo, s0
	s_cbranch_execz .LBB139_13
; %bb.12:
	v_add_co_u32 v0, vcc_lo, s6, v5
	v_add_co_ci_u32_e64 v1, null, s7, v6, vcc_lo
                                        ; implicit-def: $vgpr5_vgpr6
	global_store_dwordx2 v[0:1], v[3:4], off
                                        ; implicit-def: $vgpr1_vgpr2
                                        ; implicit-def: $vgpr3_vgpr4
.LBB139_13:
	s_andn2_saveexec_b32 s0, s0
	s_cbranch_execz .LBB139_15
; %bb.14:
	v_add_co_u32 v5, vcc_lo, s6, v5
	v_add_co_ci_u32_e64 v6, null, s7, v6, vcc_lo
	global_load_dwordx2 v[7:8], v[5:6], off
	s_waitcnt vmcnt(0)
	v_fma_f64 v[0:1], v[1:2], v[7:8], v[3:4]
	global_store_dwordx2 v[5:6], v[0:1], off
.LBB139_15:
	s_endpgm
	.section	.rodata,"a",@progbits
	.p2align	6, 0x0
	.amdhsa_kernel _ZN9rocsparseL19gebsrmvn_1xn_kernelILj128ELj14ELj32EdEEvi20rocsparse_direction_NS_24const_host_device_scalarIT2_EEPKiS6_PKS3_S8_S4_PS3_21rocsparse_index_base_b
		.amdhsa_group_segment_fixed_size 0
		.amdhsa_private_segment_fixed_size 0
		.amdhsa_kernarg_size 72
		.amdhsa_user_sgpr_count 6
		.amdhsa_user_sgpr_private_segment_buffer 1
		.amdhsa_user_sgpr_dispatch_ptr 0
		.amdhsa_user_sgpr_queue_ptr 0
		.amdhsa_user_sgpr_kernarg_segment_ptr 1
		.amdhsa_user_sgpr_dispatch_id 0
		.amdhsa_user_sgpr_flat_scratch_init 0
		.amdhsa_user_sgpr_private_segment_size 0
		.amdhsa_wavefront_size32 1
		.amdhsa_uses_dynamic_stack 0
		.amdhsa_system_sgpr_private_segment_wavefront_offset 0
		.amdhsa_system_sgpr_workgroup_id_x 1
		.amdhsa_system_sgpr_workgroup_id_y 0
		.amdhsa_system_sgpr_workgroup_id_z 0
		.amdhsa_system_sgpr_workgroup_info 0
		.amdhsa_system_vgpr_workitem_id 0
		.amdhsa_next_free_vgpr 65
		.amdhsa_next_free_sgpr 11
		.amdhsa_reserve_vcc 1
		.amdhsa_reserve_flat_scratch 0
		.amdhsa_float_round_mode_32 0
		.amdhsa_float_round_mode_16_64 0
		.amdhsa_float_denorm_mode_32 3
		.amdhsa_float_denorm_mode_16_64 3
		.amdhsa_dx10_clamp 1
		.amdhsa_ieee_mode 1
		.amdhsa_fp16_overflow 0
		.amdhsa_workgroup_processor_mode 1
		.amdhsa_memory_ordered 1
		.amdhsa_forward_progress 1
		.amdhsa_shared_vgpr_count 0
		.amdhsa_exception_fp_ieee_invalid_op 0
		.amdhsa_exception_fp_denorm_src 0
		.amdhsa_exception_fp_ieee_div_zero 0
		.amdhsa_exception_fp_ieee_overflow 0
		.amdhsa_exception_fp_ieee_underflow 0
		.amdhsa_exception_fp_ieee_inexact 0
		.amdhsa_exception_int_div_zero 0
	.end_amdhsa_kernel
	.section	.text._ZN9rocsparseL19gebsrmvn_1xn_kernelILj128ELj14ELj32EdEEvi20rocsparse_direction_NS_24const_host_device_scalarIT2_EEPKiS6_PKS3_S8_S4_PS3_21rocsparse_index_base_b,"axG",@progbits,_ZN9rocsparseL19gebsrmvn_1xn_kernelILj128ELj14ELj32EdEEvi20rocsparse_direction_NS_24const_host_device_scalarIT2_EEPKiS6_PKS3_S8_S4_PS3_21rocsparse_index_base_b,comdat
.Lfunc_end139:
	.size	_ZN9rocsparseL19gebsrmvn_1xn_kernelILj128ELj14ELj32EdEEvi20rocsparse_direction_NS_24const_host_device_scalarIT2_EEPKiS6_PKS3_S8_S4_PS3_21rocsparse_index_base_b, .Lfunc_end139-_ZN9rocsparseL19gebsrmvn_1xn_kernelILj128ELj14ELj32EdEEvi20rocsparse_direction_NS_24const_host_device_scalarIT2_EEPKiS6_PKS3_S8_S4_PS3_21rocsparse_index_base_b
                                        ; -- End function
	.set _ZN9rocsparseL19gebsrmvn_1xn_kernelILj128ELj14ELj32EdEEvi20rocsparse_direction_NS_24const_host_device_scalarIT2_EEPKiS6_PKS3_S8_S4_PS3_21rocsparse_index_base_b.num_vgpr, 65
	.set _ZN9rocsparseL19gebsrmvn_1xn_kernelILj128ELj14ELj32EdEEvi20rocsparse_direction_NS_24const_host_device_scalarIT2_EEPKiS6_PKS3_S8_S4_PS3_21rocsparse_index_base_b.num_agpr, 0
	.set _ZN9rocsparseL19gebsrmvn_1xn_kernelILj128ELj14ELj32EdEEvi20rocsparse_direction_NS_24const_host_device_scalarIT2_EEPKiS6_PKS3_S8_S4_PS3_21rocsparse_index_base_b.numbered_sgpr, 11
	.set _ZN9rocsparseL19gebsrmvn_1xn_kernelILj128ELj14ELj32EdEEvi20rocsparse_direction_NS_24const_host_device_scalarIT2_EEPKiS6_PKS3_S8_S4_PS3_21rocsparse_index_base_b.num_named_barrier, 0
	.set _ZN9rocsparseL19gebsrmvn_1xn_kernelILj128ELj14ELj32EdEEvi20rocsparse_direction_NS_24const_host_device_scalarIT2_EEPKiS6_PKS3_S8_S4_PS3_21rocsparse_index_base_b.private_seg_size, 0
	.set _ZN9rocsparseL19gebsrmvn_1xn_kernelILj128ELj14ELj32EdEEvi20rocsparse_direction_NS_24const_host_device_scalarIT2_EEPKiS6_PKS3_S8_S4_PS3_21rocsparse_index_base_b.uses_vcc, 1
	.set _ZN9rocsparseL19gebsrmvn_1xn_kernelILj128ELj14ELj32EdEEvi20rocsparse_direction_NS_24const_host_device_scalarIT2_EEPKiS6_PKS3_S8_S4_PS3_21rocsparse_index_base_b.uses_flat_scratch, 0
	.set _ZN9rocsparseL19gebsrmvn_1xn_kernelILj128ELj14ELj32EdEEvi20rocsparse_direction_NS_24const_host_device_scalarIT2_EEPKiS6_PKS3_S8_S4_PS3_21rocsparse_index_base_b.has_dyn_sized_stack, 0
	.set _ZN9rocsparseL19gebsrmvn_1xn_kernelILj128ELj14ELj32EdEEvi20rocsparse_direction_NS_24const_host_device_scalarIT2_EEPKiS6_PKS3_S8_S4_PS3_21rocsparse_index_base_b.has_recursion, 0
	.set _ZN9rocsparseL19gebsrmvn_1xn_kernelILj128ELj14ELj32EdEEvi20rocsparse_direction_NS_24const_host_device_scalarIT2_EEPKiS6_PKS3_S8_S4_PS3_21rocsparse_index_base_b.has_indirect_call, 0
	.section	.AMDGPU.csdata,"",@progbits
; Kernel info:
; codeLenInByte = 1648
; TotalNumSgprs: 13
; NumVgprs: 65
; ScratchSize: 0
; MemoryBound: 0
; FloatMode: 240
; IeeeMode: 1
; LDSByteSize: 0 bytes/workgroup (compile time only)
; SGPRBlocks: 0
; VGPRBlocks: 8
; NumSGPRsForWavesPerEU: 13
; NumVGPRsForWavesPerEU: 65
; Occupancy: 12
; WaveLimiterHint : 1
; COMPUTE_PGM_RSRC2:SCRATCH_EN: 0
; COMPUTE_PGM_RSRC2:USER_SGPR: 6
; COMPUTE_PGM_RSRC2:TRAP_HANDLER: 0
; COMPUTE_PGM_RSRC2:TGID_X_EN: 1
; COMPUTE_PGM_RSRC2:TGID_Y_EN: 0
; COMPUTE_PGM_RSRC2:TGID_Z_EN: 0
; COMPUTE_PGM_RSRC2:TIDIG_COMP_CNT: 0
	.section	.text._ZN9rocsparseL19gebsrmvn_1xn_kernelILj128ELj14ELj64EdEEvi20rocsparse_direction_NS_24const_host_device_scalarIT2_EEPKiS6_PKS3_S8_S4_PS3_21rocsparse_index_base_b,"axG",@progbits,_ZN9rocsparseL19gebsrmvn_1xn_kernelILj128ELj14ELj64EdEEvi20rocsparse_direction_NS_24const_host_device_scalarIT2_EEPKiS6_PKS3_S8_S4_PS3_21rocsparse_index_base_b,comdat
	.globl	_ZN9rocsparseL19gebsrmvn_1xn_kernelILj128ELj14ELj64EdEEvi20rocsparse_direction_NS_24const_host_device_scalarIT2_EEPKiS6_PKS3_S8_S4_PS3_21rocsparse_index_base_b ; -- Begin function _ZN9rocsparseL19gebsrmvn_1xn_kernelILj128ELj14ELj64EdEEvi20rocsparse_direction_NS_24const_host_device_scalarIT2_EEPKiS6_PKS3_S8_S4_PS3_21rocsparse_index_base_b
	.p2align	8
	.type	_ZN9rocsparseL19gebsrmvn_1xn_kernelILj128ELj14ELj64EdEEvi20rocsparse_direction_NS_24const_host_device_scalarIT2_EEPKiS6_PKS3_S8_S4_PS3_21rocsparse_index_base_b,@function
_ZN9rocsparseL19gebsrmvn_1xn_kernelILj128ELj14ELj64EdEEvi20rocsparse_direction_NS_24const_host_device_scalarIT2_EEPKiS6_PKS3_S8_S4_PS3_21rocsparse_index_base_b: ; @_ZN9rocsparseL19gebsrmvn_1xn_kernelILj128ELj14ELj64EdEEvi20rocsparse_direction_NS_24const_host_device_scalarIT2_EEPKiS6_PKS3_S8_S4_PS3_21rocsparse_index_base_b
; %bb.0:
	s_clause 0x2
	s_load_dwordx2 s[8:9], s[4:5], 0x40
	s_load_dwordx2 s[2:3], s[4:5], 0x8
	;; [unrolled: 1-line block ×3, first 2 shown]
	s_waitcnt lgkmcnt(0)
	s_bitcmp1_b32 s9, 0
	v_mov_b32_e32 v4, s3
	v_mov_b32_e32 v3, s2
	s_cselect_b32 s7, -1, 0
	s_and_b32 vcc_lo, exec_lo, s7
	s_xor_b32 s7, s7, -1
	s_cbranch_vccnz .LBB140_2
; %bb.1:
	v_mov_b32_e32 v1, s2
	v_mov_b32_e32 v2, s3
	flat_load_dwordx2 v[3:4], v[1:2]
.LBB140_2:
	v_mov_b32_e32 v2, s1
	v_mov_b32_e32 v1, s0
	s_andn2_b32 vcc_lo, exec_lo, s7
	s_cbranch_vccnz .LBB140_4
; %bb.3:
	v_mov_b32_e32 v2, s1
	v_mov_b32_e32 v1, s0
	flat_load_dwordx2 v[1:2], v[1:2]
.LBB140_4:
	s_waitcnt vmcnt(0) lgkmcnt(0)
	v_cmp_neq_f64_e32 vcc_lo, 0, v[3:4]
	v_cmp_neq_f64_e64 s0, 1.0, v[1:2]
	s_or_b32 s0, vcc_lo, s0
	s_and_saveexec_b32 s1, s0
	s_cbranch_execz .LBB140_15
; %bb.5:
	s_load_dword s0, s[4:5], 0x0
	v_lshrrev_b32_e32 v5, 6, v0
	v_lshl_or_b32 v5, s6, 1, v5
	s_waitcnt lgkmcnt(0)
	v_cmp_gt_i32_e32 vcc_lo, s0, v5
	s_and_b32 exec_lo, exec_lo, vcc_lo
	s_cbranch_execz .LBB140_15
; %bb.6:
	s_clause 0x1
	s_load_dwordx2 s[0:1], s[4:5], 0x10
	s_load_dwordx2 s[6:7], s[4:5], 0x38
	v_ashrrev_i32_e32 v6, 31, v5
	v_and_b32_e32 v0, 63, v0
	v_mov_b32_e32 v12, 0
	v_mov_b32_e32 v13, 0
	s_mov_b32 s9, exec_lo
	v_lshlrev_b64 v[7:8], 2, v[5:6]
	v_subrev_nc_u32_e32 v9, s8, v0
	s_waitcnt lgkmcnt(0)
	v_add_co_u32 v7, vcc_lo, s0, v7
	v_add_co_ci_u32_e64 v8, null, s1, v8, vcc_lo
	global_load_dwordx2 v[7:8], v[7:8], off
	s_waitcnt vmcnt(0)
	v_subrev_nc_u32_e32 v14, s8, v8
	v_add_nc_u32_e32 v7, v7, v9
	v_cmpx_lt_i32_e64 v7, v14
	s_cbranch_execz .LBB140_10
; %bb.7:
	s_clause 0x1
	s_load_dwordx4 s[0:3], s[4:5], 0x18
	s_load_dwordx2 s[4:5], s[4:5], 0x28
	v_mad_u64_u32 v[9:10], null, v7, 14, 13
	v_mov_b32_e32 v12, 0
	v_mov_b32_e32 v13, 0
	;; [unrolled: 1-line block ×3, first 2 shown]
	s_mov_b32 s10, 0
.LBB140_8:                              ; =>This Inner Loop Header: Depth=1
	v_ashrrev_i32_e32 v8, 31, v7
	v_add_nc_u32_e32 v10, -13, v9
	v_mov_b32_e32 v40, v11
	v_lshlrev_b64 v[15:16], 2, v[7:8]
	v_add_nc_u32_e32 v7, 64, v7
	s_waitcnt lgkmcnt(0)
	v_add_co_u32 v15, vcc_lo, s0, v15
	v_add_co_ci_u32_e64 v16, null, s1, v16, vcc_lo
	global_load_dword v8, v[15:16], off
	v_lshlrev_b64 v[15:16], 3, v[10:11]
	v_add_nc_u32_e32 v10, -11, v9
	v_lshlrev_b64 v[23:24], 3, v[10:11]
	v_add_co_u32 v15, vcc_lo, s2, v15
	v_add_co_ci_u32_e64 v16, null, s3, v16, vcc_lo
	global_load_dwordx4 v[15:18], v[15:16], off
	s_waitcnt vmcnt(1)
	v_subrev_nc_u32_e32 v8, s8, v8
	v_mul_lo_u32 v39, v8, 14
	v_lshlrev_b64 v[19:20], 3, v[39:40]
	v_add_nc_u32_e32 v10, 2, v39
	v_lshlrev_b64 v[25:26], 3, v[10:11]
	v_add_co_u32 v19, vcc_lo, s4, v19
	v_add_co_ci_u32_e64 v20, null, s5, v20, vcc_lo
	v_add_co_u32 v23, vcc_lo, s2, v23
	v_add_co_ci_u32_e64 v24, null, s3, v24, vcc_lo
	global_load_dwordx4 v[19:22], v[19:20], off
	v_add_co_u32 v25, vcc_lo, s4, v25
	v_add_co_ci_u32_e64 v26, null, s5, v26, vcc_lo
	global_load_dwordx2 v[43:44], v[23:24], off
	global_load_dwordx4 v[23:26], v[25:26], off
	v_add_nc_u32_e32 v10, -10, v9
	v_lshlrev_b64 v[27:28], 3, v[10:11]
	v_add_nc_u32_e32 v10, -9, v9
	v_add_co_u32 v27, vcc_lo, s2, v27
	v_add_co_ci_u32_e64 v28, null, s3, v28, vcc_lo
	global_load_dwordx2 v[45:46], v[27:28], off
	v_lshlrev_b64 v[27:28], 3, v[10:11]
	v_add_nc_u32_e32 v10, 4, v39
	v_lshlrev_b64 v[29:30], 3, v[10:11]
	v_add_co_u32 v27, vcc_lo, s2, v27
	v_add_co_ci_u32_e64 v28, null, s3, v28, vcc_lo
	v_add_nc_u32_e32 v10, -8, v9
	v_add_co_u32 v29, vcc_lo, s4, v29
	v_add_co_ci_u32_e64 v30, null, s5, v30, vcc_lo
	global_load_dwordx2 v[47:48], v[27:28], off
	global_load_dwordx4 v[27:30], v[29:30], off
	v_lshlrev_b64 v[31:32], 3, v[10:11]
	v_add_nc_u32_e32 v10, -7, v9
	v_add_co_u32 v31, vcc_lo, s2, v31
	v_add_co_ci_u32_e64 v32, null, s3, v32, vcc_lo
	global_load_dwordx2 v[49:50], v[31:32], off
	v_lshlrev_b64 v[31:32], 3, v[10:11]
	v_add_nc_u32_e32 v10, 6, v39
	v_lshlrev_b64 v[33:34], 3, v[10:11]
	v_add_co_u32 v31, vcc_lo, s2, v31
	v_add_co_ci_u32_e64 v32, null, s3, v32, vcc_lo
	v_add_nc_u32_e32 v10, -6, v9
	v_add_co_u32 v33, vcc_lo, s4, v33
	v_add_co_ci_u32_e64 v34, null, s5, v34, vcc_lo
	global_load_dwordx2 v[51:52], v[31:32], off
	global_load_dwordx4 v[31:34], v[33:34], off
	;; [unrolled: 15-line block ×3, first 2 shown]
	v_lshlrev_b64 v[40:41], 3, v[10:11]
	v_add_nc_u32_e32 v10, -3, v9
	v_lshlrev_b64 v[57:58], 3, v[10:11]
	v_add_co_u32 v40, vcc_lo, s2, v40
	v_add_co_ci_u32_e64 v41, null, s3, v41, vcc_lo
	v_add_nc_u32_e32 v10, 10, v39
	v_add_co_u32 v57, vcc_lo, s2, v57
	global_load_dwordx2 v[59:60], v[40:41], off
	v_add_co_ci_u32_e64 v58, null, s3, v58, vcc_lo
	global_load_dwordx2 v[57:58], v[57:58], off
	v_lshlrev_b64 v[40:41], 3, v[10:11]
	v_add_nc_u32_e32 v10, -2, v9
	v_lshlrev_b64 v[61:62], 3, v[10:11]
	v_add_co_u32 v40, vcc_lo, s4, v40
	v_add_co_ci_u32_e64 v41, null, s5, v41, vcc_lo
	v_add_nc_u32_e32 v10, -1, v9
	v_add_co_u32 v61, vcc_lo, s2, v61
	v_add_co_ci_u32_e64 v62, null, s3, v62, vcc_lo
	v_lshlrev_b64 v[63:64], 3, v[10:11]
	v_add_nc_u32_e32 v10, 12, v39
	global_load_dwordx4 v[39:42], v[40:41], off
	global_load_dwordx2 v[61:62], v[61:62], off
	s_waitcnt vmcnt(15)
	v_fma_f64 v[12:13], v[15:16], v[19:20], v[12:13]
	v_lshlrev_b64 v[15:16], 3, v[10:11]
	v_mov_b32_e32 v10, v11
	v_fma_f64 v[12:13], v[17:18], v[21:22], v[12:13]
	v_add_co_u32 v17, vcc_lo, s2, v63
	v_add_co_ci_u32_e64 v18, null, s3, v64, vcc_lo
	v_add_co_u32 v15, vcc_lo, s4, v15
	v_add_co_ci_u32_e64 v16, null, s5, v16, vcc_lo
	global_load_dwordx2 v[19:20], v[17:18], off
	global_load_dwordx4 v[15:18], v[15:16], off
	v_lshlrev_b64 v[21:22], 3, v[9:10]
	v_add_nc_u32_e32 v9, 0x380, v9
	v_add_co_u32 v21, vcc_lo, s2, v21
	v_add_co_ci_u32_e64 v22, null, s3, v22, vcc_lo
	s_waitcnt vmcnt(15)
	v_fma_f64 v[12:13], v[43:44], v[23:24], v[12:13]
	v_cmp_ge_i32_e32 vcc_lo, v7, v14
	global_load_dwordx2 v[21:22], v[21:22], off
	s_or_b32 s10, vcc_lo, s10
	s_waitcnt vmcnt(15)
	v_fma_f64 v[12:13], v[45:46], v[25:26], v[12:13]
	s_waitcnt vmcnt(13)
	v_fma_f64 v[12:13], v[47:48], v[27:28], v[12:13]
	;; [unrolled: 2-line block ×11, first 2 shown]
	s_andn2_b32 exec_lo, exec_lo, s10
	s_cbranch_execnz .LBB140_8
; %bb.9:
	s_or_b32 exec_lo, exec_lo, s10
.LBB140_10:
	s_or_b32 exec_lo, exec_lo, s9
	v_mbcnt_lo_u32_b32 v11, -1, 0
	v_or_b32_e32 v7, 32, v11
	v_xor_b32_e32 v9, 16, v11
	v_cmp_gt_i32_e32 vcc_lo, 32, v7
	v_cndmask_b32_e32 v7, v11, v7, vcc_lo
	v_cmp_gt_i32_e32 vcc_lo, 32, v9
	v_lshlrev_b32_e32 v8, 2, v7
	v_cndmask_b32_e32 v9, v11, v9, vcc_lo
	ds_bpermute_b32 v7, v8, v12
	ds_bpermute_b32 v8, v8, v13
	v_lshlrev_b32_e32 v10, 2, v9
	s_waitcnt lgkmcnt(0)
	v_add_f64 v[7:8], v[12:13], v[7:8]
	ds_bpermute_b32 v9, v10, v7
	ds_bpermute_b32 v10, v10, v8
	s_waitcnt lgkmcnt(0)
	v_add_f64 v[7:8], v[7:8], v[9:10]
	v_xor_b32_e32 v9, 8, v11
	v_cmp_gt_i32_e32 vcc_lo, 32, v9
	v_cndmask_b32_e32 v9, v11, v9, vcc_lo
	v_lshlrev_b32_e32 v10, 2, v9
	ds_bpermute_b32 v9, v10, v7
	ds_bpermute_b32 v10, v10, v8
	s_waitcnt lgkmcnt(0)
	v_add_f64 v[7:8], v[7:8], v[9:10]
	v_xor_b32_e32 v9, 4, v11
	v_cmp_gt_i32_e32 vcc_lo, 32, v9
	v_cndmask_b32_e32 v9, v11, v9, vcc_lo
	v_lshlrev_b32_e32 v10, 2, v9
	;; [unrolled: 8-line block ×3, first 2 shown]
	ds_bpermute_b32 v9, v10, v7
	ds_bpermute_b32 v10, v10, v8
	s_waitcnt lgkmcnt(0)
	v_add_f64 v[7:8], v[7:8], v[9:10]
	v_xor_b32_e32 v9, 1, v11
	v_cmp_gt_i32_e32 vcc_lo, 32, v9
	v_cndmask_b32_e32 v9, v11, v9, vcc_lo
	v_cmp_eq_u32_e32 vcc_lo, 63, v0
	v_lshlrev_b32_e32 v10, 2, v9
	ds_bpermute_b32 v9, v10, v7
	ds_bpermute_b32 v10, v10, v8
	s_and_b32 exec_lo, exec_lo, vcc_lo
	s_cbranch_execz .LBB140_15
; %bb.11:
	s_waitcnt lgkmcnt(0)
	v_add_f64 v[7:8], v[7:8], v[9:10]
	v_lshlrev_b64 v[5:6], 3, v[5:6]
	s_mov_b32 s0, exec_lo
	v_mul_f64 v[3:4], v[3:4], v[7:8]
	v_cmpx_eq_f64_e32 0, v[1:2]
	s_xor_b32 s0, exec_lo, s0
	s_cbranch_execz .LBB140_13
; %bb.12:
	v_add_co_u32 v0, vcc_lo, s6, v5
	v_add_co_ci_u32_e64 v1, null, s7, v6, vcc_lo
                                        ; implicit-def: $vgpr5_vgpr6
	global_store_dwordx2 v[0:1], v[3:4], off
                                        ; implicit-def: $vgpr1_vgpr2
                                        ; implicit-def: $vgpr3_vgpr4
.LBB140_13:
	s_andn2_saveexec_b32 s0, s0
	s_cbranch_execz .LBB140_15
; %bb.14:
	v_add_co_u32 v5, vcc_lo, s6, v5
	v_add_co_ci_u32_e64 v6, null, s7, v6, vcc_lo
	global_load_dwordx2 v[7:8], v[5:6], off
	s_waitcnt vmcnt(0)
	v_fma_f64 v[0:1], v[1:2], v[7:8], v[3:4]
	global_store_dwordx2 v[5:6], v[0:1], off
.LBB140_15:
	s_endpgm
	.section	.rodata,"a",@progbits
	.p2align	6, 0x0
	.amdhsa_kernel _ZN9rocsparseL19gebsrmvn_1xn_kernelILj128ELj14ELj64EdEEvi20rocsparse_direction_NS_24const_host_device_scalarIT2_EEPKiS6_PKS3_S8_S4_PS3_21rocsparse_index_base_b
		.amdhsa_group_segment_fixed_size 0
		.amdhsa_private_segment_fixed_size 0
		.amdhsa_kernarg_size 72
		.amdhsa_user_sgpr_count 6
		.amdhsa_user_sgpr_private_segment_buffer 1
		.amdhsa_user_sgpr_dispatch_ptr 0
		.amdhsa_user_sgpr_queue_ptr 0
		.amdhsa_user_sgpr_kernarg_segment_ptr 1
		.amdhsa_user_sgpr_dispatch_id 0
		.amdhsa_user_sgpr_flat_scratch_init 0
		.amdhsa_user_sgpr_private_segment_size 0
		.amdhsa_wavefront_size32 1
		.amdhsa_uses_dynamic_stack 0
		.amdhsa_system_sgpr_private_segment_wavefront_offset 0
		.amdhsa_system_sgpr_workgroup_id_x 1
		.amdhsa_system_sgpr_workgroup_id_y 0
		.amdhsa_system_sgpr_workgroup_id_z 0
		.amdhsa_system_sgpr_workgroup_info 0
		.amdhsa_system_vgpr_workitem_id 0
		.amdhsa_next_free_vgpr 65
		.amdhsa_next_free_sgpr 11
		.amdhsa_reserve_vcc 1
		.amdhsa_reserve_flat_scratch 0
		.amdhsa_float_round_mode_32 0
		.amdhsa_float_round_mode_16_64 0
		.amdhsa_float_denorm_mode_32 3
		.amdhsa_float_denorm_mode_16_64 3
		.amdhsa_dx10_clamp 1
		.amdhsa_ieee_mode 1
		.amdhsa_fp16_overflow 0
		.amdhsa_workgroup_processor_mode 1
		.amdhsa_memory_ordered 1
		.amdhsa_forward_progress 1
		.amdhsa_shared_vgpr_count 0
		.amdhsa_exception_fp_ieee_invalid_op 0
		.amdhsa_exception_fp_denorm_src 0
		.amdhsa_exception_fp_ieee_div_zero 0
		.amdhsa_exception_fp_ieee_overflow 0
		.amdhsa_exception_fp_ieee_underflow 0
		.amdhsa_exception_fp_ieee_inexact 0
		.amdhsa_exception_int_div_zero 0
	.end_amdhsa_kernel
	.section	.text._ZN9rocsparseL19gebsrmvn_1xn_kernelILj128ELj14ELj64EdEEvi20rocsparse_direction_NS_24const_host_device_scalarIT2_EEPKiS6_PKS3_S8_S4_PS3_21rocsparse_index_base_b,"axG",@progbits,_ZN9rocsparseL19gebsrmvn_1xn_kernelILj128ELj14ELj64EdEEvi20rocsparse_direction_NS_24const_host_device_scalarIT2_EEPKiS6_PKS3_S8_S4_PS3_21rocsparse_index_base_b,comdat
.Lfunc_end140:
	.size	_ZN9rocsparseL19gebsrmvn_1xn_kernelILj128ELj14ELj64EdEEvi20rocsparse_direction_NS_24const_host_device_scalarIT2_EEPKiS6_PKS3_S8_S4_PS3_21rocsparse_index_base_b, .Lfunc_end140-_ZN9rocsparseL19gebsrmvn_1xn_kernelILj128ELj14ELj64EdEEvi20rocsparse_direction_NS_24const_host_device_scalarIT2_EEPKiS6_PKS3_S8_S4_PS3_21rocsparse_index_base_b
                                        ; -- End function
	.set _ZN9rocsparseL19gebsrmvn_1xn_kernelILj128ELj14ELj64EdEEvi20rocsparse_direction_NS_24const_host_device_scalarIT2_EEPKiS6_PKS3_S8_S4_PS3_21rocsparse_index_base_b.num_vgpr, 65
	.set _ZN9rocsparseL19gebsrmvn_1xn_kernelILj128ELj14ELj64EdEEvi20rocsparse_direction_NS_24const_host_device_scalarIT2_EEPKiS6_PKS3_S8_S4_PS3_21rocsparse_index_base_b.num_agpr, 0
	.set _ZN9rocsparseL19gebsrmvn_1xn_kernelILj128ELj14ELj64EdEEvi20rocsparse_direction_NS_24const_host_device_scalarIT2_EEPKiS6_PKS3_S8_S4_PS3_21rocsparse_index_base_b.numbered_sgpr, 11
	.set _ZN9rocsparseL19gebsrmvn_1xn_kernelILj128ELj14ELj64EdEEvi20rocsparse_direction_NS_24const_host_device_scalarIT2_EEPKiS6_PKS3_S8_S4_PS3_21rocsparse_index_base_b.num_named_barrier, 0
	.set _ZN9rocsparseL19gebsrmvn_1xn_kernelILj128ELj14ELj64EdEEvi20rocsparse_direction_NS_24const_host_device_scalarIT2_EEPKiS6_PKS3_S8_S4_PS3_21rocsparse_index_base_b.private_seg_size, 0
	.set _ZN9rocsparseL19gebsrmvn_1xn_kernelILj128ELj14ELj64EdEEvi20rocsparse_direction_NS_24const_host_device_scalarIT2_EEPKiS6_PKS3_S8_S4_PS3_21rocsparse_index_base_b.uses_vcc, 1
	.set _ZN9rocsparseL19gebsrmvn_1xn_kernelILj128ELj14ELj64EdEEvi20rocsparse_direction_NS_24const_host_device_scalarIT2_EEPKiS6_PKS3_S8_S4_PS3_21rocsparse_index_base_b.uses_flat_scratch, 0
	.set _ZN9rocsparseL19gebsrmvn_1xn_kernelILj128ELj14ELj64EdEEvi20rocsparse_direction_NS_24const_host_device_scalarIT2_EEPKiS6_PKS3_S8_S4_PS3_21rocsparse_index_base_b.has_dyn_sized_stack, 0
	.set _ZN9rocsparseL19gebsrmvn_1xn_kernelILj128ELj14ELj64EdEEvi20rocsparse_direction_NS_24const_host_device_scalarIT2_EEPKiS6_PKS3_S8_S4_PS3_21rocsparse_index_base_b.has_recursion, 0
	.set _ZN9rocsparseL19gebsrmvn_1xn_kernelILj128ELj14ELj64EdEEvi20rocsparse_direction_NS_24const_host_device_scalarIT2_EEPKiS6_PKS3_S8_S4_PS3_21rocsparse_index_base_b.has_indirect_call, 0
	.section	.AMDGPU.csdata,"",@progbits
; Kernel info:
; codeLenInByte = 1692
; TotalNumSgprs: 13
; NumVgprs: 65
; ScratchSize: 0
; MemoryBound: 0
; FloatMode: 240
; IeeeMode: 1
; LDSByteSize: 0 bytes/workgroup (compile time only)
; SGPRBlocks: 0
; VGPRBlocks: 8
; NumSGPRsForWavesPerEU: 13
; NumVGPRsForWavesPerEU: 65
; Occupancy: 12
; WaveLimiterHint : 1
; COMPUTE_PGM_RSRC2:SCRATCH_EN: 0
; COMPUTE_PGM_RSRC2:USER_SGPR: 6
; COMPUTE_PGM_RSRC2:TRAP_HANDLER: 0
; COMPUTE_PGM_RSRC2:TGID_X_EN: 1
; COMPUTE_PGM_RSRC2:TGID_Y_EN: 0
; COMPUTE_PGM_RSRC2:TGID_Z_EN: 0
; COMPUTE_PGM_RSRC2:TIDIG_COMP_CNT: 0
	.section	.text._ZN9rocsparseL19gebsrmvn_1xn_kernelILj128ELj15ELj4EdEEvi20rocsparse_direction_NS_24const_host_device_scalarIT2_EEPKiS6_PKS3_S8_S4_PS3_21rocsparse_index_base_b,"axG",@progbits,_ZN9rocsparseL19gebsrmvn_1xn_kernelILj128ELj15ELj4EdEEvi20rocsparse_direction_NS_24const_host_device_scalarIT2_EEPKiS6_PKS3_S8_S4_PS3_21rocsparse_index_base_b,comdat
	.globl	_ZN9rocsparseL19gebsrmvn_1xn_kernelILj128ELj15ELj4EdEEvi20rocsparse_direction_NS_24const_host_device_scalarIT2_EEPKiS6_PKS3_S8_S4_PS3_21rocsparse_index_base_b ; -- Begin function _ZN9rocsparseL19gebsrmvn_1xn_kernelILj128ELj15ELj4EdEEvi20rocsparse_direction_NS_24const_host_device_scalarIT2_EEPKiS6_PKS3_S8_S4_PS3_21rocsparse_index_base_b
	.p2align	8
	.type	_ZN9rocsparseL19gebsrmvn_1xn_kernelILj128ELj15ELj4EdEEvi20rocsparse_direction_NS_24const_host_device_scalarIT2_EEPKiS6_PKS3_S8_S4_PS3_21rocsparse_index_base_b,@function
_ZN9rocsparseL19gebsrmvn_1xn_kernelILj128ELj15ELj4EdEEvi20rocsparse_direction_NS_24const_host_device_scalarIT2_EEPKiS6_PKS3_S8_S4_PS3_21rocsparse_index_base_b: ; @_ZN9rocsparseL19gebsrmvn_1xn_kernelILj128ELj15ELj4EdEEvi20rocsparse_direction_NS_24const_host_device_scalarIT2_EEPKiS6_PKS3_S8_S4_PS3_21rocsparse_index_base_b
; %bb.0:
	s_clause 0x2
	s_load_dwordx2 s[8:9], s[4:5], 0x40
	s_load_dwordx2 s[2:3], s[4:5], 0x8
	;; [unrolled: 1-line block ×3, first 2 shown]
	s_waitcnt lgkmcnt(0)
	s_bitcmp1_b32 s9, 0
	v_mov_b32_e32 v4, s3
	v_mov_b32_e32 v3, s2
	s_cselect_b32 s7, -1, 0
	s_and_b32 vcc_lo, exec_lo, s7
	s_xor_b32 s7, s7, -1
	s_cbranch_vccnz .LBB141_2
; %bb.1:
	v_mov_b32_e32 v1, s2
	v_mov_b32_e32 v2, s3
	flat_load_dwordx2 v[3:4], v[1:2]
.LBB141_2:
	v_mov_b32_e32 v2, s1
	v_mov_b32_e32 v1, s0
	s_andn2_b32 vcc_lo, exec_lo, s7
	s_cbranch_vccnz .LBB141_4
; %bb.3:
	v_mov_b32_e32 v2, s1
	v_mov_b32_e32 v1, s0
	flat_load_dwordx2 v[1:2], v[1:2]
.LBB141_4:
	s_waitcnt vmcnt(0) lgkmcnt(0)
	v_cmp_neq_f64_e32 vcc_lo, 0, v[3:4]
	v_cmp_neq_f64_e64 s0, 1.0, v[1:2]
	s_or_b32 s0, vcc_lo, s0
	s_and_saveexec_b32 s1, s0
	s_cbranch_execz .LBB141_15
; %bb.5:
	s_load_dword s0, s[4:5], 0x0
	v_lshrrev_b32_e32 v5, 2, v0
	v_lshl_or_b32 v5, s6, 5, v5
	s_waitcnt lgkmcnt(0)
	v_cmp_gt_i32_e32 vcc_lo, s0, v5
	s_and_b32 exec_lo, exec_lo, vcc_lo
	s_cbranch_execz .LBB141_15
; %bb.6:
	s_clause 0x1
	s_load_dwordx2 s[0:1], s[4:5], 0x10
	s_load_dwordx2 s[6:7], s[4:5], 0x38
	v_ashrrev_i32_e32 v6, 31, v5
	v_and_b32_e32 v0, 3, v0
	v_mov_b32_e32 v13, 0
	v_mov_b32_e32 v14, 0
	s_mov_b32 s9, exec_lo
	v_lshlrev_b64 v[7:8], 2, v[5:6]
	v_subrev_nc_u32_e32 v9, s8, v0
	s_waitcnt lgkmcnt(0)
	v_add_co_u32 v7, vcc_lo, s0, v7
	v_add_co_ci_u32_e64 v8, null, s1, v8, vcc_lo
	global_load_dwordx2 v[7:8], v[7:8], off
	s_waitcnt vmcnt(0)
	v_subrev_nc_u32_e32 v17, s8, v8
	v_add_nc_u32_e32 v7, v7, v9
	v_cmpx_lt_i32_e64 v7, v17
	s_cbranch_execz .LBB141_10
; %bb.7:
	s_clause 0x1
	s_load_dwordx4 s[0:3], s[4:5], 0x18
	s_load_dwordx2 s[4:5], s[4:5], 0x28
	v_mad_u64_u32 v[9:10], null, v7, 15, 14
	v_mov_b32_e32 v13, 0
	v_mov_b32_e32 v14, 0
	;; [unrolled: 1-line block ×3, first 2 shown]
	s_mov_b32 s10, 0
.LBB141_8:                              ; =>This Inner Loop Header: Depth=1
	v_ashrrev_i32_e32 v8, 31, v7
	v_add_nc_u32_e32 v11, -14, v9
	v_mov_b32_e32 v16, v12
	v_lshlrev_b64 v[20:21], 2, v[7:8]
	v_lshlrev_b64 v[18:19], 3, v[11:12]
	v_add_nc_u32_e32 v11, -13, v9
	v_add_nc_u32_e32 v7, 4, v7
	s_waitcnt lgkmcnt(0)
	v_add_co_u32 v20, vcc_lo, s0, v20
	v_add_co_ci_u32_e64 v21, null, s1, v21, vcc_lo
	v_lshlrev_b64 v[10:11], 3, v[11:12]
	v_add_co_u32 v18, vcc_lo, s2, v18
	global_load_dword v8, v[20:21], off
	v_add_co_ci_u32_e64 v19, null, s3, v19, vcc_lo
	v_add_co_u32 v10, vcc_lo, s2, v10
	v_add_co_ci_u32_e64 v11, null, s3, v11, vcc_lo
	s_clause 0x1
	global_load_dwordx2 v[18:19], v[18:19], off
	global_load_dwordx2 v[20:21], v[10:11], off
	s_waitcnt vmcnt(2)
	v_subrev_nc_u32_e32 v8, s8, v8
	v_mul_lo_u32 v15, v8, 15
	v_lshlrev_b64 v[22:23], 3, v[15:16]
	v_add_nc_u32_e32 v11, 1, v15
	v_lshlrev_b64 v[24:25], 3, v[11:12]
	v_add_co_u32 v22, vcc_lo, s4, v22
	v_add_co_ci_u32_e64 v23, null, s5, v23, vcc_lo
	v_add_nc_u32_e32 v11, -12, v9
	v_add_co_u32 v24, vcc_lo, s4, v24
	global_load_dwordx2 v[22:23], v[22:23], off
	v_add_co_ci_u32_e64 v25, null, s5, v25, vcc_lo
	v_lshlrev_b64 v[26:27], 3, v[11:12]
	v_add_nc_u32_e32 v11, 2, v15
	global_load_dwordx2 v[24:25], v[24:25], off
	v_lshlrev_b64 v[28:29], 3, v[11:12]
	v_add_nc_u32_e32 v11, -11, v9
	v_add_co_u32 v26, vcc_lo, s2, v26
	v_add_co_ci_u32_e64 v27, null, s3, v27, vcc_lo
	v_lshlrev_b64 v[30:31], 3, v[11:12]
	v_add_nc_u32_e32 v11, 3, v15
	v_add_co_u32 v28, vcc_lo, s4, v28
	v_add_co_ci_u32_e64 v29, null, s5, v29, vcc_lo
	v_lshlrev_b64 v[32:33], 3, v[11:12]
	v_add_nc_u32_e32 v11, -10, v9
	v_add_co_u32 v30, vcc_lo, s2, v30
	v_add_co_ci_u32_e64 v31, null, s3, v31, vcc_lo
	v_lshlrev_b64 v[34:35], 3, v[11:12]
	v_add_nc_u32_e32 v11, 4, v15
	v_add_co_u32 v32, vcc_lo, s4, v32
	v_add_co_ci_u32_e64 v33, null, s5, v33, vcc_lo
	;; [unrolled: 8-line block ×9, first 2 shown]
	v_lshlrev_b64 v[64:65], 3, v[11:12]
	v_add_nc_u32_e32 v11, -2, v9
	v_add_co_u32 v62, vcc_lo, s2, v62
	v_add_co_ci_u32_e64 v63, null, s3, v63, vcc_lo
	s_waitcnt vmcnt(1)
	v_fma_f64 v[13:14], v[18:19], v[22:23], v[13:14]
	v_lshlrev_b64 v[18:19], 3, v[11:12]
	v_add_nc_u32_e32 v11, 12, v15
	v_add_co_u32 v22, vcc_lo, s4, v64
	v_add_co_ci_u32_e64 v23, null, s5, v65, vcc_lo
	v_lshlrev_b64 v[64:65], 3, v[11:12]
	v_add_co_u32 v18, vcc_lo, s2, v18
	v_add_co_ci_u32_e64 v19, null, s3, v19, vcc_lo
	v_add_nc_u32_e32 v11, -1, v9
	s_waitcnt vmcnt(0)
	v_fma_f64 v[13:14], v[20:21], v[24:25], v[13:14]
	v_add_co_u32 v24, vcc_lo, s4, v64
	v_add_co_ci_u32_e64 v25, null, s5, v65, vcc_lo
	global_load_dwordx2 v[26:27], v[26:27], off
	global_load_dwordx2 v[28:29], v[28:29], off
	global_load_dwordx2 v[30:31], v[30:31], off
	global_load_dwordx2 v[32:33], v[32:33], off
	global_load_dwordx2 v[34:35], v[34:35], off
	global_load_dwordx2 v[36:37], v[36:37], off
	global_load_dwordx2 v[38:39], v[38:39], off
	global_load_dwordx2 v[40:41], v[40:41], off
	global_load_dwordx2 v[42:43], v[42:43], off
	global_load_dwordx2 v[44:45], v[44:45], off
	global_load_dwordx2 v[46:47], v[46:47], off
	global_load_dwordx2 v[48:49], v[48:49], off
	global_load_dwordx2 v[50:51], v[50:51], off
	global_load_dwordx2 v[52:53], v[52:53], off
	global_load_dwordx2 v[54:55], v[54:55], off
	global_load_dwordx2 v[56:57], v[56:57], off
	global_load_dwordx2 v[58:59], v[58:59], off
	global_load_dwordx2 v[60:61], v[60:61], off
	global_load_dwordx2 v[62:63], v[62:63], off
	global_load_dwordx2 v[22:23], v[22:23], off
	global_load_dwordx2 v[18:19], v[18:19], off
	global_load_dwordx2 v[24:25], v[24:25], off
	v_lshlrev_b64 v[20:21], 3, v[11:12]
	v_add_nc_u32_e32 v11, 13, v15
	v_lshlrev_b64 v[10:11], 3, v[11:12]
	v_add_co_u32 v20, vcc_lo, s2, v20
	v_add_co_ci_u32_e64 v21, null, s3, v21, vcc_lo
	v_add_co_u32 v64, vcc_lo, s4, v10
	v_add_co_ci_u32_e64 v65, null, s5, v11, vcc_lo
	global_load_dwordx2 v[20:21], v[20:21], off
	global_load_dwordx2 v[64:65], v[64:65], off
	v_mov_b32_e32 v10, v12
	v_add_nc_u32_e32 v11, 14, v15
	v_lshlrev_b64 v[15:16], 3, v[9:10]
	v_add_nc_u32_e32 v9, 60, v9
	v_add_co_u32 v10, vcc_lo, s2, v15
	s_waitcnt vmcnt(22)
	v_fma_f64 v[13:14], v[26:27], v[28:29], v[13:14]
	v_lshlrev_b64 v[26:27], 3, v[11:12]
	v_add_co_ci_u32_e64 v11, null, s3, v16, vcc_lo
	v_add_co_u32 v15, vcc_lo, s4, v26
	v_add_co_ci_u32_e64 v16, null, s5, v27, vcc_lo
	global_load_dwordx2 v[10:11], v[10:11], off
	global_load_dwordx2 v[15:16], v[15:16], off
	v_cmp_ge_i32_e32 vcc_lo, v7, v17
	s_or_b32 s10, vcc_lo, s10
	s_waitcnt vmcnt(22)
	v_fma_f64 v[13:14], v[30:31], v[32:33], v[13:14]
	s_waitcnt vmcnt(20)
	v_fma_f64 v[13:14], v[34:35], v[36:37], v[13:14]
	;; [unrolled: 2-line block ×12, first 2 shown]
	s_andn2_b32 exec_lo, exec_lo, s10
	s_cbranch_execnz .LBB141_8
; %bb.9:
	s_or_b32 exec_lo, exec_lo, s10
.LBB141_10:
	s_or_b32 exec_lo, exec_lo, s9
	v_mbcnt_lo_u32_b32 v9, -1, 0
	v_xor_b32_e32 v7, 2, v9
	v_xor_b32_e32 v10, 1, v9
	v_cmp_gt_i32_e32 vcc_lo, 32, v7
	v_cndmask_b32_e32 v7, v9, v7, vcc_lo
	v_cmp_gt_i32_e32 vcc_lo, 32, v10
	v_lshlrev_b32_e32 v8, 2, v7
	v_cndmask_b32_e32 v9, v9, v10, vcc_lo
	v_cmp_eq_u32_e32 vcc_lo, 3, v0
	ds_bpermute_b32 v7, v8, v13
	ds_bpermute_b32 v8, v8, v14
	v_lshlrev_b32_e32 v10, 2, v9
	s_waitcnt lgkmcnt(0)
	v_add_f64 v[7:8], v[13:14], v[7:8]
	ds_bpermute_b32 v9, v10, v7
	ds_bpermute_b32 v10, v10, v8
	s_and_b32 exec_lo, exec_lo, vcc_lo
	s_cbranch_execz .LBB141_15
; %bb.11:
	s_waitcnt lgkmcnt(0)
	v_add_f64 v[7:8], v[7:8], v[9:10]
	v_lshlrev_b64 v[5:6], 3, v[5:6]
	s_mov_b32 s0, exec_lo
	v_mul_f64 v[3:4], v[3:4], v[7:8]
	v_cmpx_eq_f64_e32 0, v[1:2]
	s_xor_b32 s0, exec_lo, s0
	s_cbranch_execz .LBB141_13
; %bb.12:
	v_add_co_u32 v0, vcc_lo, s6, v5
	v_add_co_ci_u32_e64 v1, null, s7, v6, vcc_lo
                                        ; implicit-def: $vgpr5_vgpr6
	global_store_dwordx2 v[0:1], v[3:4], off
                                        ; implicit-def: $vgpr1_vgpr2
                                        ; implicit-def: $vgpr3_vgpr4
.LBB141_13:
	s_andn2_saveexec_b32 s0, s0
	s_cbranch_execz .LBB141_15
; %bb.14:
	v_add_co_u32 v5, vcc_lo, s6, v5
	v_add_co_ci_u32_e64 v6, null, s7, v6, vcc_lo
	global_load_dwordx2 v[7:8], v[5:6], off
	s_waitcnt vmcnt(0)
	v_fma_f64 v[0:1], v[1:2], v[7:8], v[3:4]
	global_store_dwordx2 v[5:6], v[0:1], off
.LBB141_15:
	s_endpgm
	.section	.rodata,"a",@progbits
	.p2align	6, 0x0
	.amdhsa_kernel _ZN9rocsparseL19gebsrmvn_1xn_kernelILj128ELj15ELj4EdEEvi20rocsparse_direction_NS_24const_host_device_scalarIT2_EEPKiS6_PKS3_S8_S4_PS3_21rocsparse_index_base_b
		.amdhsa_group_segment_fixed_size 0
		.amdhsa_private_segment_fixed_size 0
		.amdhsa_kernarg_size 72
		.amdhsa_user_sgpr_count 6
		.amdhsa_user_sgpr_private_segment_buffer 1
		.amdhsa_user_sgpr_dispatch_ptr 0
		.amdhsa_user_sgpr_queue_ptr 0
		.amdhsa_user_sgpr_kernarg_segment_ptr 1
		.amdhsa_user_sgpr_dispatch_id 0
		.amdhsa_user_sgpr_flat_scratch_init 0
		.amdhsa_user_sgpr_private_segment_size 0
		.amdhsa_wavefront_size32 1
		.amdhsa_uses_dynamic_stack 0
		.amdhsa_system_sgpr_private_segment_wavefront_offset 0
		.amdhsa_system_sgpr_workgroup_id_x 1
		.amdhsa_system_sgpr_workgroup_id_y 0
		.amdhsa_system_sgpr_workgroup_id_z 0
		.amdhsa_system_sgpr_workgroup_info 0
		.amdhsa_system_vgpr_workitem_id 0
		.amdhsa_next_free_vgpr 66
		.amdhsa_next_free_sgpr 11
		.amdhsa_reserve_vcc 1
		.amdhsa_reserve_flat_scratch 0
		.amdhsa_float_round_mode_32 0
		.amdhsa_float_round_mode_16_64 0
		.amdhsa_float_denorm_mode_32 3
		.amdhsa_float_denorm_mode_16_64 3
		.amdhsa_dx10_clamp 1
		.amdhsa_ieee_mode 1
		.amdhsa_fp16_overflow 0
		.amdhsa_workgroup_processor_mode 1
		.amdhsa_memory_ordered 1
		.amdhsa_forward_progress 1
		.amdhsa_shared_vgpr_count 0
		.amdhsa_exception_fp_ieee_invalid_op 0
		.amdhsa_exception_fp_denorm_src 0
		.amdhsa_exception_fp_ieee_div_zero 0
		.amdhsa_exception_fp_ieee_overflow 0
		.amdhsa_exception_fp_ieee_underflow 0
		.amdhsa_exception_fp_ieee_inexact 0
		.amdhsa_exception_int_div_zero 0
	.end_amdhsa_kernel
	.section	.text._ZN9rocsparseL19gebsrmvn_1xn_kernelILj128ELj15ELj4EdEEvi20rocsparse_direction_NS_24const_host_device_scalarIT2_EEPKiS6_PKS3_S8_S4_PS3_21rocsparse_index_base_b,"axG",@progbits,_ZN9rocsparseL19gebsrmvn_1xn_kernelILj128ELj15ELj4EdEEvi20rocsparse_direction_NS_24const_host_device_scalarIT2_EEPKiS6_PKS3_S8_S4_PS3_21rocsparse_index_base_b,comdat
.Lfunc_end141:
	.size	_ZN9rocsparseL19gebsrmvn_1xn_kernelILj128ELj15ELj4EdEEvi20rocsparse_direction_NS_24const_host_device_scalarIT2_EEPKiS6_PKS3_S8_S4_PS3_21rocsparse_index_base_b, .Lfunc_end141-_ZN9rocsparseL19gebsrmvn_1xn_kernelILj128ELj15ELj4EdEEvi20rocsparse_direction_NS_24const_host_device_scalarIT2_EEPKiS6_PKS3_S8_S4_PS3_21rocsparse_index_base_b
                                        ; -- End function
	.set _ZN9rocsparseL19gebsrmvn_1xn_kernelILj128ELj15ELj4EdEEvi20rocsparse_direction_NS_24const_host_device_scalarIT2_EEPKiS6_PKS3_S8_S4_PS3_21rocsparse_index_base_b.num_vgpr, 66
	.set _ZN9rocsparseL19gebsrmvn_1xn_kernelILj128ELj15ELj4EdEEvi20rocsparse_direction_NS_24const_host_device_scalarIT2_EEPKiS6_PKS3_S8_S4_PS3_21rocsparse_index_base_b.num_agpr, 0
	.set _ZN9rocsparseL19gebsrmvn_1xn_kernelILj128ELj15ELj4EdEEvi20rocsparse_direction_NS_24const_host_device_scalarIT2_EEPKiS6_PKS3_S8_S4_PS3_21rocsparse_index_base_b.numbered_sgpr, 11
	.set _ZN9rocsparseL19gebsrmvn_1xn_kernelILj128ELj15ELj4EdEEvi20rocsparse_direction_NS_24const_host_device_scalarIT2_EEPKiS6_PKS3_S8_S4_PS3_21rocsparse_index_base_b.num_named_barrier, 0
	.set _ZN9rocsparseL19gebsrmvn_1xn_kernelILj128ELj15ELj4EdEEvi20rocsparse_direction_NS_24const_host_device_scalarIT2_EEPKiS6_PKS3_S8_S4_PS3_21rocsparse_index_base_b.private_seg_size, 0
	.set _ZN9rocsparseL19gebsrmvn_1xn_kernelILj128ELj15ELj4EdEEvi20rocsparse_direction_NS_24const_host_device_scalarIT2_EEPKiS6_PKS3_S8_S4_PS3_21rocsparse_index_base_b.uses_vcc, 1
	.set _ZN9rocsparseL19gebsrmvn_1xn_kernelILj128ELj15ELj4EdEEvi20rocsparse_direction_NS_24const_host_device_scalarIT2_EEPKiS6_PKS3_S8_S4_PS3_21rocsparse_index_base_b.uses_flat_scratch, 0
	.set _ZN9rocsparseL19gebsrmvn_1xn_kernelILj128ELj15ELj4EdEEvi20rocsparse_direction_NS_24const_host_device_scalarIT2_EEPKiS6_PKS3_S8_S4_PS3_21rocsparse_index_base_b.has_dyn_sized_stack, 0
	.set _ZN9rocsparseL19gebsrmvn_1xn_kernelILj128ELj15ELj4EdEEvi20rocsparse_direction_NS_24const_host_device_scalarIT2_EEPKiS6_PKS3_S8_S4_PS3_21rocsparse_index_base_b.has_recursion, 0
	.set _ZN9rocsparseL19gebsrmvn_1xn_kernelILj128ELj15ELj4EdEEvi20rocsparse_direction_NS_24const_host_device_scalarIT2_EEPKiS6_PKS3_S8_S4_PS3_21rocsparse_index_base_b.has_indirect_call, 0
	.section	.AMDGPU.csdata,"",@progbits
; Kernel info:
; codeLenInByte = 1892
; TotalNumSgprs: 13
; NumVgprs: 66
; ScratchSize: 0
; MemoryBound: 0
; FloatMode: 240
; IeeeMode: 1
; LDSByteSize: 0 bytes/workgroup (compile time only)
; SGPRBlocks: 0
; VGPRBlocks: 8
; NumSGPRsForWavesPerEU: 13
; NumVGPRsForWavesPerEU: 66
; Occupancy: 12
; WaveLimiterHint : 1
; COMPUTE_PGM_RSRC2:SCRATCH_EN: 0
; COMPUTE_PGM_RSRC2:USER_SGPR: 6
; COMPUTE_PGM_RSRC2:TRAP_HANDLER: 0
; COMPUTE_PGM_RSRC2:TGID_X_EN: 1
; COMPUTE_PGM_RSRC2:TGID_Y_EN: 0
; COMPUTE_PGM_RSRC2:TGID_Z_EN: 0
; COMPUTE_PGM_RSRC2:TIDIG_COMP_CNT: 0
	.section	.text._ZN9rocsparseL19gebsrmvn_1xn_kernelILj128ELj15ELj8EdEEvi20rocsparse_direction_NS_24const_host_device_scalarIT2_EEPKiS6_PKS3_S8_S4_PS3_21rocsparse_index_base_b,"axG",@progbits,_ZN9rocsparseL19gebsrmvn_1xn_kernelILj128ELj15ELj8EdEEvi20rocsparse_direction_NS_24const_host_device_scalarIT2_EEPKiS6_PKS3_S8_S4_PS3_21rocsparse_index_base_b,comdat
	.globl	_ZN9rocsparseL19gebsrmvn_1xn_kernelILj128ELj15ELj8EdEEvi20rocsparse_direction_NS_24const_host_device_scalarIT2_EEPKiS6_PKS3_S8_S4_PS3_21rocsparse_index_base_b ; -- Begin function _ZN9rocsparseL19gebsrmvn_1xn_kernelILj128ELj15ELj8EdEEvi20rocsparse_direction_NS_24const_host_device_scalarIT2_EEPKiS6_PKS3_S8_S4_PS3_21rocsparse_index_base_b
	.p2align	8
	.type	_ZN9rocsparseL19gebsrmvn_1xn_kernelILj128ELj15ELj8EdEEvi20rocsparse_direction_NS_24const_host_device_scalarIT2_EEPKiS6_PKS3_S8_S4_PS3_21rocsparse_index_base_b,@function
_ZN9rocsparseL19gebsrmvn_1xn_kernelILj128ELj15ELj8EdEEvi20rocsparse_direction_NS_24const_host_device_scalarIT2_EEPKiS6_PKS3_S8_S4_PS3_21rocsparse_index_base_b: ; @_ZN9rocsparseL19gebsrmvn_1xn_kernelILj128ELj15ELj8EdEEvi20rocsparse_direction_NS_24const_host_device_scalarIT2_EEPKiS6_PKS3_S8_S4_PS3_21rocsparse_index_base_b
; %bb.0:
	s_clause 0x2
	s_load_dwordx2 s[8:9], s[4:5], 0x40
	s_load_dwordx2 s[2:3], s[4:5], 0x8
	;; [unrolled: 1-line block ×3, first 2 shown]
	s_waitcnt lgkmcnt(0)
	s_bitcmp1_b32 s9, 0
	v_mov_b32_e32 v4, s3
	v_mov_b32_e32 v3, s2
	s_cselect_b32 s7, -1, 0
	s_and_b32 vcc_lo, exec_lo, s7
	s_xor_b32 s7, s7, -1
	s_cbranch_vccnz .LBB142_2
; %bb.1:
	v_mov_b32_e32 v1, s2
	v_mov_b32_e32 v2, s3
	flat_load_dwordx2 v[3:4], v[1:2]
.LBB142_2:
	v_mov_b32_e32 v2, s1
	v_mov_b32_e32 v1, s0
	s_andn2_b32 vcc_lo, exec_lo, s7
	s_cbranch_vccnz .LBB142_4
; %bb.3:
	v_mov_b32_e32 v2, s1
	v_mov_b32_e32 v1, s0
	flat_load_dwordx2 v[1:2], v[1:2]
.LBB142_4:
	s_waitcnt vmcnt(0) lgkmcnt(0)
	v_cmp_neq_f64_e32 vcc_lo, 0, v[3:4]
	v_cmp_neq_f64_e64 s0, 1.0, v[1:2]
	s_or_b32 s0, vcc_lo, s0
	s_and_saveexec_b32 s1, s0
	s_cbranch_execz .LBB142_15
; %bb.5:
	s_load_dword s0, s[4:5], 0x0
	v_lshrrev_b32_e32 v5, 3, v0
	v_lshl_or_b32 v5, s6, 4, v5
	s_waitcnt lgkmcnt(0)
	v_cmp_gt_i32_e32 vcc_lo, s0, v5
	s_and_b32 exec_lo, exec_lo, vcc_lo
	s_cbranch_execz .LBB142_15
; %bb.6:
	s_clause 0x1
	s_load_dwordx2 s[0:1], s[4:5], 0x10
	s_load_dwordx2 s[6:7], s[4:5], 0x38
	v_ashrrev_i32_e32 v6, 31, v5
	v_and_b32_e32 v0, 7, v0
	v_mov_b32_e32 v13, 0
	v_mov_b32_e32 v14, 0
	s_mov_b32 s9, exec_lo
	v_lshlrev_b64 v[7:8], 2, v[5:6]
	v_subrev_nc_u32_e32 v9, s8, v0
	s_waitcnt lgkmcnt(0)
	v_add_co_u32 v7, vcc_lo, s0, v7
	v_add_co_ci_u32_e64 v8, null, s1, v8, vcc_lo
	global_load_dwordx2 v[7:8], v[7:8], off
	s_waitcnt vmcnt(0)
	v_subrev_nc_u32_e32 v17, s8, v8
	v_add_nc_u32_e32 v7, v7, v9
	v_cmpx_lt_i32_e64 v7, v17
	s_cbranch_execz .LBB142_10
; %bb.7:
	s_clause 0x1
	s_load_dwordx4 s[0:3], s[4:5], 0x18
	s_load_dwordx2 s[4:5], s[4:5], 0x28
	v_mad_u64_u32 v[9:10], null, v7, 15, 14
	v_mov_b32_e32 v13, 0
	v_mov_b32_e32 v14, 0
	;; [unrolled: 1-line block ×3, first 2 shown]
	s_mov_b32 s10, 0
.LBB142_8:                              ; =>This Inner Loop Header: Depth=1
	v_ashrrev_i32_e32 v8, 31, v7
	v_add_nc_u32_e32 v11, -14, v9
	v_mov_b32_e32 v16, v12
	v_lshlrev_b64 v[20:21], 2, v[7:8]
	v_lshlrev_b64 v[18:19], 3, v[11:12]
	v_add_nc_u32_e32 v11, -13, v9
	v_add_nc_u32_e32 v7, 8, v7
	s_waitcnt lgkmcnt(0)
	v_add_co_u32 v20, vcc_lo, s0, v20
	v_add_co_ci_u32_e64 v21, null, s1, v21, vcc_lo
	v_lshlrev_b64 v[10:11], 3, v[11:12]
	v_add_co_u32 v18, vcc_lo, s2, v18
	global_load_dword v8, v[20:21], off
	v_add_co_ci_u32_e64 v19, null, s3, v19, vcc_lo
	v_add_co_u32 v10, vcc_lo, s2, v10
	v_add_co_ci_u32_e64 v11, null, s3, v11, vcc_lo
	s_clause 0x1
	global_load_dwordx2 v[18:19], v[18:19], off
	global_load_dwordx2 v[20:21], v[10:11], off
	s_waitcnt vmcnt(2)
	v_subrev_nc_u32_e32 v8, s8, v8
	v_mul_lo_u32 v15, v8, 15
	v_lshlrev_b64 v[22:23], 3, v[15:16]
	v_add_nc_u32_e32 v11, 1, v15
	v_lshlrev_b64 v[24:25], 3, v[11:12]
	v_add_co_u32 v22, vcc_lo, s4, v22
	v_add_co_ci_u32_e64 v23, null, s5, v23, vcc_lo
	v_add_nc_u32_e32 v11, -12, v9
	v_add_co_u32 v24, vcc_lo, s4, v24
	global_load_dwordx2 v[22:23], v[22:23], off
	v_add_co_ci_u32_e64 v25, null, s5, v25, vcc_lo
	v_lshlrev_b64 v[26:27], 3, v[11:12]
	v_add_nc_u32_e32 v11, 2, v15
	global_load_dwordx2 v[24:25], v[24:25], off
	v_lshlrev_b64 v[28:29], 3, v[11:12]
	v_add_nc_u32_e32 v11, -11, v9
	v_add_co_u32 v26, vcc_lo, s2, v26
	v_add_co_ci_u32_e64 v27, null, s3, v27, vcc_lo
	v_lshlrev_b64 v[30:31], 3, v[11:12]
	v_add_nc_u32_e32 v11, 3, v15
	v_add_co_u32 v28, vcc_lo, s4, v28
	v_add_co_ci_u32_e64 v29, null, s5, v29, vcc_lo
	v_lshlrev_b64 v[32:33], 3, v[11:12]
	v_add_nc_u32_e32 v11, -10, v9
	v_add_co_u32 v30, vcc_lo, s2, v30
	v_add_co_ci_u32_e64 v31, null, s3, v31, vcc_lo
	v_lshlrev_b64 v[34:35], 3, v[11:12]
	v_add_nc_u32_e32 v11, 4, v15
	v_add_co_u32 v32, vcc_lo, s4, v32
	v_add_co_ci_u32_e64 v33, null, s5, v33, vcc_lo
	;; [unrolled: 8-line block ×9, first 2 shown]
	v_lshlrev_b64 v[64:65], 3, v[11:12]
	v_add_nc_u32_e32 v11, -2, v9
	v_add_co_u32 v62, vcc_lo, s2, v62
	v_add_co_ci_u32_e64 v63, null, s3, v63, vcc_lo
	s_waitcnt vmcnt(1)
	v_fma_f64 v[13:14], v[18:19], v[22:23], v[13:14]
	v_lshlrev_b64 v[18:19], 3, v[11:12]
	v_add_nc_u32_e32 v11, 12, v15
	v_add_co_u32 v22, vcc_lo, s4, v64
	v_add_co_ci_u32_e64 v23, null, s5, v65, vcc_lo
	v_lshlrev_b64 v[64:65], 3, v[11:12]
	v_add_co_u32 v18, vcc_lo, s2, v18
	v_add_co_ci_u32_e64 v19, null, s3, v19, vcc_lo
	v_add_nc_u32_e32 v11, -1, v9
	s_waitcnt vmcnt(0)
	v_fma_f64 v[13:14], v[20:21], v[24:25], v[13:14]
	v_add_co_u32 v24, vcc_lo, s4, v64
	v_add_co_ci_u32_e64 v25, null, s5, v65, vcc_lo
	global_load_dwordx2 v[26:27], v[26:27], off
	global_load_dwordx2 v[28:29], v[28:29], off
	;; [unrolled: 1-line block ×22, first 2 shown]
	v_lshlrev_b64 v[20:21], 3, v[11:12]
	v_add_nc_u32_e32 v11, 13, v15
	v_lshlrev_b64 v[10:11], 3, v[11:12]
	v_add_co_u32 v20, vcc_lo, s2, v20
	v_add_co_ci_u32_e64 v21, null, s3, v21, vcc_lo
	v_add_co_u32 v64, vcc_lo, s4, v10
	v_add_co_ci_u32_e64 v65, null, s5, v11, vcc_lo
	global_load_dwordx2 v[20:21], v[20:21], off
	global_load_dwordx2 v[64:65], v[64:65], off
	v_mov_b32_e32 v10, v12
	v_add_nc_u32_e32 v11, 14, v15
	v_lshlrev_b64 v[15:16], 3, v[9:10]
	v_add_nc_u32_e32 v9, 0x78, v9
	v_add_co_u32 v10, vcc_lo, s2, v15
	s_waitcnt vmcnt(22)
	v_fma_f64 v[13:14], v[26:27], v[28:29], v[13:14]
	v_lshlrev_b64 v[26:27], 3, v[11:12]
	v_add_co_ci_u32_e64 v11, null, s3, v16, vcc_lo
	v_add_co_u32 v15, vcc_lo, s4, v26
	v_add_co_ci_u32_e64 v16, null, s5, v27, vcc_lo
	global_load_dwordx2 v[10:11], v[10:11], off
	global_load_dwordx2 v[15:16], v[15:16], off
	v_cmp_ge_i32_e32 vcc_lo, v7, v17
	s_or_b32 s10, vcc_lo, s10
	s_waitcnt vmcnt(22)
	v_fma_f64 v[13:14], v[30:31], v[32:33], v[13:14]
	s_waitcnt vmcnt(20)
	v_fma_f64 v[13:14], v[34:35], v[36:37], v[13:14]
	s_waitcnt vmcnt(18)
	v_fma_f64 v[13:14], v[38:39], v[40:41], v[13:14]
	s_waitcnt vmcnt(16)
	v_fma_f64 v[13:14], v[42:43], v[44:45], v[13:14]
	s_waitcnt vmcnt(14)
	v_fma_f64 v[13:14], v[46:47], v[48:49], v[13:14]
	s_waitcnt vmcnt(12)
	v_fma_f64 v[13:14], v[50:51], v[52:53], v[13:14]
	s_waitcnt vmcnt(10)
	v_fma_f64 v[13:14], v[54:55], v[56:57], v[13:14]
	s_waitcnt vmcnt(8)
	v_fma_f64 v[13:14], v[58:59], v[60:61], v[13:14]
	s_waitcnt vmcnt(6)
	v_fma_f64 v[13:14], v[62:63], v[22:23], v[13:14]
	s_waitcnt vmcnt(4)
	v_fma_f64 v[13:14], v[18:19], v[24:25], v[13:14]
	s_waitcnt vmcnt(2)
	v_fma_f64 v[13:14], v[20:21], v[64:65], v[13:14]
	s_waitcnt vmcnt(0)
	v_fma_f64 v[13:14], v[10:11], v[15:16], v[13:14]
	s_andn2_b32 exec_lo, exec_lo, s10
	s_cbranch_execnz .LBB142_8
; %bb.9:
	s_or_b32 exec_lo, exec_lo, s10
.LBB142_10:
	s_or_b32 exec_lo, exec_lo, s9
	v_mbcnt_lo_u32_b32 v11, -1, 0
	v_xor_b32_e32 v7, 4, v11
	v_xor_b32_e32 v9, 2, v11
	v_cmp_gt_i32_e32 vcc_lo, 32, v7
	v_cndmask_b32_e32 v7, v11, v7, vcc_lo
	v_cmp_gt_i32_e32 vcc_lo, 32, v9
	v_lshlrev_b32_e32 v8, 2, v7
	v_cndmask_b32_e32 v9, v11, v9, vcc_lo
	ds_bpermute_b32 v7, v8, v13
	ds_bpermute_b32 v8, v8, v14
	v_lshlrev_b32_e32 v10, 2, v9
	s_waitcnt lgkmcnt(0)
	v_add_f64 v[7:8], v[13:14], v[7:8]
	ds_bpermute_b32 v9, v10, v7
	ds_bpermute_b32 v10, v10, v8
	s_waitcnt lgkmcnt(0)
	v_add_f64 v[7:8], v[7:8], v[9:10]
	v_xor_b32_e32 v9, 1, v11
	v_cmp_gt_i32_e32 vcc_lo, 32, v9
	v_cndmask_b32_e32 v9, v11, v9, vcc_lo
	v_cmp_eq_u32_e32 vcc_lo, 7, v0
	v_lshlrev_b32_e32 v10, 2, v9
	ds_bpermute_b32 v9, v10, v7
	ds_bpermute_b32 v10, v10, v8
	s_and_b32 exec_lo, exec_lo, vcc_lo
	s_cbranch_execz .LBB142_15
; %bb.11:
	s_waitcnt lgkmcnt(0)
	v_add_f64 v[7:8], v[7:8], v[9:10]
	v_lshlrev_b64 v[5:6], 3, v[5:6]
	s_mov_b32 s0, exec_lo
	v_mul_f64 v[3:4], v[3:4], v[7:8]
	v_cmpx_eq_f64_e32 0, v[1:2]
	s_xor_b32 s0, exec_lo, s0
	s_cbranch_execz .LBB142_13
; %bb.12:
	v_add_co_u32 v0, vcc_lo, s6, v5
	v_add_co_ci_u32_e64 v1, null, s7, v6, vcc_lo
                                        ; implicit-def: $vgpr5_vgpr6
	global_store_dwordx2 v[0:1], v[3:4], off
                                        ; implicit-def: $vgpr1_vgpr2
                                        ; implicit-def: $vgpr3_vgpr4
.LBB142_13:
	s_andn2_saveexec_b32 s0, s0
	s_cbranch_execz .LBB142_15
; %bb.14:
	v_add_co_u32 v5, vcc_lo, s6, v5
	v_add_co_ci_u32_e64 v6, null, s7, v6, vcc_lo
	global_load_dwordx2 v[7:8], v[5:6], off
	s_waitcnt vmcnt(0)
	v_fma_f64 v[0:1], v[1:2], v[7:8], v[3:4]
	global_store_dwordx2 v[5:6], v[0:1], off
.LBB142_15:
	s_endpgm
	.section	.rodata,"a",@progbits
	.p2align	6, 0x0
	.amdhsa_kernel _ZN9rocsparseL19gebsrmvn_1xn_kernelILj128ELj15ELj8EdEEvi20rocsparse_direction_NS_24const_host_device_scalarIT2_EEPKiS6_PKS3_S8_S4_PS3_21rocsparse_index_base_b
		.amdhsa_group_segment_fixed_size 0
		.amdhsa_private_segment_fixed_size 0
		.amdhsa_kernarg_size 72
		.amdhsa_user_sgpr_count 6
		.amdhsa_user_sgpr_private_segment_buffer 1
		.amdhsa_user_sgpr_dispatch_ptr 0
		.amdhsa_user_sgpr_queue_ptr 0
		.amdhsa_user_sgpr_kernarg_segment_ptr 1
		.amdhsa_user_sgpr_dispatch_id 0
		.amdhsa_user_sgpr_flat_scratch_init 0
		.amdhsa_user_sgpr_private_segment_size 0
		.amdhsa_wavefront_size32 1
		.amdhsa_uses_dynamic_stack 0
		.amdhsa_system_sgpr_private_segment_wavefront_offset 0
		.amdhsa_system_sgpr_workgroup_id_x 1
		.amdhsa_system_sgpr_workgroup_id_y 0
		.amdhsa_system_sgpr_workgroup_id_z 0
		.amdhsa_system_sgpr_workgroup_info 0
		.amdhsa_system_vgpr_workitem_id 0
		.amdhsa_next_free_vgpr 66
		.amdhsa_next_free_sgpr 11
		.amdhsa_reserve_vcc 1
		.amdhsa_reserve_flat_scratch 0
		.amdhsa_float_round_mode_32 0
		.amdhsa_float_round_mode_16_64 0
		.amdhsa_float_denorm_mode_32 3
		.amdhsa_float_denorm_mode_16_64 3
		.amdhsa_dx10_clamp 1
		.amdhsa_ieee_mode 1
		.amdhsa_fp16_overflow 0
		.amdhsa_workgroup_processor_mode 1
		.amdhsa_memory_ordered 1
		.amdhsa_forward_progress 1
		.amdhsa_shared_vgpr_count 0
		.amdhsa_exception_fp_ieee_invalid_op 0
		.amdhsa_exception_fp_denorm_src 0
		.amdhsa_exception_fp_ieee_div_zero 0
		.amdhsa_exception_fp_ieee_overflow 0
		.amdhsa_exception_fp_ieee_underflow 0
		.amdhsa_exception_fp_ieee_inexact 0
		.amdhsa_exception_int_div_zero 0
	.end_amdhsa_kernel
	.section	.text._ZN9rocsparseL19gebsrmvn_1xn_kernelILj128ELj15ELj8EdEEvi20rocsparse_direction_NS_24const_host_device_scalarIT2_EEPKiS6_PKS3_S8_S4_PS3_21rocsparse_index_base_b,"axG",@progbits,_ZN9rocsparseL19gebsrmvn_1xn_kernelILj128ELj15ELj8EdEEvi20rocsparse_direction_NS_24const_host_device_scalarIT2_EEPKiS6_PKS3_S8_S4_PS3_21rocsparse_index_base_b,comdat
.Lfunc_end142:
	.size	_ZN9rocsparseL19gebsrmvn_1xn_kernelILj128ELj15ELj8EdEEvi20rocsparse_direction_NS_24const_host_device_scalarIT2_EEPKiS6_PKS3_S8_S4_PS3_21rocsparse_index_base_b, .Lfunc_end142-_ZN9rocsparseL19gebsrmvn_1xn_kernelILj128ELj15ELj8EdEEvi20rocsparse_direction_NS_24const_host_device_scalarIT2_EEPKiS6_PKS3_S8_S4_PS3_21rocsparse_index_base_b
                                        ; -- End function
	.set _ZN9rocsparseL19gebsrmvn_1xn_kernelILj128ELj15ELj8EdEEvi20rocsparse_direction_NS_24const_host_device_scalarIT2_EEPKiS6_PKS3_S8_S4_PS3_21rocsparse_index_base_b.num_vgpr, 66
	.set _ZN9rocsparseL19gebsrmvn_1xn_kernelILj128ELj15ELj8EdEEvi20rocsparse_direction_NS_24const_host_device_scalarIT2_EEPKiS6_PKS3_S8_S4_PS3_21rocsparse_index_base_b.num_agpr, 0
	.set _ZN9rocsparseL19gebsrmvn_1xn_kernelILj128ELj15ELj8EdEEvi20rocsparse_direction_NS_24const_host_device_scalarIT2_EEPKiS6_PKS3_S8_S4_PS3_21rocsparse_index_base_b.numbered_sgpr, 11
	.set _ZN9rocsparseL19gebsrmvn_1xn_kernelILj128ELj15ELj8EdEEvi20rocsparse_direction_NS_24const_host_device_scalarIT2_EEPKiS6_PKS3_S8_S4_PS3_21rocsparse_index_base_b.num_named_barrier, 0
	.set _ZN9rocsparseL19gebsrmvn_1xn_kernelILj128ELj15ELj8EdEEvi20rocsparse_direction_NS_24const_host_device_scalarIT2_EEPKiS6_PKS3_S8_S4_PS3_21rocsparse_index_base_b.private_seg_size, 0
	.set _ZN9rocsparseL19gebsrmvn_1xn_kernelILj128ELj15ELj8EdEEvi20rocsparse_direction_NS_24const_host_device_scalarIT2_EEPKiS6_PKS3_S8_S4_PS3_21rocsparse_index_base_b.uses_vcc, 1
	.set _ZN9rocsparseL19gebsrmvn_1xn_kernelILj128ELj15ELj8EdEEvi20rocsparse_direction_NS_24const_host_device_scalarIT2_EEPKiS6_PKS3_S8_S4_PS3_21rocsparse_index_base_b.uses_flat_scratch, 0
	.set _ZN9rocsparseL19gebsrmvn_1xn_kernelILj128ELj15ELj8EdEEvi20rocsparse_direction_NS_24const_host_device_scalarIT2_EEPKiS6_PKS3_S8_S4_PS3_21rocsparse_index_base_b.has_dyn_sized_stack, 0
	.set _ZN9rocsparseL19gebsrmvn_1xn_kernelILj128ELj15ELj8EdEEvi20rocsparse_direction_NS_24const_host_device_scalarIT2_EEPKiS6_PKS3_S8_S4_PS3_21rocsparse_index_base_b.has_recursion, 0
	.set _ZN9rocsparseL19gebsrmvn_1xn_kernelILj128ELj15ELj8EdEEvi20rocsparse_direction_NS_24const_host_device_scalarIT2_EEPKiS6_PKS3_S8_S4_PS3_21rocsparse_index_base_b.has_indirect_call, 0
	.section	.AMDGPU.csdata,"",@progbits
; Kernel info:
; codeLenInByte = 1940
; TotalNumSgprs: 13
; NumVgprs: 66
; ScratchSize: 0
; MemoryBound: 0
; FloatMode: 240
; IeeeMode: 1
; LDSByteSize: 0 bytes/workgroup (compile time only)
; SGPRBlocks: 0
; VGPRBlocks: 8
; NumSGPRsForWavesPerEU: 13
; NumVGPRsForWavesPerEU: 66
; Occupancy: 12
; WaveLimiterHint : 1
; COMPUTE_PGM_RSRC2:SCRATCH_EN: 0
; COMPUTE_PGM_RSRC2:USER_SGPR: 6
; COMPUTE_PGM_RSRC2:TRAP_HANDLER: 0
; COMPUTE_PGM_RSRC2:TGID_X_EN: 1
; COMPUTE_PGM_RSRC2:TGID_Y_EN: 0
; COMPUTE_PGM_RSRC2:TGID_Z_EN: 0
; COMPUTE_PGM_RSRC2:TIDIG_COMP_CNT: 0
	.section	.text._ZN9rocsparseL19gebsrmvn_1xn_kernelILj128ELj15ELj16EdEEvi20rocsparse_direction_NS_24const_host_device_scalarIT2_EEPKiS6_PKS3_S8_S4_PS3_21rocsparse_index_base_b,"axG",@progbits,_ZN9rocsparseL19gebsrmvn_1xn_kernelILj128ELj15ELj16EdEEvi20rocsparse_direction_NS_24const_host_device_scalarIT2_EEPKiS6_PKS3_S8_S4_PS3_21rocsparse_index_base_b,comdat
	.globl	_ZN9rocsparseL19gebsrmvn_1xn_kernelILj128ELj15ELj16EdEEvi20rocsparse_direction_NS_24const_host_device_scalarIT2_EEPKiS6_PKS3_S8_S4_PS3_21rocsparse_index_base_b ; -- Begin function _ZN9rocsparseL19gebsrmvn_1xn_kernelILj128ELj15ELj16EdEEvi20rocsparse_direction_NS_24const_host_device_scalarIT2_EEPKiS6_PKS3_S8_S4_PS3_21rocsparse_index_base_b
	.p2align	8
	.type	_ZN9rocsparseL19gebsrmvn_1xn_kernelILj128ELj15ELj16EdEEvi20rocsparse_direction_NS_24const_host_device_scalarIT2_EEPKiS6_PKS3_S8_S4_PS3_21rocsparse_index_base_b,@function
_ZN9rocsparseL19gebsrmvn_1xn_kernelILj128ELj15ELj16EdEEvi20rocsparse_direction_NS_24const_host_device_scalarIT2_EEPKiS6_PKS3_S8_S4_PS3_21rocsparse_index_base_b: ; @_ZN9rocsparseL19gebsrmvn_1xn_kernelILj128ELj15ELj16EdEEvi20rocsparse_direction_NS_24const_host_device_scalarIT2_EEPKiS6_PKS3_S8_S4_PS3_21rocsparse_index_base_b
; %bb.0:
	s_clause 0x2
	s_load_dwordx2 s[8:9], s[4:5], 0x40
	s_load_dwordx2 s[2:3], s[4:5], 0x8
	;; [unrolled: 1-line block ×3, first 2 shown]
	s_waitcnt lgkmcnt(0)
	s_bitcmp1_b32 s9, 0
	v_mov_b32_e32 v4, s3
	v_mov_b32_e32 v3, s2
	s_cselect_b32 s7, -1, 0
	s_and_b32 vcc_lo, exec_lo, s7
	s_xor_b32 s7, s7, -1
	s_cbranch_vccnz .LBB143_2
; %bb.1:
	v_mov_b32_e32 v1, s2
	v_mov_b32_e32 v2, s3
	flat_load_dwordx2 v[3:4], v[1:2]
.LBB143_2:
	v_mov_b32_e32 v2, s1
	v_mov_b32_e32 v1, s0
	s_andn2_b32 vcc_lo, exec_lo, s7
	s_cbranch_vccnz .LBB143_4
; %bb.3:
	v_mov_b32_e32 v2, s1
	v_mov_b32_e32 v1, s0
	flat_load_dwordx2 v[1:2], v[1:2]
.LBB143_4:
	s_waitcnt vmcnt(0) lgkmcnt(0)
	v_cmp_neq_f64_e32 vcc_lo, 0, v[3:4]
	v_cmp_neq_f64_e64 s0, 1.0, v[1:2]
	s_or_b32 s0, vcc_lo, s0
	s_and_saveexec_b32 s1, s0
	s_cbranch_execz .LBB143_15
; %bb.5:
	s_load_dword s0, s[4:5], 0x0
	v_lshrrev_b32_e32 v5, 4, v0
	v_lshl_or_b32 v5, s6, 3, v5
	s_waitcnt lgkmcnt(0)
	v_cmp_gt_i32_e32 vcc_lo, s0, v5
	s_and_b32 exec_lo, exec_lo, vcc_lo
	s_cbranch_execz .LBB143_15
; %bb.6:
	s_clause 0x1
	s_load_dwordx2 s[0:1], s[4:5], 0x10
	s_load_dwordx2 s[6:7], s[4:5], 0x38
	v_ashrrev_i32_e32 v6, 31, v5
	v_and_b32_e32 v0, 15, v0
	v_mov_b32_e32 v13, 0
	v_mov_b32_e32 v14, 0
	s_mov_b32 s9, exec_lo
	v_lshlrev_b64 v[7:8], 2, v[5:6]
	v_subrev_nc_u32_e32 v9, s8, v0
	s_waitcnt lgkmcnt(0)
	v_add_co_u32 v7, vcc_lo, s0, v7
	v_add_co_ci_u32_e64 v8, null, s1, v8, vcc_lo
	global_load_dwordx2 v[7:8], v[7:8], off
	s_waitcnt vmcnt(0)
	v_subrev_nc_u32_e32 v17, s8, v8
	v_add_nc_u32_e32 v7, v7, v9
	v_cmpx_lt_i32_e64 v7, v17
	s_cbranch_execz .LBB143_10
; %bb.7:
	s_clause 0x1
	s_load_dwordx4 s[0:3], s[4:5], 0x18
	s_load_dwordx2 s[4:5], s[4:5], 0x28
	v_mad_u64_u32 v[9:10], null, v7, 15, 14
	v_mov_b32_e32 v13, 0
	v_mov_b32_e32 v14, 0
	;; [unrolled: 1-line block ×3, first 2 shown]
	s_mov_b32 s10, 0
.LBB143_8:                              ; =>This Inner Loop Header: Depth=1
	v_ashrrev_i32_e32 v8, 31, v7
	v_add_nc_u32_e32 v11, -14, v9
	v_mov_b32_e32 v16, v12
	v_lshlrev_b64 v[20:21], 2, v[7:8]
	v_lshlrev_b64 v[18:19], 3, v[11:12]
	v_add_nc_u32_e32 v11, -13, v9
	v_add_nc_u32_e32 v7, 16, v7
	s_waitcnt lgkmcnt(0)
	v_add_co_u32 v20, vcc_lo, s0, v20
	v_add_co_ci_u32_e64 v21, null, s1, v21, vcc_lo
	v_lshlrev_b64 v[10:11], 3, v[11:12]
	v_add_co_u32 v18, vcc_lo, s2, v18
	global_load_dword v8, v[20:21], off
	v_add_co_ci_u32_e64 v19, null, s3, v19, vcc_lo
	v_add_co_u32 v10, vcc_lo, s2, v10
	v_add_co_ci_u32_e64 v11, null, s3, v11, vcc_lo
	s_clause 0x1
	global_load_dwordx2 v[18:19], v[18:19], off
	global_load_dwordx2 v[20:21], v[10:11], off
	s_waitcnt vmcnt(2)
	v_subrev_nc_u32_e32 v8, s8, v8
	v_mul_lo_u32 v15, v8, 15
	v_lshlrev_b64 v[22:23], 3, v[15:16]
	v_add_nc_u32_e32 v11, 1, v15
	v_lshlrev_b64 v[24:25], 3, v[11:12]
	v_add_co_u32 v22, vcc_lo, s4, v22
	v_add_co_ci_u32_e64 v23, null, s5, v23, vcc_lo
	v_add_nc_u32_e32 v11, -12, v9
	v_add_co_u32 v24, vcc_lo, s4, v24
	global_load_dwordx2 v[22:23], v[22:23], off
	v_add_co_ci_u32_e64 v25, null, s5, v25, vcc_lo
	v_lshlrev_b64 v[26:27], 3, v[11:12]
	v_add_nc_u32_e32 v11, 2, v15
	global_load_dwordx2 v[24:25], v[24:25], off
	v_lshlrev_b64 v[28:29], 3, v[11:12]
	v_add_nc_u32_e32 v11, -11, v9
	v_add_co_u32 v26, vcc_lo, s2, v26
	v_add_co_ci_u32_e64 v27, null, s3, v27, vcc_lo
	v_lshlrev_b64 v[30:31], 3, v[11:12]
	v_add_nc_u32_e32 v11, 3, v15
	v_add_co_u32 v28, vcc_lo, s4, v28
	v_add_co_ci_u32_e64 v29, null, s5, v29, vcc_lo
	v_lshlrev_b64 v[32:33], 3, v[11:12]
	v_add_nc_u32_e32 v11, -10, v9
	v_add_co_u32 v30, vcc_lo, s2, v30
	v_add_co_ci_u32_e64 v31, null, s3, v31, vcc_lo
	v_lshlrev_b64 v[34:35], 3, v[11:12]
	v_add_nc_u32_e32 v11, 4, v15
	v_add_co_u32 v32, vcc_lo, s4, v32
	v_add_co_ci_u32_e64 v33, null, s5, v33, vcc_lo
	;; [unrolled: 8-line block ×9, first 2 shown]
	v_lshlrev_b64 v[64:65], 3, v[11:12]
	v_add_nc_u32_e32 v11, -2, v9
	v_add_co_u32 v62, vcc_lo, s2, v62
	v_add_co_ci_u32_e64 v63, null, s3, v63, vcc_lo
	s_waitcnt vmcnt(1)
	v_fma_f64 v[13:14], v[18:19], v[22:23], v[13:14]
	v_lshlrev_b64 v[18:19], 3, v[11:12]
	v_add_nc_u32_e32 v11, 12, v15
	v_add_co_u32 v22, vcc_lo, s4, v64
	v_add_co_ci_u32_e64 v23, null, s5, v65, vcc_lo
	v_lshlrev_b64 v[64:65], 3, v[11:12]
	v_add_co_u32 v18, vcc_lo, s2, v18
	v_add_co_ci_u32_e64 v19, null, s3, v19, vcc_lo
	v_add_nc_u32_e32 v11, -1, v9
	s_waitcnt vmcnt(0)
	v_fma_f64 v[13:14], v[20:21], v[24:25], v[13:14]
	v_add_co_u32 v24, vcc_lo, s4, v64
	v_add_co_ci_u32_e64 v25, null, s5, v65, vcc_lo
	global_load_dwordx2 v[26:27], v[26:27], off
	global_load_dwordx2 v[28:29], v[28:29], off
	;; [unrolled: 1-line block ×22, first 2 shown]
	v_lshlrev_b64 v[20:21], 3, v[11:12]
	v_add_nc_u32_e32 v11, 13, v15
	v_lshlrev_b64 v[10:11], 3, v[11:12]
	v_add_co_u32 v20, vcc_lo, s2, v20
	v_add_co_ci_u32_e64 v21, null, s3, v21, vcc_lo
	v_add_co_u32 v64, vcc_lo, s4, v10
	v_add_co_ci_u32_e64 v65, null, s5, v11, vcc_lo
	global_load_dwordx2 v[20:21], v[20:21], off
	global_load_dwordx2 v[64:65], v[64:65], off
	v_mov_b32_e32 v10, v12
	v_add_nc_u32_e32 v11, 14, v15
	v_lshlrev_b64 v[15:16], 3, v[9:10]
	v_add_nc_u32_e32 v9, 0xf0, v9
	v_add_co_u32 v10, vcc_lo, s2, v15
	s_waitcnt vmcnt(22)
	v_fma_f64 v[13:14], v[26:27], v[28:29], v[13:14]
	v_lshlrev_b64 v[26:27], 3, v[11:12]
	v_add_co_ci_u32_e64 v11, null, s3, v16, vcc_lo
	v_add_co_u32 v15, vcc_lo, s4, v26
	v_add_co_ci_u32_e64 v16, null, s5, v27, vcc_lo
	global_load_dwordx2 v[10:11], v[10:11], off
	global_load_dwordx2 v[15:16], v[15:16], off
	v_cmp_ge_i32_e32 vcc_lo, v7, v17
	s_or_b32 s10, vcc_lo, s10
	s_waitcnt vmcnt(22)
	v_fma_f64 v[13:14], v[30:31], v[32:33], v[13:14]
	s_waitcnt vmcnt(20)
	v_fma_f64 v[13:14], v[34:35], v[36:37], v[13:14]
	;; [unrolled: 2-line block ×12, first 2 shown]
	s_andn2_b32 exec_lo, exec_lo, s10
	s_cbranch_execnz .LBB143_8
; %bb.9:
	s_or_b32 exec_lo, exec_lo, s10
.LBB143_10:
	s_or_b32 exec_lo, exec_lo, s9
	v_mbcnt_lo_u32_b32 v11, -1, 0
	v_xor_b32_e32 v7, 8, v11
	v_xor_b32_e32 v9, 4, v11
	v_cmp_gt_i32_e32 vcc_lo, 32, v7
	v_cndmask_b32_e32 v7, v11, v7, vcc_lo
	v_cmp_gt_i32_e32 vcc_lo, 32, v9
	v_lshlrev_b32_e32 v8, 2, v7
	v_cndmask_b32_e32 v9, v11, v9, vcc_lo
	ds_bpermute_b32 v7, v8, v13
	ds_bpermute_b32 v8, v8, v14
	v_lshlrev_b32_e32 v10, 2, v9
	s_waitcnt lgkmcnt(0)
	v_add_f64 v[7:8], v[13:14], v[7:8]
	ds_bpermute_b32 v9, v10, v7
	ds_bpermute_b32 v10, v10, v8
	s_waitcnt lgkmcnt(0)
	v_add_f64 v[7:8], v[7:8], v[9:10]
	v_xor_b32_e32 v9, 2, v11
	v_cmp_gt_i32_e32 vcc_lo, 32, v9
	v_cndmask_b32_e32 v9, v11, v9, vcc_lo
	v_lshlrev_b32_e32 v10, 2, v9
	ds_bpermute_b32 v9, v10, v7
	ds_bpermute_b32 v10, v10, v8
	s_waitcnt lgkmcnt(0)
	v_add_f64 v[7:8], v[7:8], v[9:10]
	v_xor_b32_e32 v9, 1, v11
	v_cmp_gt_i32_e32 vcc_lo, 32, v9
	v_cndmask_b32_e32 v9, v11, v9, vcc_lo
	v_cmp_eq_u32_e32 vcc_lo, 15, v0
	v_lshlrev_b32_e32 v10, 2, v9
	ds_bpermute_b32 v9, v10, v7
	ds_bpermute_b32 v10, v10, v8
	s_and_b32 exec_lo, exec_lo, vcc_lo
	s_cbranch_execz .LBB143_15
; %bb.11:
	s_waitcnt lgkmcnt(0)
	v_add_f64 v[7:8], v[7:8], v[9:10]
	v_lshlrev_b64 v[5:6], 3, v[5:6]
	s_mov_b32 s0, exec_lo
	v_mul_f64 v[3:4], v[3:4], v[7:8]
	v_cmpx_eq_f64_e32 0, v[1:2]
	s_xor_b32 s0, exec_lo, s0
	s_cbranch_execz .LBB143_13
; %bb.12:
	v_add_co_u32 v0, vcc_lo, s6, v5
	v_add_co_ci_u32_e64 v1, null, s7, v6, vcc_lo
                                        ; implicit-def: $vgpr5_vgpr6
	global_store_dwordx2 v[0:1], v[3:4], off
                                        ; implicit-def: $vgpr1_vgpr2
                                        ; implicit-def: $vgpr3_vgpr4
.LBB143_13:
	s_andn2_saveexec_b32 s0, s0
	s_cbranch_execz .LBB143_15
; %bb.14:
	v_add_co_u32 v5, vcc_lo, s6, v5
	v_add_co_ci_u32_e64 v6, null, s7, v6, vcc_lo
	global_load_dwordx2 v[7:8], v[5:6], off
	s_waitcnt vmcnt(0)
	v_fma_f64 v[0:1], v[1:2], v[7:8], v[3:4]
	global_store_dwordx2 v[5:6], v[0:1], off
.LBB143_15:
	s_endpgm
	.section	.rodata,"a",@progbits
	.p2align	6, 0x0
	.amdhsa_kernel _ZN9rocsparseL19gebsrmvn_1xn_kernelILj128ELj15ELj16EdEEvi20rocsparse_direction_NS_24const_host_device_scalarIT2_EEPKiS6_PKS3_S8_S4_PS3_21rocsparse_index_base_b
		.amdhsa_group_segment_fixed_size 0
		.amdhsa_private_segment_fixed_size 0
		.amdhsa_kernarg_size 72
		.amdhsa_user_sgpr_count 6
		.amdhsa_user_sgpr_private_segment_buffer 1
		.amdhsa_user_sgpr_dispatch_ptr 0
		.amdhsa_user_sgpr_queue_ptr 0
		.amdhsa_user_sgpr_kernarg_segment_ptr 1
		.amdhsa_user_sgpr_dispatch_id 0
		.amdhsa_user_sgpr_flat_scratch_init 0
		.amdhsa_user_sgpr_private_segment_size 0
		.amdhsa_wavefront_size32 1
		.amdhsa_uses_dynamic_stack 0
		.amdhsa_system_sgpr_private_segment_wavefront_offset 0
		.amdhsa_system_sgpr_workgroup_id_x 1
		.amdhsa_system_sgpr_workgroup_id_y 0
		.amdhsa_system_sgpr_workgroup_id_z 0
		.amdhsa_system_sgpr_workgroup_info 0
		.amdhsa_system_vgpr_workitem_id 0
		.amdhsa_next_free_vgpr 66
		.amdhsa_next_free_sgpr 11
		.amdhsa_reserve_vcc 1
		.amdhsa_reserve_flat_scratch 0
		.amdhsa_float_round_mode_32 0
		.amdhsa_float_round_mode_16_64 0
		.amdhsa_float_denorm_mode_32 3
		.amdhsa_float_denorm_mode_16_64 3
		.amdhsa_dx10_clamp 1
		.amdhsa_ieee_mode 1
		.amdhsa_fp16_overflow 0
		.amdhsa_workgroup_processor_mode 1
		.amdhsa_memory_ordered 1
		.amdhsa_forward_progress 1
		.amdhsa_shared_vgpr_count 0
		.amdhsa_exception_fp_ieee_invalid_op 0
		.amdhsa_exception_fp_denorm_src 0
		.amdhsa_exception_fp_ieee_div_zero 0
		.amdhsa_exception_fp_ieee_overflow 0
		.amdhsa_exception_fp_ieee_underflow 0
		.amdhsa_exception_fp_ieee_inexact 0
		.amdhsa_exception_int_div_zero 0
	.end_amdhsa_kernel
	.section	.text._ZN9rocsparseL19gebsrmvn_1xn_kernelILj128ELj15ELj16EdEEvi20rocsparse_direction_NS_24const_host_device_scalarIT2_EEPKiS6_PKS3_S8_S4_PS3_21rocsparse_index_base_b,"axG",@progbits,_ZN9rocsparseL19gebsrmvn_1xn_kernelILj128ELj15ELj16EdEEvi20rocsparse_direction_NS_24const_host_device_scalarIT2_EEPKiS6_PKS3_S8_S4_PS3_21rocsparse_index_base_b,comdat
.Lfunc_end143:
	.size	_ZN9rocsparseL19gebsrmvn_1xn_kernelILj128ELj15ELj16EdEEvi20rocsparse_direction_NS_24const_host_device_scalarIT2_EEPKiS6_PKS3_S8_S4_PS3_21rocsparse_index_base_b, .Lfunc_end143-_ZN9rocsparseL19gebsrmvn_1xn_kernelILj128ELj15ELj16EdEEvi20rocsparse_direction_NS_24const_host_device_scalarIT2_EEPKiS6_PKS3_S8_S4_PS3_21rocsparse_index_base_b
                                        ; -- End function
	.set _ZN9rocsparseL19gebsrmvn_1xn_kernelILj128ELj15ELj16EdEEvi20rocsparse_direction_NS_24const_host_device_scalarIT2_EEPKiS6_PKS3_S8_S4_PS3_21rocsparse_index_base_b.num_vgpr, 66
	.set _ZN9rocsparseL19gebsrmvn_1xn_kernelILj128ELj15ELj16EdEEvi20rocsparse_direction_NS_24const_host_device_scalarIT2_EEPKiS6_PKS3_S8_S4_PS3_21rocsparse_index_base_b.num_agpr, 0
	.set _ZN9rocsparseL19gebsrmvn_1xn_kernelILj128ELj15ELj16EdEEvi20rocsparse_direction_NS_24const_host_device_scalarIT2_EEPKiS6_PKS3_S8_S4_PS3_21rocsparse_index_base_b.numbered_sgpr, 11
	.set _ZN9rocsparseL19gebsrmvn_1xn_kernelILj128ELj15ELj16EdEEvi20rocsparse_direction_NS_24const_host_device_scalarIT2_EEPKiS6_PKS3_S8_S4_PS3_21rocsparse_index_base_b.num_named_barrier, 0
	.set _ZN9rocsparseL19gebsrmvn_1xn_kernelILj128ELj15ELj16EdEEvi20rocsparse_direction_NS_24const_host_device_scalarIT2_EEPKiS6_PKS3_S8_S4_PS3_21rocsparse_index_base_b.private_seg_size, 0
	.set _ZN9rocsparseL19gebsrmvn_1xn_kernelILj128ELj15ELj16EdEEvi20rocsparse_direction_NS_24const_host_device_scalarIT2_EEPKiS6_PKS3_S8_S4_PS3_21rocsparse_index_base_b.uses_vcc, 1
	.set _ZN9rocsparseL19gebsrmvn_1xn_kernelILj128ELj15ELj16EdEEvi20rocsparse_direction_NS_24const_host_device_scalarIT2_EEPKiS6_PKS3_S8_S4_PS3_21rocsparse_index_base_b.uses_flat_scratch, 0
	.set _ZN9rocsparseL19gebsrmvn_1xn_kernelILj128ELj15ELj16EdEEvi20rocsparse_direction_NS_24const_host_device_scalarIT2_EEPKiS6_PKS3_S8_S4_PS3_21rocsparse_index_base_b.has_dyn_sized_stack, 0
	.set _ZN9rocsparseL19gebsrmvn_1xn_kernelILj128ELj15ELj16EdEEvi20rocsparse_direction_NS_24const_host_device_scalarIT2_EEPKiS6_PKS3_S8_S4_PS3_21rocsparse_index_base_b.has_recursion, 0
	.set _ZN9rocsparseL19gebsrmvn_1xn_kernelILj128ELj15ELj16EdEEvi20rocsparse_direction_NS_24const_host_device_scalarIT2_EEPKiS6_PKS3_S8_S4_PS3_21rocsparse_index_base_b.has_indirect_call, 0
	.section	.AMDGPU.csdata,"",@progbits
; Kernel info:
; codeLenInByte = 1984
; TotalNumSgprs: 13
; NumVgprs: 66
; ScratchSize: 0
; MemoryBound: 0
; FloatMode: 240
; IeeeMode: 1
; LDSByteSize: 0 bytes/workgroup (compile time only)
; SGPRBlocks: 0
; VGPRBlocks: 8
; NumSGPRsForWavesPerEU: 13
; NumVGPRsForWavesPerEU: 66
; Occupancy: 12
; WaveLimiterHint : 1
; COMPUTE_PGM_RSRC2:SCRATCH_EN: 0
; COMPUTE_PGM_RSRC2:USER_SGPR: 6
; COMPUTE_PGM_RSRC2:TRAP_HANDLER: 0
; COMPUTE_PGM_RSRC2:TGID_X_EN: 1
; COMPUTE_PGM_RSRC2:TGID_Y_EN: 0
; COMPUTE_PGM_RSRC2:TGID_Z_EN: 0
; COMPUTE_PGM_RSRC2:TIDIG_COMP_CNT: 0
	.section	.text._ZN9rocsparseL19gebsrmvn_1xn_kernelILj128ELj15ELj32EdEEvi20rocsparse_direction_NS_24const_host_device_scalarIT2_EEPKiS6_PKS3_S8_S4_PS3_21rocsparse_index_base_b,"axG",@progbits,_ZN9rocsparseL19gebsrmvn_1xn_kernelILj128ELj15ELj32EdEEvi20rocsparse_direction_NS_24const_host_device_scalarIT2_EEPKiS6_PKS3_S8_S4_PS3_21rocsparse_index_base_b,comdat
	.globl	_ZN9rocsparseL19gebsrmvn_1xn_kernelILj128ELj15ELj32EdEEvi20rocsparse_direction_NS_24const_host_device_scalarIT2_EEPKiS6_PKS3_S8_S4_PS3_21rocsparse_index_base_b ; -- Begin function _ZN9rocsparseL19gebsrmvn_1xn_kernelILj128ELj15ELj32EdEEvi20rocsparse_direction_NS_24const_host_device_scalarIT2_EEPKiS6_PKS3_S8_S4_PS3_21rocsparse_index_base_b
	.p2align	8
	.type	_ZN9rocsparseL19gebsrmvn_1xn_kernelILj128ELj15ELj32EdEEvi20rocsparse_direction_NS_24const_host_device_scalarIT2_EEPKiS6_PKS3_S8_S4_PS3_21rocsparse_index_base_b,@function
_ZN9rocsparseL19gebsrmvn_1xn_kernelILj128ELj15ELj32EdEEvi20rocsparse_direction_NS_24const_host_device_scalarIT2_EEPKiS6_PKS3_S8_S4_PS3_21rocsparse_index_base_b: ; @_ZN9rocsparseL19gebsrmvn_1xn_kernelILj128ELj15ELj32EdEEvi20rocsparse_direction_NS_24const_host_device_scalarIT2_EEPKiS6_PKS3_S8_S4_PS3_21rocsparse_index_base_b
; %bb.0:
	s_clause 0x2
	s_load_dwordx2 s[8:9], s[4:5], 0x40
	s_load_dwordx2 s[2:3], s[4:5], 0x8
	;; [unrolled: 1-line block ×3, first 2 shown]
	s_waitcnt lgkmcnt(0)
	s_bitcmp1_b32 s9, 0
	v_mov_b32_e32 v4, s3
	v_mov_b32_e32 v3, s2
	s_cselect_b32 s7, -1, 0
	s_and_b32 vcc_lo, exec_lo, s7
	s_xor_b32 s7, s7, -1
	s_cbranch_vccnz .LBB144_2
; %bb.1:
	v_mov_b32_e32 v1, s2
	v_mov_b32_e32 v2, s3
	flat_load_dwordx2 v[3:4], v[1:2]
.LBB144_2:
	v_mov_b32_e32 v2, s1
	v_mov_b32_e32 v1, s0
	s_andn2_b32 vcc_lo, exec_lo, s7
	s_cbranch_vccnz .LBB144_4
; %bb.3:
	v_mov_b32_e32 v2, s1
	v_mov_b32_e32 v1, s0
	flat_load_dwordx2 v[1:2], v[1:2]
.LBB144_4:
	s_waitcnt vmcnt(0) lgkmcnt(0)
	v_cmp_neq_f64_e32 vcc_lo, 0, v[3:4]
	v_cmp_neq_f64_e64 s0, 1.0, v[1:2]
	s_or_b32 s0, vcc_lo, s0
	s_and_saveexec_b32 s1, s0
	s_cbranch_execz .LBB144_15
; %bb.5:
	s_load_dword s0, s[4:5], 0x0
	v_lshrrev_b32_e32 v5, 5, v0
	v_lshl_or_b32 v5, s6, 2, v5
	s_waitcnt lgkmcnt(0)
	v_cmp_gt_i32_e32 vcc_lo, s0, v5
	s_and_b32 exec_lo, exec_lo, vcc_lo
	s_cbranch_execz .LBB144_15
; %bb.6:
	s_clause 0x1
	s_load_dwordx2 s[0:1], s[4:5], 0x10
	s_load_dwordx2 s[6:7], s[4:5], 0x38
	v_ashrrev_i32_e32 v6, 31, v5
	v_and_b32_e32 v0, 31, v0
	v_mov_b32_e32 v13, 0
	v_mov_b32_e32 v14, 0
	s_mov_b32 s9, exec_lo
	v_lshlrev_b64 v[7:8], 2, v[5:6]
	v_subrev_nc_u32_e32 v9, s8, v0
	s_waitcnt lgkmcnt(0)
	v_add_co_u32 v7, vcc_lo, s0, v7
	v_add_co_ci_u32_e64 v8, null, s1, v8, vcc_lo
	global_load_dwordx2 v[7:8], v[7:8], off
	s_waitcnt vmcnt(0)
	v_subrev_nc_u32_e32 v17, s8, v8
	v_add_nc_u32_e32 v7, v7, v9
	v_cmpx_lt_i32_e64 v7, v17
	s_cbranch_execz .LBB144_10
; %bb.7:
	s_clause 0x1
	s_load_dwordx4 s[0:3], s[4:5], 0x18
	s_load_dwordx2 s[4:5], s[4:5], 0x28
	v_mad_u64_u32 v[9:10], null, v7, 15, 14
	v_mov_b32_e32 v13, 0
	v_mov_b32_e32 v14, 0
	;; [unrolled: 1-line block ×3, first 2 shown]
	s_mov_b32 s10, 0
.LBB144_8:                              ; =>This Inner Loop Header: Depth=1
	v_ashrrev_i32_e32 v8, 31, v7
	v_add_nc_u32_e32 v11, -14, v9
	v_mov_b32_e32 v16, v12
	v_lshlrev_b64 v[20:21], 2, v[7:8]
	v_lshlrev_b64 v[18:19], 3, v[11:12]
	v_add_nc_u32_e32 v11, -13, v9
	v_add_nc_u32_e32 v7, 32, v7
	s_waitcnt lgkmcnt(0)
	v_add_co_u32 v20, vcc_lo, s0, v20
	v_add_co_ci_u32_e64 v21, null, s1, v21, vcc_lo
	v_lshlrev_b64 v[10:11], 3, v[11:12]
	v_add_co_u32 v18, vcc_lo, s2, v18
	global_load_dword v8, v[20:21], off
	v_add_co_ci_u32_e64 v19, null, s3, v19, vcc_lo
	v_add_co_u32 v10, vcc_lo, s2, v10
	v_add_co_ci_u32_e64 v11, null, s3, v11, vcc_lo
	s_clause 0x1
	global_load_dwordx2 v[18:19], v[18:19], off
	global_load_dwordx2 v[20:21], v[10:11], off
	s_waitcnt vmcnt(2)
	v_subrev_nc_u32_e32 v8, s8, v8
	v_mul_lo_u32 v15, v8, 15
	v_lshlrev_b64 v[22:23], 3, v[15:16]
	v_add_nc_u32_e32 v11, 1, v15
	v_lshlrev_b64 v[24:25], 3, v[11:12]
	v_add_co_u32 v22, vcc_lo, s4, v22
	v_add_co_ci_u32_e64 v23, null, s5, v23, vcc_lo
	v_add_nc_u32_e32 v11, -12, v9
	v_add_co_u32 v24, vcc_lo, s4, v24
	global_load_dwordx2 v[22:23], v[22:23], off
	v_add_co_ci_u32_e64 v25, null, s5, v25, vcc_lo
	v_lshlrev_b64 v[26:27], 3, v[11:12]
	v_add_nc_u32_e32 v11, 2, v15
	global_load_dwordx2 v[24:25], v[24:25], off
	v_lshlrev_b64 v[28:29], 3, v[11:12]
	v_add_nc_u32_e32 v11, -11, v9
	v_add_co_u32 v26, vcc_lo, s2, v26
	v_add_co_ci_u32_e64 v27, null, s3, v27, vcc_lo
	v_lshlrev_b64 v[30:31], 3, v[11:12]
	v_add_nc_u32_e32 v11, 3, v15
	v_add_co_u32 v28, vcc_lo, s4, v28
	v_add_co_ci_u32_e64 v29, null, s5, v29, vcc_lo
	v_lshlrev_b64 v[32:33], 3, v[11:12]
	v_add_nc_u32_e32 v11, -10, v9
	v_add_co_u32 v30, vcc_lo, s2, v30
	v_add_co_ci_u32_e64 v31, null, s3, v31, vcc_lo
	v_lshlrev_b64 v[34:35], 3, v[11:12]
	v_add_nc_u32_e32 v11, 4, v15
	v_add_co_u32 v32, vcc_lo, s4, v32
	v_add_co_ci_u32_e64 v33, null, s5, v33, vcc_lo
	;; [unrolled: 8-line block ×9, first 2 shown]
	v_lshlrev_b64 v[64:65], 3, v[11:12]
	v_add_nc_u32_e32 v11, -2, v9
	v_add_co_u32 v62, vcc_lo, s2, v62
	v_add_co_ci_u32_e64 v63, null, s3, v63, vcc_lo
	s_waitcnt vmcnt(1)
	v_fma_f64 v[13:14], v[18:19], v[22:23], v[13:14]
	v_lshlrev_b64 v[18:19], 3, v[11:12]
	v_add_nc_u32_e32 v11, 12, v15
	v_add_co_u32 v22, vcc_lo, s4, v64
	v_add_co_ci_u32_e64 v23, null, s5, v65, vcc_lo
	v_lshlrev_b64 v[64:65], 3, v[11:12]
	v_add_co_u32 v18, vcc_lo, s2, v18
	v_add_co_ci_u32_e64 v19, null, s3, v19, vcc_lo
	v_add_nc_u32_e32 v11, -1, v9
	s_waitcnt vmcnt(0)
	v_fma_f64 v[13:14], v[20:21], v[24:25], v[13:14]
	v_add_co_u32 v24, vcc_lo, s4, v64
	v_add_co_ci_u32_e64 v25, null, s5, v65, vcc_lo
	global_load_dwordx2 v[26:27], v[26:27], off
	global_load_dwordx2 v[28:29], v[28:29], off
	;; [unrolled: 1-line block ×22, first 2 shown]
	v_lshlrev_b64 v[20:21], 3, v[11:12]
	v_add_nc_u32_e32 v11, 13, v15
	v_lshlrev_b64 v[10:11], 3, v[11:12]
	v_add_co_u32 v20, vcc_lo, s2, v20
	v_add_co_ci_u32_e64 v21, null, s3, v21, vcc_lo
	v_add_co_u32 v64, vcc_lo, s4, v10
	v_add_co_ci_u32_e64 v65, null, s5, v11, vcc_lo
	global_load_dwordx2 v[20:21], v[20:21], off
	global_load_dwordx2 v[64:65], v[64:65], off
	v_mov_b32_e32 v10, v12
	v_add_nc_u32_e32 v11, 14, v15
	v_lshlrev_b64 v[15:16], 3, v[9:10]
	v_add_nc_u32_e32 v9, 0x1e0, v9
	v_add_co_u32 v10, vcc_lo, s2, v15
	s_waitcnt vmcnt(22)
	v_fma_f64 v[13:14], v[26:27], v[28:29], v[13:14]
	v_lshlrev_b64 v[26:27], 3, v[11:12]
	v_add_co_ci_u32_e64 v11, null, s3, v16, vcc_lo
	v_add_co_u32 v15, vcc_lo, s4, v26
	v_add_co_ci_u32_e64 v16, null, s5, v27, vcc_lo
	global_load_dwordx2 v[10:11], v[10:11], off
	global_load_dwordx2 v[15:16], v[15:16], off
	v_cmp_ge_i32_e32 vcc_lo, v7, v17
	s_or_b32 s10, vcc_lo, s10
	s_waitcnt vmcnt(22)
	v_fma_f64 v[13:14], v[30:31], v[32:33], v[13:14]
	s_waitcnt vmcnt(20)
	v_fma_f64 v[13:14], v[34:35], v[36:37], v[13:14]
	;; [unrolled: 2-line block ×12, first 2 shown]
	s_andn2_b32 exec_lo, exec_lo, s10
	s_cbranch_execnz .LBB144_8
; %bb.9:
	s_or_b32 exec_lo, exec_lo, s10
.LBB144_10:
	s_or_b32 exec_lo, exec_lo, s9
	v_mbcnt_lo_u32_b32 v11, -1, 0
	v_xor_b32_e32 v7, 16, v11
	v_xor_b32_e32 v9, 8, v11
	v_cmp_gt_i32_e32 vcc_lo, 32, v7
	v_cndmask_b32_e32 v7, v11, v7, vcc_lo
	v_cmp_gt_i32_e32 vcc_lo, 32, v9
	v_lshlrev_b32_e32 v8, 2, v7
	v_cndmask_b32_e32 v9, v11, v9, vcc_lo
	ds_bpermute_b32 v7, v8, v13
	ds_bpermute_b32 v8, v8, v14
	v_lshlrev_b32_e32 v10, 2, v9
	s_waitcnt lgkmcnt(0)
	v_add_f64 v[7:8], v[13:14], v[7:8]
	ds_bpermute_b32 v9, v10, v7
	ds_bpermute_b32 v10, v10, v8
	s_waitcnt lgkmcnt(0)
	v_add_f64 v[7:8], v[7:8], v[9:10]
	v_xor_b32_e32 v9, 4, v11
	v_cmp_gt_i32_e32 vcc_lo, 32, v9
	v_cndmask_b32_e32 v9, v11, v9, vcc_lo
	v_lshlrev_b32_e32 v10, 2, v9
	ds_bpermute_b32 v9, v10, v7
	ds_bpermute_b32 v10, v10, v8
	s_waitcnt lgkmcnt(0)
	v_add_f64 v[7:8], v[7:8], v[9:10]
	v_xor_b32_e32 v9, 2, v11
	v_cmp_gt_i32_e32 vcc_lo, 32, v9
	v_cndmask_b32_e32 v9, v11, v9, vcc_lo
	v_lshlrev_b32_e32 v10, 2, v9
	ds_bpermute_b32 v9, v10, v7
	ds_bpermute_b32 v10, v10, v8
	s_waitcnt lgkmcnt(0)
	v_add_f64 v[7:8], v[7:8], v[9:10]
	v_xor_b32_e32 v9, 1, v11
	v_cmp_gt_i32_e32 vcc_lo, 32, v9
	v_cndmask_b32_e32 v9, v11, v9, vcc_lo
	v_cmp_eq_u32_e32 vcc_lo, 31, v0
	v_lshlrev_b32_e32 v10, 2, v9
	ds_bpermute_b32 v9, v10, v7
	ds_bpermute_b32 v10, v10, v8
	s_and_b32 exec_lo, exec_lo, vcc_lo
	s_cbranch_execz .LBB144_15
; %bb.11:
	s_waitcnt lgkmcnt(0)
	v_add_f64 v[7:8], v[7:8], v[9:10]
	v_lshlrev_b64 v[5:6], 3, v[5:6]
	s_mov_b32 s0, exec_lo
	v_mul_f64 v[3:4], v[3:4], v[7:8]
	v_cmpx_eq_f64_e32 0, v[1:2]
	s_xor_b32 s0, exec_lo, s0
	s_cbranch_execz .LBB144_13
; %bb.12:
	v_add_co_u32 v0, vcc_lo, s6, v5
	v_add_co_ci_u32_e64 v1, null, s7, v6, vcc_lo
                                        ; implicit-def: $vgpr5_vgpr6
	global_store_dwordx2 v[0:1], v[3:4], off
                                        ; implicit-def: $vgpr1_vgpr2
                                        ; implicit-def: $vgpr3_vgpr4
.LBB144_13:
	s_andn2_saveexec_b32 s0, s0
	s_cbranch_execz .LBB144_15
; %bb.14:
	v_add_co_u32 v5, vcc_lo, s6, v5
	v_add_co_ci_u32_e64 v6, null, s7, v6, vcc_lo
	global_load_dwordx2 v[7:8], v[5:6], off
	s_waitcnt vmcnt(0)
	v_fma_f64 v[0:1], v[1:2], v[7:8], v[3:4]
	global_store_dwordx2 v[5:6], v[0:1], off
.LBB144_15:
	s_endpgm
	.section	.rodata,"a",@progbits
	.p2align	6, 0x0
	.amdhsa_kernel _ZN9rocsparseL19gebsrmvn_1xn_kernelILj128ELj15ELj32EdEEvi20rocsparse_direction_NS_24const_host_device_scalarIT2_EEPKiS6_PKS3_S8_S4_PS3_21rocsparse_index_base_b
		.amdhsa_group_segment_fixed_size 0
		.amdhsa_private_segment_fixed_size 0
		.amdhsa_kernarg_size 72
		.amdhsa_user_sgpr_count 6
		.amdhsa_user_sgpr_private_segment_buffer 1
		.amdhsa_user_sgpr_dispatch_ptr 0
		.amdhsa_user_sgpr_queue_ptr 0
		.amdhsa_user_sgpr_kernarg_segment_ptr 1
		.amdhsa_user_sgpr_dispatch_id 0
		.amdhsa_user_sgpr_flat_scratch_init 0
		.amdhsa_user_sgpr_private_segment_size 0
		.amdhsa_wavefront_size32 1
		.amdhsa_uses_dynamic_stack 0
		.amdhsa_system_sgpr_private_segment_wavefront_offset 0
		.amdhsa_system_sgpr_workgroup_id_x 1
		.amdhsa_system_sgpr_workgroup_id_y 0
		.amdhsa_system_sgpr_workgroup_id_z 0
		.amdhsa_system_sgpr_workgroup_info 0
		.amdhsa_system_vgpr_workitem_id 0
		.amdhsa_next_free_vgpr 66
		.amdhsa_next_free_sgpr 11
		.amdhsa_reserve_vcc 1
		.amdhsa_reserve_flat_scratch 0
		.amdhsa_float_round_mode_32 0
		.amdhsa_float_round_mode_16_64 0
		.amdhsa_float_denorm_mode_32 3
		.amdhsa_float_denorm_mode_16_64 3
		.amdhsa_dx10_clamp 1
		.amdhsa_ieee_mode 1
		.amdhsa_fp16_overflow 0
		.amdhsa_workgroup_processor_mode 1
		.amdhsa_memory_ordered 1
		.amdhsa_forward_progress 1
		.amdhsa_shared_vgpr_count 0
		.amdhsa_exception_fp_ieee_invalid_op 0
		.amdhsa_exception_fp_denorm_src 0
		.amdhsa_exception_fp_ieee_div_zero 0
		.amdhsa_exception_fp_ieee_overflow 0
		.amdhsa_exception_fp_ieee_underflow 0
		.amdhsa_exception_fp_ieee_inexact 0
		.amdhsa_exception_int_div_zero 0
	.end_amdhsa_kernel
	.section	.text._ZN9rocsparseL19gebsrmvn_1xn_kernelILj128ELj15ELj32EdEEvi20rocsparse_direction_NS_24const_host_device_scalarIT2_EEPKiS6_PKS3_S8_S4_PS3_21rocsparse_index_base_b,"axG",@progbits,_ZN9rocsparseL19gebsrmvn_1xn_kernelILj128ELj15ELj32EdEEvi20rocsparse_direction_NS_24const_host_device_scalarIT2_EEPKiS6_PKS3_S8_S4_PS3_21rocsparse_index_base_b,comdat
.Lfunc_end144:
	.size	_ZN9rocsparseL19gebsrmvn_1xn_kernelILj128ELj15ELj32EdEEvi20rocsparse_direction_NS_24const_host_device_scalarIT2_EEPKiS6_PKS3_S8_S4_PS3_21rocsparse_index_base_b, .Lfunc_end144-_ZN9rocsparseL19gebsrmvn_1xn_kernelILj128ELj15ELj32EdEEvi20rocsparse_direction_NS_24const_host_device_scalarIT2_EEPKiS6_PKS3_S8_S4_PS3_21rocsparse_index_base_b
                                        ; -- End function
	.set _ZN9rocsparseL19gebsrmvn_1xn_kernelILj128ELj15ELj32EdEEvi20rocsparse_direction_NS_24const_host_device_scalarIT2_EEPKiS6_PKS3_S8_S4_PS3_21rocsparse_index_base_b.num_vgpr, 66
	.set _ZN9rocsparseL19gebsrmvn_1xn_kernelILj128ELj15ELj32EdEEvi20rocsparse_direction_NS_24const_host_device_scalarIT2_EEPKiS6_PKS3_S8_S4_PS3_21rocsparse_index_base_b.num_agpr, 0
	.set _ZN9rocsparseL19gebsrmvn_1xn_kernelILj128ELj15ELj32EdEEvi20rocsparse_direction_NS_24const_host_device_scalarIT2_EEPKiS6_PKS3_S8_S4_PS3_21rocsparse_index_base_b.numbered_sgpr, 11
	.set _ZN9rocsparseL19gebsrmvn_1xn_kernelILj128ELj15ELj32EdEEvi20rocsparse_direction_NS_24const_host_device_scalarIT2_EEPKiS6_PKS3_S8_S4_PS3_21rocsparse_index_base_b.num_named_barrier, 0
	.set _ZN9rocsparseL19gebsrmvn_1xn_kernelILj128ELj15ELj32EdEEvi20rocsparse_direction_NS_24const_host_device_scalarIT2_EEPKiS6_PKS3_S8_S4_PS3_21rocsparse_index_base_b.private_seg_size, 0
	.set _ZN9rocsparseL19gebsrmvn_1xn_kernelILj128ELj15ELj32EdEEvi20rocsparse_direction_NS_24const_host_device_scalarIT2_EEPKiS6_PKS3_S8_S4_PS3_21rocsparse_index_base_b.uses_vcc, 1
	.set _ZN9rocsparseL19gebsrmvn_1xn_kernelILj128ELj15ELj32EdEEvi20rocsparse_direction_NS_24const_host_device_scalarIT2_EEPKiS6_PKS3_S8_S4_PS3_21rocsparse_index_base_b.uses_flat_scratch, 0
	.set _ZN9rocsparseL19gebsrmvn_1xn_kernelILj128ELj15ELj32EdEEvi20rocsparse_direction_NS_24const_host_device_scalarIT2_EEPKiS6_PKS3_S8_S4_PS3_21rocsparse_index_base_b.has_dyn_sized_stack, 0
	.set _ZN9rocsparseL19gebsrmvn_1xn_kernelILj128ELj15ELj32EdEEvi20rocsparse_direction_NS_24const_host_device_scalarIT2_EEPKiS6_PKS3_S8_S4_PS3_21rocsparse_index_base_b.has_recursion, 0
	.set _ZN9rocsparseL19gebsrmvn_1xn_kernelILj128ELj15ELj32EdEEvi20rocsparse_direction_NS_24const_host_device_scalarIT2_EEPKiS6_PKS3_S8_S4_PS3_21rocsparse_index_base_b.has_indirect_call, 0
	.section	.AMDGPU.csdata,"",@progbits
; Kernel info:
; codeLenInByte = 2028
; TotalNumSgprs: 13
; NumVgprs: 66
; ScratchSize: 0
; MemoryBound: 0
; FloatMode: 240
; IeeeMode: 1
; LDSByteSize: 0 bytes/workgroup (compile time only)
; SGPRBlocks: 0
; VGPRBlocks: 8
; NumSGPRsForWavesPerEU: 13
; NumVGPRsForWavesPerEU: 66
; Occupancy: 12
; WaveLimiterHint : 1
; COMPUTE_PGM_RSRC2:SCRATCH_EN: 0
; COMPUTE_PGM_RSRC2:USER_SGPR: 6
; COMPUTE_PGM_RSRC2:TRAP_HANDLER: 0
; COMPUTE_PGM_RSRC2:TGID_X_EN: 1
; COMPUTE_PGM_RSRC2:TGID_Y_EN: 0
; COMPUTE_PGM_RSRC2:TGID_Z_EN: 0
; COMPUTE_PGM_RSRC2:TIDIG_COMP_CNT: 0
	.section	.text._ZN9rocsparseL19gebsrmvn_1xn_kernelILj128ELj15ELj64EdEEvi20rocsparse_direction_NS_24const_host_device_scalarIT2_EEPKiS6_PKS3_S8_S4_PS3_21rocsparse_index_base_b,"axG",@progbits,_ZN9rocsparseL19gebsrmvn_1xn_kernelILj128ELj15ELj64EdEEvi20rocsparse_direction_NS_24const_host_device_scalarIT2_EEPKiS6_PKS3_S8_S4_PS3_21rocsparse_index_base_b,comdat
	.globl	_ZN9rocsparseL19gebsrmvn_1xn_kernelILj128ELj15ELj64EdEEvi20rocsparse_direction_NS_24const_host_device_scalarIT2_EEPKiS6_PKS3_S8_S4_PS3_21rocsparse_index_base_b ; -- Begin function _ZN9rocsparseL19gebsrmvn_1xn_kernelILj128ELj15ELj64EdEEvi20rocsparse_direction_NS_24const_host_device_scalarIT2_EEPKiS6_PKS3_S8_S4_PS3_21rocsparse_index_base_b
	.p2align	8
	.type	_ZN9rocsparseL19gebsrmvn_1xn_kernelILj128ELj15ELj64EdEEvi20rocsparse_direction_NS_24const_host_device_scalarIT2_EEPKiS6_PKS3_S8_S4_PS3_21rocsparse_index_base_b,@function
_ZN9rocsparseL19gebsrmvn_1xn_kernelILj128ELj15ELj64EdEEvi20rocsparse_direction_NS_24const_host_device_scalarIT2_EEPKiS6_PKS3_S8_S4_PS3_21rocsparse_index_base_b: ; @_ZN9rocsparseL19gebsrmvn_1xn_kernelILj128ELj15ELj64EdEEvi20rocsparse_direction_NS_24const_host_device_scalarIT2_EEPKiS6_PKS3_S8_S4_PS3_21rocsparse_index_base_b
; %bb.0:
	s_clause 0x2
	s_load_dwordx2 s[8:9], s[4:5], 0x40
	s_load_dwordx2 s[2:3], s[4:5], 0x8
	;; [unrolled: 1-line block ×3, first 2 shown]
	s_waitcnt lgkmcnt(0)
	s_bitcmp1_b32 s9, 0
	v_mov_b32_e32 v4, s3
	v_mov_b32_e32 v3, s2
	s_cselect_b32 s7, -1, 0
	s_and_b32 vcc_lo, exec_lo, s7
	s_xor_b32 s7, s7, -1
	s_cbranch_vccnz .LBB145_2
; %bb.1:
	v_mov_b32_e32 v1, s2
	v_mov_b32_e32 v2, s3
	flat_load_dwordx2 v[3:4], v[1:2]
.LBB145_2:
	v_mov_b32_e32 v2, s1
	v_mov_b32_e32 v1, s0
	s_andn2_b32 vcc_lo, exec_lo, s7
	s_cbranch_vccnz .LBB145_4
; %bb.3:
	v_mov_b32_e32 v2, s1
	v_mov_b32_e32 v1, s0
	flat_load_dwordx2 v[1:2], v[1:2]
.LBB145_4:
	s_waitcnt vmcnt(0) lgkmcnt(0)
	v_cmp_neq_f64_e32 vcc_lo, 0, v[3:4]
	v_cmp_neq_f64_e64 s0, 1.0, v[1:2]
	s_or_b32 s0, vcc_lo, s0
	s_and_saveexec_b32 s1, s0
	s_cbranch_execz .LBB145_15
; %bb.5:
	s_load_dword s0, s[4:5], 0x0
	v_lshrrev_b32_e32 v5, 6, v0
	v_lshl_or_b32 v5, s6, 1, v5
	s_waitcnt lgkmcnt(0)
	v_cmp_gt_i32_e32 vcc_lo, s0, v5
	s_and_b32 exec_lo, exec_lo, vcc_lo
	s_cbranch_execz .LBB145_15
; %bb.6:
	s_clause 0x1
	s_load_dwordx2 s[0:1], s[4:5], 0x10
	s_load_dwordx2 s[6:7], s[4:5], 0x38
	v_ashrrev_i32_e32 v6, 31, v5
	v_and_b32_e32 v0, 63, v0
	v_mov_b32_e32 v13, 0
	v_mov_b32_e32 v14, 0
	s_mov_b32 s9, exec_lo
	v_lshlrev_b64 v[7:8], 2, v[5:6]
	v_subrev_nc_u32_e32 v9, s8, v0
	s_waitcnt lgkmcnt(0)
	v_add_co_u32 v7, vcc_lo, s0, v7
	v_add_co_ci_u32_e64 v8, null, s1, v8, vcc_lo
	global_load_dwordx2 v[7:8], v[7:8], off
	s_waitcnt vmcnt(0)
	v_subrev_nc_u32_e32 v17, s8, v8
	v_add_nc_u32_e32 v7, v7, v9
	v_cmpx_lt_i32_e64 v7, v17
	s_cbranch_execz .LBB145_10
; %bb.7:
	s_clause 0x1
	s_load_dwordx4 s[0:3], s[4:5], 0x18
	s_load_dwordx2 s[4:5], s[4:5], 0x28
	v_mad_u64_u32 v[9:10], null, v7, 15, 14
	v_mov_b32_e32 v13, 0
	v_mov_b32_e32 v14, 0
	;; [unrolled: 1-line block ×3, first 2 shown]
	s_mov_b32 s10, 0
.LBB145_8:                              ; =>This Inner Loop Header: Depth=1
	v_ashrrev_i32_e32 v8, 31, v7
	v_add_nc_u32_e32 v11, -14, v9
	v_mov_b32_e32 v16, v12
	v_lshlrev_b64 v[20:21], 2, v[7:8]
	v_lshlrev_b64 v[18:19], 3, v[11:12]
	v_add_nc_u32_e32 v11, -13, v9
	v_add_nc_u32_e32 v7, 64, v7
	s_waitcnt lgkmcnt(0)
	v_add_co_u32 v20, vcc_lo, s0, v20
	v_add_co_ci_u32_e64 v21, null, s1, v21, vcc_lo
	v_lshlrev_b64 v[10:11], 3, v[11:12]
	v_add_co_u32 v18, vcc_lo, s2, v18
	global_load_dword v8, v[20:21], off
	v_add_co_ci_u32_e64 v19, null, s3, v19, vcc_lo
	v_add_co_u32 v10, vcc_lo, s2, v10
	v_add_co_ci_u32_e64 v11, null, s3, v11, vcc_lo
	s_clause 0x1
	global_load_dwordx2 v[18:19], v[18:19], off
	global_load_dwordx2 v[20:21], v[10:11], off
	s_waitcnt vmcnt(2)
	v_subrev_nc_u32_e32 v8, s8, v8
	v_mul_lo_u32 v15, v8, 15
	v_lshlrev_b64 v[22:23], 3, v[15:16]
	v_add_nc_u32_e32 v11, 1, v15
	v_lshlrev_b64 v[24:25], 3, v[11:12]
	v_add_co_u32 v22, vcc_lo, s4, v22
	v_add_co_ci_u32_e64 v23, null, s5, v23, vcc_lo
	v_add_nc_u32_e32 v11, -12, v9
	v_add_co_u32 v24, vcc_lo, s4, v24
	global_load_dwordx2 v[22:23], v[22:23], off
	v_add_co_ci_u32_e64 v25, null, s5, v25, vcc_lo
	v_lshlrev_b64 v[26:27], 3, v[11:12]
	v_add_nc_u32_e32 v11, 2, v15
	global_load_dwordx2 v[24:25], v[24:25], off
	v_lshlrev_b64 v[28:29], 3, v[11:12]
	v_add_nc_u32_e32 v11, -11, v9
	v_add_co_u32 v26, vcc_lo, s2, v26
	v_add_co_ci_u32_e64 v27, null, s3, v27, vcc_lo
	v_lshlrev_b64 v[30:31], 3, v[11:12]
	v_add_nc_u32_e32 v11, 3, v15
	v_add_co_u32 v28, vcc_lo, s4, v28
	v_add_co_ci_u32_e64 v29, null, s5, v29, vcc_lo
	v_lshlrev_b64 v[32:33], 3, v[11:12]
	v_add_nc_u32_e32 v11, -10, v9
	v_add_co_u32 v30, vcc_lo, s2, v30
	v_add_co_ci_u32_e64 v31, null, s3, v31, vcc_lo
	v_lshlrev_b64 v[34:35], 3, v[11:12]
	v_add_nc_u32_e32 v11, 4, v15
	v_add_co_u32 v32, vcc_lo, s4, v32
	v_add_co_ci_u32_e64 v33, null, s5, v33, vcc_lo
	;; [unrolled: 8-line block ×9, first 2 shown]
	v_lshlrev_b64 v[64:65], 3, v[11:12]
	v_add_nc_u32_e32 v11, -2, v9
	v_add_co_u32 v62, vcc_lo, s2, v62
	v_add_co_ci_u32_e64 v63, null, s3, v63, vcc_lo
	s_waitcnt vmcnt(1)
	v_fma_f64 v[13:14], v[18:19], v[22:23], v[13:14]
	v_lshlrev_b64 v[18:19], 3, v[11:12]
	v_add_nc_u32_e32 v11, 12, v15
	v_add_co_u32 v22, vcc_lo, s4, v64
	v_add_co_ci_u32_e64 v23, null, s5, v65, vcc_lo
	v_lshlrev_b64 v[64:65], 3, v[11:12]
	v_add_co_u32 v18, vcc_lo, s2, v18
	v_add_co_ci_u32_e64 v19, null, s3, v19, vcc_lo
	v_add_nc_u32_e32 v11, -1, v9
	s_waitcnt vmcnt(0)
	v_fma_f64 v[13:14], v[20:21], v[24:25], v[13:14]
	v_add_co_u32 v24, vcc_lo, s4, v64
	v_add_co_ci_u32_e64 v25, null, s5, v65, vcc_lo
	global_load_dwordx2 v[26:27], v[26:27], off
	global_load_dwordx2 v[28:29], v[28:29], off
	;; [unrolled: 1-line block ×22, first 2 shown]
	v_lshlrev_b64 v[20:21], 3, v[11:12]
	v_add_nc_u32_e32 v11, 13, v15
	v_lshlrev_b64 v[10:11], 3, v[11:12]
	v_add_co_u32 v20, vcc_lo, s2, v20
	v_add_co_ci_u32_e64 v21, null, s3, v21, vcc_lo
	v_add_co_u32 v64, vcc_lo, s4, v10
	v_add_co_ci_u32_e64 v65, null, s5, v11, vcc_lo
	global_load_dwordx2 v[20:21], v[20:21], off
	global_load_dwordx2 v[64:65], v[64:65], off
	v_mov_b32_e32 v10, v12
	v_add_nc_u32_e32 v11, 14, v15
	v_lshlrev_b64 v[15:16], 3, v[9:10]
	v_add_nc_u32_e32 v9, 0x3c0, v9
	v_add_co_u32 v10, vcc_lo, s2, v15
	s_waitcnt vmcnt(22)
	v_fma_f64 v[13:14], v[26:27], v[28:29], v[13:14]
	v_lshlrev_b64 v[26:27], 3, v[11:12]
	v_add_co_ci_u32_e64 v11, null, s3, v16, vcc_lo
	v_add_co_u32 v15, vcc_lo, s4, v26
	v_add_co_ci_u32_e64 v16, null, s5, v27, vcc_lo
	global_load_dwordx2 v[10:11], v[10:11], off
	global_load_dwordx2 v[15:16], v[15:16], off
	v_cmp_ge_i32_e32 vcc_lo, v7, v17
	s_or_b32 s10, vcc_lo, s10
	s_waitcnt vmcnt(22)
	v_fma_f64 v[13:14], v[30:31], v[32:33], v[13:14]
	s_waitcnt vmcnt(20)
	v_fma_f64 v[13:14], v[34:35], v[36:37], v[13:14]
	;; [unrolled: 2-line block ×12, first 2 shown]
	s_andn2_b32 exec_lo, exec_lo, s10
	s_cbranch_execnz .LBB145_8
; %bb.9:
	s_or_b32 exec_lo, exec_lo, s10
.LBB145_10:
	s_or_b32 exec_lo, exec_lo, s9
	v_mbcnt_lo_u32_b32 v11, -1, 0
	v_or_b32_e32 v7, 32, v11
	v_xor_b32_e32 v9, 16, v11
	v_cmp_gt_i32_e32 vcc_lo, 32, v7
	v_cndmask_b32_e32 v7, v11, v7, vcc_lo
	v_cmp_gt_i32_e32 vcc_lo, 32, v9
	v_lshlrev_b32_e32 v8, 2, v7
	v_cndmask_b32_e32 v9, v11, v9, vcc_lo
	ds_bpermute_b32 v7, v8, v13
	ds_bpermute_b32 v8, v8, v14
	v_lshlrev_b32_e32 v10, 2, v9
	s_waitcnt lgkmcnt(0)
	v_add_f64 v[7:8], v[13:14], v[7:8]
	ds_bpermute_b32 v9, v10, v7
	ds_bpermute_b32 v10, v10, v8
	s_waitcnt lgkmcnt(0)
	v_add_f64 v[7:8], v[7:8], v[9:10]
	v_xor_b32_e32 v9, 8, v11
	v_cmp_gt_i32_e32 vcc_lo, 32, v9
	v_cndmask_b32_e32 v9, v11, v9, vcc_lo
	v_lshlrev_b32_e32 v10, 2, v9
	ds_bpermute_b32 v9, v10, v7
	ds_bpermute_b32 v10, v10, v8
	s_waitcnt lgkmcnt(0)
	v_add_f64 v[7:8], v[7:8], v[9:10]
	v_xor_b32_e32 v9, 4, v11
	v_cmp_gt_i32_e32 vcc_lo, 32, v9
	v_cndmask_b32_e32 v9, v11, v9, vcc_lo
	v_lshlrev_b32_e32 v10, 2, v9
	ds_bpermute_b32 v9, v10, v7
	ds_bpermute_b32 v10, v10, v8
	s_waitcnt lgkmcnt(0)
	v_add_f64 v[7:8], v[7:8], v[9:10]
	v_xor_b32_e32 v9, 2, v11
	v_cmp_gt_i32_e32 vcc_lo, 32, v9
	v_cndmask_b32_e32 v9, v11, v9, vcc_lo
	v_lshlrev_b32_e32 v10, 2, v9
	ds_bpermute_b32 v9, v10, v7
	ds_bpermute_b32 v10, v10, v8
	s_waitcnt lgkmcnt(0)
	v_add_f64 v[7:8], v[7:8], v[9:10]
	v_xor_b32_e32 v9, 1, v11
	v_cmp_gt_i32_e32 vcc_lo, 32, v9
	v_cndmask_b32_e32 v9, v11, v9, vcc_lo
	v_cmp_eq_u32_e32 vcc_lo, 63, v0
	v_lshlrev_b32_e32 v10, 2, v9
	ds_bpermute_b32 v9, v10, v7
	ds_bpermute_b32 v10, v10, v8
	s_and_b32 exec_lo, exec_lo, vcc_lo
	s_cbranch_execz .LBB145_15
; %bb.11:
	s_waitcnt lgkmcnt(0)
	v_add_f64 v[7:8], v[7:8], v[9:10]
	v_lshlrev_b64 v[5:6], 3, v[5:6]
	s_mov_b32 s0, exec_lo
	v_mul_f64 v[3:4], v[3:4], v[7:8]
	v_cmpx_eq_f64_e32 0, v[1:2]
	s_xor_b32 s0, exec_lo, s0
	s_cbranch_execz .LBB145_13
; %bb.12:
	v_add_co_u32 v0, vcc_lo, s6, v5
	v_add_co_ci_u32_e64 v1, null, s7, v6, vcc_lo
                                        ; implicit-def: $vgpr5_vgpr6
	global_store_dwordx2 v[0:1], v[3:4], off
                                        ; implicit-def: $vgpr1_vgpr2
                                        ; implicit-def: $vgpr3_vgpr4
.LBB145_13:
	s_andn2_saveexec_b32 s0, s0
	s_cbranch_execz .LBB145_15
; %bb.14:
	v_add_co_u32 v5, vcc_lo, s6, v5
	v_add_co_ci_u32_e64 v6, null, s7, v6, vcc_lo
	global_load_dwordx2 v[7:8], v[5:6], off
	s_waitcnt vmcnt(0)
	v_fma_f64 v[0:1], v[1:2], v[7:8], v[3:4]
	global_store_dwordx2 v[5:6], v[0:1], off
.LBB145_15:
	s_endpgm
	.section	.rodata,"a",@progbits
	.p2align	6, 0x0
	.amdhsa_kernel _ZN9rocsparseL19gebsrmvn_1xn_kernelILj128ELj15ELj64EdEEvi20rocsparse_direction_NS_24const_host_device_scalarIT2_EEPKiS6_PKS3_S8_S4_PS3_21rocsparse_index_base_b
		.amdhsa_group_segment_fixed_size 0
		.amdhsa_private_segment_fixed_size 0
		.amdhsa_kernarg_size 72
		.amdhsa_user_sgpr_count 6
		.amdhsa_user_sgpr_private_segment_buffer 1
		.amdhsa_user_sgpr_dispatch_ptr 0
		.amdhsa_user_sgpr_queue_ptr 0
		.amdhsa_user_sgpr_kernarg_segment_ptr 1
		.amdhsa_user_sgpr_dispatch_id 0
		.amdhsa_user_sgpr_flat_scratch_init 0
		.amdhsa_user_sgpr_private_segment_size 0
		.amdhsa_wavefront_size32 1
		.amdhsa_uses_dynamic_stack 0
		.amdhsa_system_sgpr_private_segment_wavefront_offset 0
		.amdhsa_system_sgpr_workgroup_id_x 1
		.amdhsa_system_sgpr_workgroup_id_y 0
		.amdhsa_system_sgpr_workgroup_id_z 0
		.amdhsa_system_sgpr_workgroup_info 0
		.amdhsa_system_vgpr_workitem_id 0
		.amdhsa_next_free_vgpr 66
		.amdhsa_next_free_sgpr 11
		.amdhsa_reserve_vcc 1
		.amdhsa_reserve_flat_scratch 0
		.amdhsa_float_round_mode_32 0
		.amdhsa_float_round_mode_16_64 0
		.amdhsa_float_denorm_mode_32 3
		.amdhsa_float_denorm_mode_16_64 3
		.amdhsa_dx10_clamp 1
		.amdhsa_ieee_mode 1
		.amdhsa_fp16_overflow 0
		.amdhsa_workgroup_processor_mode 1
		.amdhsa_memory_ordered 1
		.amdhsa_forward_progress 1
		.amdhsa_shared_vgpr_count 0
		.amdhsa_exception_fp_ieee_invalid_op 0
		.amdhsa_exception_fp_denorm_src 0
		.amdhsa_exception_fp_ieee_div_zero 0
		.amdhsa_exception_fp_ieee_overflow 0
		.amdhsa_exception_fp_ieee_underflow 0
		.amdhsa_exception_fp_ieee_inexact 0
		.amdhsa_exception_int_div_zero 0
	.end_amdhsa_kernel
	.section	.text._ZN9rocsparseL19gebsrmvn_1xn_kernelILj128ELj15ELj64EdEEvi20rocsparse_direction_NS_24const_host_device_scalarIT2_EEPKiS6_PKS3_S8_S4_PS3_21rocsparse_index_base_b,"axG",@progbits,_ZN9rocsparseL19gebsrmvn_1xn_kernelILj128ELj15ELj64EdEEvi20rocsparse_direction_NS_24const_host_device_scalarIT2_EEPKiS6_PKS3_S8_S4_PS3_21rocsparse_index_base_b,comdat
.Lfunc_end145:
	.size	_ZN9rocsparseL19gebsrmvn_1xn_kernelILj128ELj15ELj64EdEEvi20rocsparse_direction_NS_24const_host_device_scalarIT2_EEPKiS6_PKS3_S8_S4_PS3_21rocsparse_index_base_b, .Lfunc_end145-_ZN9rocsparseL19gebsrmvn_1xn_kernelILj128ELj15ELj64EdEEvi20rocsparse_direction_NS_24const_host_device_scalarIT2_EEPKiS6_PKS3_S8_S4_PS3_21rocsparse_index_base_b
                                        ; -- End function
	.set _ZN9rocsparseL19gebsrmvn_1xn_kernelILj128ELj15ELj64EdEEvi20rocsparse_direction_NS_24const_host_device_scalarIT2_EEPKiS6_PKS3_S8_S4_PS3_21rocsparse_index_base_b.num_vgpr, 66
	.set _ZN9rocsparseL19gebsrmvn_1xn_kernelILj128ELj15ELj64EdEEvi20rocsparse_direction_NS_24const_host_device_scalarIT2_EEPKiS6_PKS3_S8_S4_PS3_21rocsparse_index_base_b.num_agpr, 0
	.set _ZN9rocsparseL19gebsrmvn_1xn_kernelILj128ELj15ELj64EdEEvi20rocsparse_direction_NS_24const_host_device_scalarIT2_EEPKiS6_PKS3_S8_S4_PS3_21rocsparse_index_base_b.numbered_sgpr, 11
	.set _ZN9rocsparseL19gebsrmvn_1xn_kernelILj128ELj15ELj64EdEEvi20rocsparse_direction_NS_24const_host_device_scalarIT2_EEPKiS6_PKS3_S8_S4_PS3_21rocsparse_index_base_b.num_named_barrier, 0
	.set _ZN9rocsparseL19gebsrmvn_1xn_kernelILj128ELj15ELj64EdEEvi20rocsparse_direction_NS_24const_host_device_scalarIT2_EEPKiS6_PKS3_S8_S4_PS3_21rocsparse_index_base_b.private_seg_size, 0
	.set _ZN9rocsparseL19gebsrmvn_1xn_kernelILj128ELj15ELj64EdEEvi20rocsparse_direction_NS_24const_host_device_scalarIT2_EEPKiS6_PKS3_S8_S4_PS3_21rocsparse_index_base_b.uses_vcc, 1
	.set _ZN9rocsparseL19gebsrmvn_1xn_kernelILj128ELj15ELj64EdEEvi20rocsparse_direction_NS_24const_host_device_scalarIT2_EEPKiS6_PKS3_S8_S4_PS3_21rocsparse_index_base_b.uses_flat_scratch, 0
	.set _ZN9rocsparseL19gebsrmvn_1xn_kernelILj128ELj15ELj64EdEEvi20rocsparse_direction_NS_24const_host_device_scalarIT2_EEPKiS6_PKS3_S8_S4_PS3_21rocsparse_index_base_b.has_dyn_sized_stack, 0
	.set _ZN9rocsparseL19gebsrmvn_1xn_kernelILj128ELj15ELj64EdEEvi20rocsparse_direction_NS_24const_host_device_scalarIT2_EEPKiS6_PKS3_S8_S4_PS3_21rocsparse_index_base_b.has_recursion, 0
	.set _ZN9rocsparseL19gebsrmvn_1xn_kernelILj128ELj15ELj64EdEEvi20rocsparse_direction_NS_24const_host_device_scalarIT2_EEPKiS6_PKS3_S8_S4_PS3_21rocsparse_index_base_b.has_indirect_call, 0
	.section	.AMDGPU.csdata,"",@progbits
; Kernel info:
; codeLenInByte = 2072
; TotalNumSgprs: 13
; NumVgprs: 66
; ScratchSize: 0
; MemoryBound: 0
; FloatMode: 240
; IeeeMode: 1
; LDSByteSize: 0 bytes/workgroup (compile time only)
; SGPRBlocks: 0
; VGPRBlocks: 8
; NumSGPRsForWavesPerEU: 13
; NumVGPRsForWavesPerEU: 66
; Occupancy: 12
; WaveLimiterHint : 1
; COMPUTE_PGM_RSRC2:SCRATCH_EN: 0
; COMPUTE_PGM_RSRC2:USER_SGPR: 6
; COMPUTE_PGM_RSRC2:TRAP_HANDLER: 0
; COMPUTE_PGM_RSRC2:TGID_X_EN: 1
; COMPUTE_PGM_RSRC2:TGID_Y_EN: 0
; COMPUTE_PGM_RSRC2:TGID_Z_EN: 0
; COMPUTE_PGM_RSRC2:TIDIG_COMP_CNT: 0
	.section	.text._ZN9rocsparseL19gebsrmvn_1xn_kernelILj128ELj16ELj4EdEEvi20rocsparse_direction_NS_24const_host_device_scalarIT2_EEPKiS6_PKS3_S8_S4_PS3_21rocsparse_index_base_b,"axG",@progbits,_ZN9rocsparseL19gebsrmvn_1xn_kernelILj128ELj16ELj4EdEEvi20rocsparse_direction_NS_24const_host_device_scalarIT2_EEPKiS6_PKS3_S8_S4_PS3_21rocsparse_index_base_b,comdat
	.globl	_ZN9rocsparseL19gebsrmvn_1xn_kernelILj128ELj16ELj4EdEEvi20rocsparse_direction_NS_24const_host_device_scalarIT2_EEPKiS6_PKS3_S8_S4_PS3_21rocsparse_index_base_b ; -- Begin function _ZN9rocsparseL19gebsrmvn_1xn_kernelILj128ELj16ELj4EdEEvi20rocsparse_direction_NS_24const_host_device_scalarIT2_EEPKiS6_PKS3_S8_S4_PS3_21rocsparse_index_base_b
	.p2align	8
	.type	_ZN9rocsparseL19gebsrmvn_1xn_kernelILj128ELj16ELj4EdEEvi20rocsparse_direction_NS_24const_host_device_scalarIT2_EEPKiS6_PKS3_S8_S4_PS3_21rocsparse_index_base_b,@function
_ZN9rocsparseL19gebsrmvn_1xn_kernelILj128ELj16ELj4EdEEvi20rocsparse_direction_NS_24const_host_device_scalarIT2_EEPKiS6_PKS3_S8_S4_PS3_21rocsparse_index_base_b: ; @_ZN9rocsparseL19gebsrmvn_1xn_kernelILj128ELj16ELj4EdEEvi20rocsparse_direction_NS_24const_host_device_scalarIT2_EEPKiS6_PKS3_S8_S4_PS3_21rocsparse_index_base_b
; %bb.0:
	s_clause 0x2
	s_load_dwordx2 s[8:9], s[4:5], 0x40
	s_load_dwordx2 s[2:3], s[4:5], 0x8
	;; [unrolled: 1-line block ×3, first 2 shown]
	s_waitcnt lgkmcnt(0)
	s_bitcmp1_b32 s9, 0
	v_mov_b32_e32 v4, s3
	v_mov_b32_e32 v3, s2
	s_cselect_b32 s7, -1, 0
	s_and_b32 vcc_lo, exec_lo, s7
	s_xor_b32 s7, s7, -1
	s_cbranch_vccnz .LBB146_2
; %bb.1:
	v_mov_b32_e32 v1, s2
	v_mov_b32_e32 v2, s3
	flat_load_dwordx2 v[3:4], v[1:2]
.LBB146_2:
	v_mov_b32_e32 v2, s1
	v_mov_b32_e32 v1, s0
	s_andn2_b32 vcc_lo, exec_lo, s7
	s_cbranch_vccnz .LBB146_4
; %bb.3:
	v_mov_b32_e32 v2, s1
	v_mov_b32_e32 v1, s0
	flat_load_dwordx2 v[1:2], v[1:2]
.LBB146_4:
	s_waitcnt vmcnt(0) lgkmcnt(0)
	v_cmp_neq_f64_e32 vcc_lo, 0, v[3:4]
	v_cmp_neq_f64_e64 s0, 1.0, v[1:2]
	s_or_b32 s0, vcc_lo, s0
	s_and_saveexec_b32 s1, s0
	s_cbranch_execz .LBB146_15
; %bb.5:
	s_load_dword s0, s[4:5], 0x0
	v_lshrrev_b32_e32 v5, 2, v0
	v_lshl_or_b32 v5, s6, 5, v5
	s_waitcnt lgkmcnt(0)
	v_cmp_gt_i32_e32 vcc_lo, s0, v5
	s_and_b32 exec_lo, exec_lo, vcc_lo
	s_cbranch_execz .LBB146_15
; %bb.6:
	s_clause 0x1
	s_load_dwordx2 s[0:1], s[4:5], 0x10
	s_load_dwordx2 s[6:7], s[4:5], 0x38
	v_ashrrev_i32_e32 v6, 31, v5
	v_and_b32_e32 v0, 3, v0
	v_mov_b32_e32 v11, 0
	v_mov_b32_e32 v12, 0
	s_mov_b32 s9, exec_lo
	v_lshlrev_b64 v[7:8], 2, v[5:6]
	v_subrev_nc_u32_e32 v9, s8, v0
	s_waitcnt lgkmcnt(0)
	v_add_co_u32 v7, vcc_lo, s0, v7
	v_add_co_ci_u32_e64 v8, null, s1, v8, vcc_lo
	global_load_dwordx2 v[7:8], v[7:8], off
	s_waitcnt vmcnt(0)
	v_subrev_nc_u32_e32 v13, s8, v8
	v_add_nc_u32_e32 v7, v7, v9
	v_cmpx_lt_i32_e64 v7, v13
	s_cbranch_execz .LBB146_10
; %bb.7:
	s_clause 0x1
	s_load_dwordx4 s[0:3], s[4:5], 0x18
	s_load_dwordx2 s[4:5], s[4:5], 0x28
	v_mov_b32_e32 v11, 0
	v_lshlrev_b32_e32 v9, 4, v7
	v_mov_b32_e32 v12, 0
	v_mov_b32_e32 v10, 0
	s_mov_b32 s10, 0
.LBB146_8:                              ; =>This Inner Loop Header: Depth=1
	v_ashrrev_i32_e32 v8, 31, v7
	v_mov_b32_e32 v23, v10
	v_lshlrev_b64 v[14:15], 2, v[7:8]
	v_add_nc_u32_e32 v7, 4, v7
	s_waitcnt lgkmcnt(0)
	v_add_co_u32 v14, vcc_lo, s0, v14
	v_add_co_ci_u32_e64 v15, null, s1, v15, vcc_lo
	global_load_dword v8, v[14:15], off
	v_lshlrev_b64 v[14:15], 3, v[9:10]
	v_add_nc_u32_e32 v9, 64, v9
	v_add_co_u32 v62, vcc_lo, s2, v14
	v_add_co_ci_u32_e64 v63, null, s3, v15, vcc_lo
	s_clause 0x1
	global_load_dwordx4 v[14:17], v[62:63], off offset:16
	global_load_dwordx4 v[18:21], v[62:63], off
	s_waitcnt vmcnt(2)
	v_subrev_nc_u32_e32 v8, s8, v8
	v_lshlrev_b32_e32 v22, 4, v8
	v_lshlrev_b64 v[22:23], 3, v[22:23]
	v_add_co_u32 v64, vcc_lo, s4, v22
	v_add_co_ci_u32_e64 v65, null, s5, v23, vcc_lo
	v_cmp_ge_i32_e32 vcc_lo, v7, v13
	s_clause 0x1
	global_load_dwordx4 v[22:25], v[64:65], off
	global_load_dwordx4 v[26:29], v[64:65], off offset:16
	global_load_dwordx4 v[30:33], v[62:63], off offset:32
	;; [unrolled: 1-line block ×9, first 2 shown]
	s_or_b32 s10, vcc_lo, s10
	s_waitcnt vmcnt(9)
	v_fma_f64 v[11:12], v[18:19], v[22:23], v[11:12]
	v_fma_f64 v[11:12], v[20:21], v[24:25], v[11:12]
	global_load_dwordx4 v[18:21], v[62:63], off offset:96
	global_load_dwordx4 v[22:25], v[64:65], off offset:96
	s_waitcnt vmcnt(10)
	v_fma_f64 v[11:12], v[14:15], v[26:27], v[11:12]
	v_fma_f64 v[11:12], v[16:17], v[28:29], v[11:12]
	global_load_dwordx4 v[14:17], v[62:63], off offset:112
	global_load_dwordx4 v[26:29], v[64:65], off offset:112
	s_waitcnt vmcnt(10)
	v_fma_f64 v[11:12], v[30:31], v[34:35], v[11:12]
	v_fma_f64 v[11:12], v[32:33], v[36:37], v[11:12]
	s_waitcnt vmcnt(8)
	v_fma_f64 v[11:12], v[38:39], v[42:43], v[11:12]
	v_fma_f64 v[11:12], v[40:41], v[44:45], v[11:12]
	;; [unrolled: 3-line block ×6, first 2 shown]
	s_andn2_b32 exec_lo, exec_lo, s10
	s_cbranch_execnz .LBB146_8
; %bb.9:
	s_or_b32 exec_lo, exec_lo, s10
.LBB146_10:
	s_or_b32 exec_lo, exec_lo, s9
	v_mbcnt_lo_u32_b32 v9, -1, 0
	v_xor_b32_e32 v7, 2, v9
	v_xor_b32_e32 v10, 1, v9
	v_cmp_gt_i32_e32 vcc_lo, 32, v7
	v_cndmask_b32_e32 v7, v9, v7, vcc_lo
	v_cmp_gt_i32_e32 vcc_lo, 32, v10
	v_lshlrev_b32_e32 v8, 2, v7
	v_cndmask_b32_e32 v9, v9, v10, vcc_lo
	v_cmp_eq_u32_e32 vcc_lo, 3, v0
	ds_bpermute_b32 v7, v8, v11
	ds_bpermute_b32 v8, v8, v12
	v_lshlrev_b32_e32 v10, 2, v9
	s_waitcnt lgkmcnt(0)
	v_add_f64 v[7:8], v[11:12], v[7:8]
	ds_bpermute_b32 v9, v10, v7
	ds_bpermute_b32 v10, v10, v8
	s_and_b32 exec_lo, exec_lo, vcc_lo
	s_cbranch_execz .LBB146_15
; %bb.11:
	s_waitcnt lgkmcnt(0)
	v_add_f64 v[7:8], v[7:8], v[9:10]
	v_lshlrev_b64 v[5:6], 3, v[5:6]
	s_mov_b32 s0, exec_lo
	v_mul_f64 v[3:4], v[3:4], v[7:8]
	v_cmpx_eq_f64_e32 0, v[1:2]
	s_xor_b32 s0, exec_lo, s0
	s_cbranch_execz .LBB146_13
; %bb.12:
	v_add_co_u32 v0, vcc_lo, s6, v5
	v_add_co_ci_u32_e64 v1, null, s7, v6, vcc_lo
                                        ; implicit-def: $vgpr5_vgpr6
	global_store_dwordx2 v[0:1], v[3:4], off
                                        ; implicit-def: $vgpr1_vgpr2
                                        ; implicit-def: $vgpr3_vgpr4
.LBB146_13:
	s_andn2_saveexec_b32 s0, s0
	s_cbranch_execz .LBB146_15
; %bb.14:
	v_add_co_u32 v5, vcc_lo, s6, v5
	v_add_co_ci_u32_e64 v6, null, s7, v6, vcc_lo
	global_load_dwordx2 v[7:8], v[5:6], off
	s_waitcnt vmcnt(0)
	v_fma_f64 v[0:1], v[1:2], v[7:8], v[3:4]
	global_store_dwordx2 v[5:6], v[0:1], off
.LBB146_15:
	s_endpgm
	.section	.rodata,"a",@progbits
	.p2align	6, 0x0
	.amdhsa_kernel _ZN9rocsparseL19gebsrmvn_1xn_kernelILj128ELj16ELj4EdEEvi20rocsparse_direction_NS_24const_host_device_scalarIT2_EEPKiS6_PKS3_S8_S4_PS3_21rocsparse_index_base_b
		.amdhsa_group_segment_fixed_size 0
		.amdhsa_private_segment_fixed_size 0
		.amdhsa_kernarg_size 72
		.amdhsa_user_sgpr_count 6
		.amdhsa_user_sgpr_private_segment_buffer 1
		.amdhsa_user_sgpr_dispatch_ptr 0
		.amdhsa_user_sgpr_queue_ptr 0
		.amdhsa_user_sgpr_kernarg_segment_ptr 1
		.amdhsa_user_sgpr_dispatch_id 0
		.amdhsa_user_sgpr_flat_scratch_init 0
		.amdhsa_user_sgpr_private_segment_size 0
		.amdhsa_wavefront_size32 1
		.amdhsa_uses_dynamic_stack 0
		.amdhsa_system_sgpr_private_segment_wavefront_offset 0
		.amdhsa_system_sgpr_workgroup_id_x 1
		.amdhsa_system_sgpr_workgroup_id_y 0
		.amdhsa_system_sgpr_workgroup_id_z 0
		.amdhsa_system_sgpr_workgroup_info 0
		.amdhsa_system_vgpr_workitem_id 0
		.amdhsa_next_free_vgpr 66
		.amdhsa_next_free_sgpr 11
		.amdhsa_reserve_vcc 1
		.amdhsa_reserve_flat_scratch 0
		.amdhsa_float_round_mode_32 0
		.amdhsa_float_round_mode_16_64 0
		.amdhsa_float_denorm_mode_32 3
		.amdhsa_float_denorm_mode_16_64 3
		.amdhsa_dx10_clamp 1
		.amdhsa_ieee_mode 1
		.amdhsa_fp16_overflow 0
		.amdhsa_workgroup_processor_mode 1
		.amdhsa_memory_ordered 1
		.amdhsa_forward_progress 1
		.amdhsa_shared_vgpr_count 0
		.amdhsa_exception_fp_ieee_invalid_op 0
		.amdhsa_exception_fp_denorm_src 0
		.amdhsa_exception_fp_ieee_div_zero 0
		.amdhsa_exception_fp_ieee_overflow 0
		.amdhsa_exception_fp_ieee_underflow 0
		.amdhsa_exception_fp_ieee_inexact 0
		.amdhsa_exception_int_div_zero 0
	.end_amdhsa_kernel
	.section	.text._ZN9rocsparseL19gebsrmvn_1xn_kernelILj128ELj16ELj4EdEEvi20rocsparse_direction_NS_24const_host_device_scalarIT2_EEPKiS6_PKS3_S8_S4_PS3_21rocsparse_index_base_b,"axG",@progbits,_ZN9rocsparseL19gebsrmvn_1xn_kernelILj128ELj16ELj4EdEEvi20rocsparse_direction_NS_24const_host_device_scalarIT2_EEPKiS6_PKS3_S8_S4_PS3_21rocsparse_index_base_b,comdat
.Lfunc_end146:
	.size	_ZN9rocsparseL19gebsrmvn_1xn_kernelILj128ELj16ELj4EdEEvi20rocsparse_direction_NS_24const_host_device_scalarIT2_EEPKiS6_PKS3_S8_S4_PS3_21rocsparse_index_base_b, .Lfunc_end146-_ZN9rocsparseL19gebsrmvn_1xn_kernelILj128ELj16ELj4EdEEvi20rocsparse_direction_NS_24const_host_device_scalarIT2_EEPKiS6_PKS3_S8_S4_PS3_21rocsparse_index_base_b
                                        ; -- End function
	.set _ZN9rocsparseL19gebsrmvn_1xn_kernelILj128ELj16ELj4EdEEvi20rocsparse_direction_NS_24const_host_device_scalarIT2_EEPKiS6_PKS3_S8_S4_PS3_21rocsparse_index_base_b.num_vgpr, 66
	.set _ZN9rocsparseL19gebsrmvn_1xn_kernelILj128ELj16ELj4EdEEvi20rocsparse_direction_NS_24const_host_device_scalarIT2_EEPKiS6_PKS3_S8_S4_PS3_21rocsparse_index_base_b.num_agpr, 0
	.set _ZN9rocsparseL19gebsrmvn_1xn_kernelILj128ELj16ELj4EdEEvi20rocsparse_direction_NS_24const_host_device_scalarIT2_EEPKiS6_PKS3_S8_S4_PS3_21rocsparse_index_base_b.numbered_sgpr, 11
	.set _ZN9rocsparseL19gebsrmvn_1xn_kernelILj128ELj16ELj4EdEEvi20rocsparse_direction_NS_24const_host_device_scalarIT2_EEPKiS6_PKS3_S8_S4_PS3_21rocsparse_index_base_b.num_named_barrier, 0
	.set _ZN9rocsparseL19gebsrmvn_1xn_kernelILj128ELj16ELj4EdEEvi20rocsparse_direction_NS_24const_host_device_scalarIT2_EEPKiS6_PKS3_S8_S4_PS3_21rocsparse_index_base_b.private_seg_size, 0
	.set _ZN9rocsparseL19gebsrmvn_1xn_kernelILj128ELj16ELj4EdEEvi20rocsparse_direction_NS_24const_host_device_scalarIT2_EEPKiS6_PKS3_S8_S4_PS3_21rocsparse_index_base_b.uses_vcc, 1
	.set _ZN9rocsparseL19gebsrmvn_1xn_kernelILj128ELj16ELj4EdEEvi20rocsparse_direction_NS_24const_host_device_scalarIT2_EEPKiS6_PKS3_S8_S4_PS3_21rocsparse_index_base_b.uses_flat_scratch, 0
	.set _ZN9rocsparseL19gebsrmvn_1xn_kernelILj128ELj16ELj4EdEEvi20rocsparse_direction_NS_24const_host_device_scalarIT2_EEPKiS6_PKS3_S8_S4_PS3_21rocsparse_index_base_b.has_dyn_sized_stack, 0
	.set _ZN9rocsparseL19gebsrmvn_1xn_kernelILj128ELj16ELj4EdEEvi20rocsparse_direction_NS_24const_host_device_scalarIT2_EEPKiS6_PKS3_S8_S4_PS3_21rocsparse_index_base_b.has_recursion, 0
	.set _ZN9rocsparseL19gebsrmvn_1xn_kernelILj128ELj16ELj4EdEEvi20rocsparse_direction_NS_24const_host_device_scalarIT2_EEPKiS6_PKS3_S8_S4_PS3_21rocsparse_index_base_b.has_indirect_call, 0
	.section	.AMDGPU.csdata,"",@progbits
; Kernel info:
; codeLenInByte = 968
; TotalNumSgprs: 13
; NumVgprs: 66
; ScratchSize: 0
; MemoryBound: 1
; FloatMode: 240
; IeeeMode: 1
; LDSByteSize: 0 bytes/workgroup (compile time only)
; SGPRBlocks: 0
; VGPRBlocks: 8
; NumSGPRsForWavesPerEU: 13
; NumVGPRsForWavesPerEU: 66
; Occupancy: 12
; WaveLimiterHint : 1
; COMPUTE_PGM_RSRC2:SCRATCH_EN: 0
; COMPUTE_PGM_RSRC2:USER_SGPR: 6
; COMPUTE_PGM_RSRC2:TRAP_HANDLER: 0
; COMPUTE_PGM_RSRC2:TGID_X_EN: 1
; COMPUTE_PGM_RSRC2:TGID_Y_EN: 0
; COMPUTE_PGM_RSRC2:TGID_Z_EN: 0
; COMPUTE_PGM_RSRC2:TIDIG_COMP_CNT: 0
	.section	.text._ZN9rocsparseL19gebsrmvn_1xn_kernelILj128ELj16ELj8EdEEvi20rocsparse_direction_NS_24const_host_device_scalarIT2_EEPKiS6_PKS3_S8_S4_PS3_21rocsparse_index_base_b,"axG",@progbits,_ZN9rocsparseL19gebsrmvn_1xn_kernelILj128ELj16ELj8EdEEvi20rocsparse_direction_NS_24const_host_device_scalarIT2_EEPKiS6_PKS3_S8_S4_PS3_21rocsparse_index_base_b,comdat
	.globl	_ZN9rocsparseL19gebsrmvn_1xn_kernelILj128ELj16ELj8EdEEvi20rocsparse_direction_NS_24const_host_device_scalarIT2_EEPKiS6_PKS3_S8_S4_PS3_21rocsparse_index_base_b ; -- Begin function _ZN9rocsparseL19gebsrmvn_1xn_kernelILj128ELj16ELj8EdEEvi20rocsparse_direction_NS_24const_host_device_scalarIT2_EEPKiS6_PKS3_S8_S4_PS3_21rocsparse_index_base_b
	.p2align	8
	.type	_ZN9rocsparseL19gebsrmvn_1xn_kernelILj128ELj16ELj8EdEEvi20rocsparse_direction_NS_24const_host_device_scalarIT2_EEPKiS6_PKS3_S8_S4_PS3_21rocsparse_index_base_b,@function
_ZN9rocsparseL19gebsrmvn_1xn_kernelILj128ELj16ELj8EdEEvi20rocsparse_direction_NS_24const_host_device_scalarIT2_EEPKiS6_PKS3_S8_S4_PS3_21rocsparse_index_base_b: ; @_ZN9rocsparseL19gebsrmvn_1xn_kernelILj128ELj16ELj8EdEEvi20rocsparse_direction_NS_24const_host_device_scalarIT2_EEPKiS6_PKS3_S8_S4_PS3_21rocsparse_index_base_b
; %bb.0:
	s_clause 0x2
	s_load_dwordx2 s[8:9], s[4:5], 0x40
	s_load_dwordx2 s[2:3], s[4:5], 0x8
	;; [unrolled: 1-line block ×3, first 2 shown]
	s_waitcnt lgkmcnt(0)
	s_bitcmp1_b32 s9, 0
	v_mov_b32_e32 v4, s3
	v_mov_b32_e32 v3, s2
	s_cselect_b32 s7, -1, 0
	s_and_b32 vcc_lo, exec_lo, s7
	s_xor_b32 s7, s7, -1
	s_cbranch_vccnz .LBB147_2
; %bb.1:
	v_mov_b32_e32 v1, s2
	v_mov_b32_e32 v2, s3
	flat_load_dwordx2 v[3:4], v[1:2]
.LBB147_2:
	v_mov_b32_e32 v2, s1
	v_mov_b32_e32 v1, s0
	s_andn2_b32 vcc_lo, exec_lo, s7
	s_cbranch_vccnz .LBB147_4
; %bb.3:
	v_mov_b32_e32 v2, s1
	v_mov_b32_e32 v1, s0
	flat_load_dwordx2 v[1:2], v[1:2]
.LBB147_4:
	s_waitcnt vmcnt(0) lgkmcnt(0)
	v_cmp_neq_f64_e32 vcc_lo, 0, v[3:4]
	v_cmp_neq_f64_e64 s0, 1.0, v[1:2]
	s_or_b32 s0, vcc_lo, s0
	s_and_saveexec_b32 s1, s0
	s_cbranch_execz .LBB147_15
; %bb.5:
	s_load_dword s0, s[4:5], 0x0
	v_lshrrev_b32_e32 v5, 3, v0
	v_lshl_or_b32 v5, s6, 4, v5
	s_waitcnt lgkmcnt(0)
	v_cmp_gt_i32_e32 vcc_lo, s0, v5
	s_and_b32 exec_lo, exec_lo, vcc_lo
	s_cbranch_execz .LBB147_15
; %bb.6:
	s_clause 0x1
	s_load_dwordx2 s[0:1], s[4:5], 0x10
	s_load_dwordx2 s[6:7], s[4:5], 0x38
	v_ashrrev_i32_e32 v6, 31, v5
	v_and_b32_e32 v0, 7, v0
	v_mov_b32_e32 v11, 0
	v_mov_b32_e32 v12, 0
	s_mov_b32 s9, exec_lo
	v_lshlrev_b64 v[7:8], 2, v[5:6]
	v_subrev_nc_u32_e32 v9, s8, v0
	s_waitcnt lgkmcnt(0)
	v_add_co_u32 v7, vcc_lo, s0, v7
	v_add_co_ci_u32_e64 v8, null, s1, v8, vcc_lo
	global_load_dwordx2 v[7:8], v[7:8], off
	s_waitcnt vmcnt(0)
	v_subrev_nc_u32_e32 v13, s8, v8
	v_add_nc_u32_e32 v7, v7, v9
	v_cmpx_lt_i32_e64 v7, v13
	s_cbranch_execz .LBB147_10
; %bb.7:
	s_clause 0x1
	s_load_dwordx4 s[0:3], s[4:5], 0x18
	s_load_dwordx2 s[4:5], s[4:5], 0x28
	v_mov_b32_e32 v11, 0
	v_lshlrev_b32_e32 v9, 4, v7
	v_mov_b32_e32 v12, 0
	v_mov_b32_e32 v10, 0
	s_mov_b32 s10, 0
.LBB147_8:                              ; =>This Inner Loop Header: Depth=1
	v_ashrrev_i32_e32 v8, 31, v7
	v_mov_b32_e32 v23, v10
	v_lshlrev_b64 v[14:15], 2, v[7:8]
	v_add_nc_u32_e32 v7, 8, v7
	s_waitcnt lgkmcnt(0)
	v_add_co_u32 v14, vcc_lo, s0, v14
	v_add_co_ci_u32_e64 v15, null, s1, v15, vcc_lo
	global_load_dword v8, v[14:15], off
	v_lshlrev_b64 v[14:15], 3, v[9:10]
	v_add_nc_u32_e32 v9, 0x80, v9
	v_add_co_u32 v62, vcc_lo, s2, v14
	v_add_co_ci_u32_e64 v63, null, s3, v15, vcc_lo
	s_clause 0x1
	global_load_dwordx4 v[14:17], v[62:63], off offset:16
	global_load_dwordx4 v[18:21], v[62:63], off
	s_waitcnt vmcnt(2)
	v_subrev_nc_u32_e32 v8, s8, v8
	v_lshlrev_b32_e32 v22, 4, v8
	v_lshlrev_b64 v[22:23], 3, v[22:23]
	v_add_co_u32 v64, vcc_lo, s4, v22
	v_add_co_ci_u32_e64 v65, null, s5, v23, vcc_lo
	v_cmp_ge_i32_e32 vcc_lo, v7, v13
	s_clause 0x1
	global_load_dwordx4 v[22:25], v[64:65], off
	global_load_dwordx4 v[26:29], v[64:65], off offset:16
	global_load_dwordx4 v[30:33], v[62:63], off offset:32
	;; [unrolled: 1-line block ×9, first 2 shown]
	s_or_b32 s10, vcc_lo, s10
	s_waitcnt vmcnt(9)
	v_fma_f64 v[11:12], v[18:19], v[22:23], v[11:12]
	v_fma_f64 v[11:12], v[20:21], v[24:25], v[11:12]
	global_load_dwordx4 v[18:21], v[62:63], off offset:96
	global_load_dwordx4 v[22:25], v[64:65], off offset:96
	s_waitcnt vmcnt(10)
	v_fma_f64 v[11:12], v[14:15], v[26:27], v[11:12]
	v_fma_f64 v[11:12], v[16:17], v[28:29], v[11:12]
	global_load_dwordx4 v[14:17], v[62:63], off offset:112
	global_load_dwordx4 v[26:29], v[64:65], off offset:112
	s_waitcnt vmcnt(10)
	v_fma_f64 v[11:12], v[30:31], v[34:35], v[11:12]
	v_fma_f64 v[11:12], v[32:33], v[36:37], v[11:12]
	s_waitcnt vmcnt(8)
	v_fma_f64 v[11:12], v[38:39], v[42:43], v[11:12]
	v_fma_f64 v[11:12], v[40:41], v[44:45], v[11:12]
	s_waitcnt vmcnt(6)
	v_fma_f64 v[11:12], v[46:47], v[50:51], v[11:12]
	v_fma_f64 v[11:12], v[48:49], v[52:53], v[11:12]
	s_waitcnt vmcnt(4)
	v_fma_f64 v[11:12], v[54:55], v[58:59], v[11:12]
	v_fma_f64 v[11:12], v[56:57], v[60:61], v[11:12]
	s_waitcnt vmcnt(2)
	v_fma_f64 v[11:12], v[18:19], v[22:23], v[11:12]
	v_fma_f64 v[11:12], v[20:21], v[24:25], v[11:12]
	s_waitcnt vmcnt(0)
	v_fma_f64 v[11:12], v[14:15], v[26:27], v[11:12]
	v_fma_f64 v[11:12], v[16:17], v[28:29], v[11:12]
	s_andn2_b32 exec_lo, exec_lo, s10
	s_cbranch_execnz .LBB147_8
; %bb.9:
	s_or_b32 exec_lo, exec_lo, s10
.LBB147_10:
	s_or_b32 exec_lo, exec_lo, s9
	v_mbcnt_lo_u32_b32 v13, -1, 0
	v_xor_b32_e32 v7, 4, v13
	v_xor_b32_e32 v9, 2, v13
	v_cmp_gt_i32_e32 vcc_lo, 32, v7
	v_cndmask_b32_e32 v7, v13, v7, vcc_lo
	v_cmp_gt_i32_e32 vcc_lo, 32, v9
	v_lshlrev_b32_e32 v8, 2, v7
	v_cndmask_b32_e32 v9, v13, v9, vcc_lo
	ds_bpermute_b32 v7, v8, v11
	ds_bpermute_b32 v8, v8, v12
	v_lshlrev_b32_e32 v10, 2, v9
	s_waitcnt lgkmcnt(0)
	v_add_f64 v[7:8], v[11:12], v[7:8]
	ds_bpermute_b32 v9, v10, v7
	ds_bpermute_b32 v10, v10, v8
	s_waitcnt lgkmcnt(0)
	v_add_f64 v[7:8], v[7:8], v[9:10]
	v_xor_b32_e32 v9, 1, v13
	v_cmp_gt_i32_e32 vcc_lo, 32, v9
	v_cndmask_b32_e32 v9, v13, v9, vcc_lo
	v_cmp_eq_u32_e32 vcc_lo, 7, v0
	v_lshlrev_b32_e32 v10, 2, v9
	ds_bpermute_b32 v9, v10, v7
	ds_bpermute_b32 v10, v10, v8
	s_and_b32 exec_lo, exec_lo, vcc_lo
	s_cbranch_execz .LBB147_15
; %bb.11:
	s_waitcnt lgkmcnt(0)
	v_add_f64 v[7:8], v[7:8], v[9:10]
	v_lshlrev_b64 v[5:6], 3, v[5:6]
	s_mov_b32 s0, exec_lo
	v_mul_f64 v[3:4], v[3:4], v[7:8]
	v_cmpx_eq_f64_e32 0, v[1:2]
	s_xor_b32 s0, exec_lo, s0
	s_cbranch_execz .LBB147_13
; %bb.12:
	v_add_co_u32 v0, vcc_lo, s6, v5
	v_add_co_ci_u32_e64 v1, null, s7, v6, vcc_lo
                                        ; implicit-def: $vgpr5_vgpr6
	global_store_dwordx2 v[0:1], v[3:4], off
                                        ; implicit-def: $vgpr1_vgpr2
                                        ; implicit-def: $vgpr3_vgpr4
.LBB147_13:
	s_andn2_saveexec_b32 s0, s0
	s_cbranch_execz .LBB147_15
; %bb.14:
	v_add_co_u32 v5, vcc_lo, s6, v5
	v_add_co_ci_u32_e64 v6, null, s7, v6, vcc_lo
	global_load_dwordx2 v[7:8], v[5:6], off
	s_waitcnt vmcnt(0)
	v_fma_f64 v[0:1], v[1:2], v[7:8], v[3:4]
	global_store_dwordx2 v[5:6], v[0:1], off
.LBB147_15:
	s_endpgm
	.section	.rodata,"a",@progbits
	.p2align	6, 0x0
	.amdhsa_kernel _ZN9rocsparseL19gebsrmvn_1xn_kernelILj128ELj16ELj8EdEEvi20rocsparse_direction_NS_24const_host_device_scalarIT2_EEPKiS6_PKS3_S8_S4_PS3_21rocsparse_index_base_b
		.amdhsa_group_segment_fixed_size 0
		.amdhsa_private_segment_fixed_size 0
		.amdhsa_kernarg_size 72
		.amdhsa_user_sgpr_count 6
		.amdhsa_user_sgpr_private_segment_buffer 1
		.amdhsa_user_sgpr_dispatch_ptr 0
		.amdhsa_user_sgpr_queue_ptr 0
		.amdhsa_user_sgpr_kernarg_segment_ptr 1
		.amdhsa_user_sgpr_dispatch_id 0
		.amdhsa_user_sgpr_flat_scratch_init 0
		.amdhsa_user_sgpr_private_segment_size 0
		.amdhsa_wavefront_size32 1
		.amdhsa_uses_dynamic_stack 0
		.amdhsa_system_sgpr_private_segment_wavefront_offset 0
		.amdhsa_system_sgpr_workgroup_id_x 1
		.amdhsa_system_sgpr_workgroup_id_y 0
		.amdhsa_system_sgpr_workgroup_id_z 0
		.amdhsa_system_sgpr_workgroup_info 0
		.amdhsa_system_vgpr_workitem_id 0
		.amdhsa_next_free_vgpr 66
		.amdhsa_next_free_sgpr 11
		.amdhsa_reserve_vcc 1
		.amdhsa_reserve_flat_scratch 0
		.amdhsa_float_round_mode_32 0
		.amdhsa_float_round_mode_16_64 0
		.amdhsa_float_denorm_mode_32 3
		.amdhsa_float_denorm_mode_16_64 3
		.amdhsa_dx10_clamp 1
		.amdhsa_ieee_mode 1
		.amdhsa_fp16_overflow 0
		.amdhsa_workgroup_processor_mode 1
		.amdhsa_memory_ordered 1
		.amdhsa_forward_progress 1
		.amdhsa_shared_vgpr_count 0
		.amdhsa_exception_fp_ieee_invalid_op 0
		.amdhsa_exception_fp_denorm_src 0
		.amdhsa_exception_fp_ieee_div_zero 0
		.amdhsa_exception_fp_ieee_overflow 0
		.amdhsa_exception_fp_ieee_underflow 0
		.amdhsa_exception_fp_ieee_inexact 0
		.amdhsa_exception_int_div_zero 0
	.end_amdhsa_kernel
	.section	.text._ZN9rocsparseL19gebsrmvn_1xn_kernelILj128ELj16ELj8EdEEvi20rocsparse_direction_NS_24const_host_device_scalarIT2_EEPKiS6_PKS3_S8_S4_PS3_21rocsparse_index_base_b,"axG",@progbits,_ZN9rocsparseL19gebsrmvn_1xn_kernelILj128ELj16ELj8EdEEvi20rocsparse_direction_NS_24const_host_device_scalarIT2_EEPKiS6_PKS3_S8_S4_PS3_21rocsparse_index_base_b,comdat
.Lfunc_end147:
	.size	_ZN9rocsparseL19gebsrmvn_1xn_kernelILj128ELj16ELj8EdEEvi20rocsparse_direction_NS_24const_host_device_scalarIT2_EEPKiS6_PKS3_S8_S4_PS3_21rocsparse_index_base_b, .Lfunc_end147-_ZN9rocsparseL19gebsrmvn_1xn_kernelILj128ELj16ELj8EdEEvi20rocsparse_direction_NS_24const_host_device_scalarIT2_EEPKiS6_PKS3_S8_S4_PS3_21rocsparse_index_base_b
                                        ; -- End function
	.set _ZN9rocsparseL19gebsrmvn_1xn_kernelILj128ELj16ELj8EdEEvi20rocsparse_direction_NS_24const_host_device_scalarIT2_EEPKiS6_PKS3_S8_S4_PS3_21rocsparse_index_base_b.num_vgpr, 66
	.set _ZN9rocsparseL19gebsrmvn_1xn_kernelILj128ELj16ELj8EdEEvi20rocsparse_direction_NS_24const_host_device_scalarIT2_EEPKiS6_PKS3_S8_S4_PS3_21rocsparse_index_base_b.num_agpr, 0
	.set _ZN9rocsparseL19gebsrmvn_1xn_kernelILj128ELj16ELj8EdEEvi20rocsparse_direction_NS_24const_host_device_scalarIT2_EEPKiS6_PKS3_S8_S4_PS3_21rocsparse_index_base_b.numbered_sgpr, 11
	.set _ZN9rocsparseL19gebsrmvn_1xn_kernelILj128ELj16ELj8EdEEvi20rocsparse_direction_NS_24const_host_device_scalarIT2_EEPKiS6_PKS3_S8_S4_PS3_21rocsparse_index_base_b.num_named_barrier, 0
	.set _ZN9rocsparseL19gebsrmvn_1xn_kernelILj128ELj16ELj8EdEEvi20rocsparse_direction_NS_24const_host_device_scalarIT2_EEPKiS6_PKS3_S8_S4_PS3_21rocsparse_index_base_b.private_seg_size, 0
	.set _ZN9rocsparseL19gebsrmvn_1xn_kernelILj128ELj16ELj8EdEEvi20rocsparse_direction_NS_24const_host_device_scalarIT2_EEPKiS6_PKS3_S8_S4_PS3_21rocsparse_index_base_b.uses_vcc, 1
	.set _ZN9rocsparseL19gebsrmvn_1xn_kernelILj128ELj16ELj8EdEEvi20rocsparse_direction_NS_24const_host_device_scalarIT2_EEPKiS6_PKS3_S8_S4_PS3_21rocsparse_index_base_b.uses_flat_scratch, 0
	.set _ZN9rocsparseL19gebsrmvn_1xn_kernelILj128ELj16ELj8EdEEvi20rocsparse_direction_NS_24const_host_device_scalarIT2_EEPKiS6_PKS3_S8_S4_PS3_21rocsparse_index_base_b.has_dyn_sized_stack, 0
	.set _ZN9rocsparseL19gebsrmvn_1xn_kernelILj128ELj16ELj8EdEEvi20rocsparse_direction_NS_24const_host_device_scalarIT2_EEPKiS6_PKS3_S8_S4_PS3_21rocsparse_index_base_b.has_recursion, 0
	.set _ZN9rocsparseL19gebsrmvn_1xn_kernelILj128ELj16ELj8EdEEvi20rocsparse_direction_NS_24const_host_device_scalarIT2_EEPKiS6_PKS3_S8_S4_PS3_21rocsparse_index_base_b.has_indirect_call, 0
	.section	.AMDGPU.csdata,"",@progbits
; Kernel info:
; codeLenInByte = 1016
; TotalNumSgprs: 13
; NumVgprs: 66
; ScratchSize: 0
; MemoryBound: 1
; FloatMode: 240
; IeeeMode: 1
; LDSByteSize: 0 bytes/workgroup (compile time only)
; SGPRBlocks: 0
; VGPRBlocks: 8
; NumSGPRsForWavesPerEU: 13
; NumVGPRsForWavesPerEU: 66
; Occupancy: 12
; WaveLimiterHint : 1
; COMPUTE_PGM_RSRC2:SCRATCH_EN: 0
; COMPUTE_PGM_RSRC2:USER_SGPR: 6
; COMPUTE_PGM_RSRC2:TRAP_HANDLER: 0
; COMPUTE_PGM_RSRC2:TGID_X_EN: 1
; COMPUTE_PGM_RSRC2:TGID_Y_EN: 0
; COMPUTE_PGM_RSRC2:TGID_Z_EN: 0
; COMPUTE_PGM_RSRC2:TIDIG_COMP_CNT: 0
	.section	.text._ZN9rocsparseL19gebsrmvn_1xn_kernelILj128ELj16ELj16EdEEvi20rocsparse_direction_NS_24const_host_device_scalarIT2_EEPKiS6_PKS3_S8_S4_PS3_21rocsparse_index_base_b,"axG",@progbits,_ZN9rocsparseL19gebsrmvn_1xn_kernelILj128ELj16ELj16EdEEvi20rocsparse_direction_NS_24const_host_device_scalarIT2_EEPKiS6_PKS3_S8_S4_PS3_21rocsparse_index_base_b,comdat
	.globl	_ZN9rocsparseL19gebsrmvn_1xn_kernelILj128ELj16ELj16EdEEvi20rocsparse_direction_NS_24const_host_device_scalarIT2_EEPKiS6_PKS3_S8_S4_PS3_21rocsparse_index_base_b ; -- Begin function _ZN9rocsparseL19gebsrmvn_1xn_kernelILj128ELj16ELj16EdEEvi20rocsparse_direction_NS_24const_host_device_scalarIT2_EEPKiS6_PKS3_S8_S4_PS3_21rocsparse_index_base_b
	.p2align	8
	.type	_ZN9rocsparseL19gebsrmvn_1xn_kernelILj128ELj16ELj16EdEEvi20rocsparse_direction_NS_24const_host_device_scalarIT2_EEPKiS6_PKS3_S8_S4_PS3_21rocsparse_index_base_b,@function
_ZN9rocsparseL19gebsrmvn_1xn_kernelILj128ELj16ELj16EdEEvi20rocsparse_direction_NS_24const_host_device_scalarIT2_EEPKiS6_PKS3_S8_S4_PS3_21rocsparse_index_base_b: ; @_ZN9rocsparseL19gebsrmvn_1xn_kernelILj128ELj16ELj16EdEEvi20rocsparse_direction_NS_24const_host_device_scalarIT2_EEPKiS6_PKS3_S8_S4_PS3_21rocsparse_index_base_b
; %bb.0:
	s_clause 0x2
	s_load_dwordx2 s[8:9], s[4:5], 0x40
	s_load_dwordx2 s[2:3], s[4:5], 0x8
	s_load_dwordx2 s[0:1], s[4:5], 0x30
	s_waitcnt lgkmcnt(0)
	s_bitcmp1_b32 s9, 0
	v_mov_b32_e32 v4, s3
	v_mov_b32_e32 v3, s2
	s_cselect_b32 s7, -1, 0
	s_and_b32 vcc_lo, exec_lo, s7
	s_xor_b32 s7, s7, -1
	s_cbranch_vccnz .LBB148_2
; %bb.1:
	v_mov_b32_e32 v1, s2
	v_mov_b32_e32 v2, s3
	flat_load_dwordx2 v[3:4], v[1:2]
.LBB148_2:
	v_mov_b32_e32 v2, s1
	v_mov_b32_e32 v1, s0
	s_andn2_b32 vcc_lo, exec_lo, s7
	s_cbranch_vccnz .LBB148_4
; %bb.3:
	v_mov_b32_e32 v2, s1
	v_mov_b32_e32 v1, s0
	flat_load_dwordx2 v[1:2], v[1:2]
.LBB148_4:
	s_waitcnt vmcnt(0) lgkmcnt(0)
	v_cmp_neq_f64_e32 vcc_lo, 0, v[3:4]
	v_cmp_neq_f64_e64 s0, 1.0, v[1:2]
	s_or_b32 s0, vcc_lo, s0
	s_and_saveexec_b32 s1, s0
	s_cbranch_execz .LBB148_15
; %bb.5:
	s_load_dword s0, s[4:5], 0x0
	v_lshrrev_b32_e32 v5, 4, v0
	v_lshl_or_b32 v5, s6, 3, v5
	s_waitcnt lgkmcnt(0)
	v_cmp_gt_i32_e32 vcc_lo, s0, v5
	s_and_b32 exec_lo, exec_lo, vcc_lo
	s_cbranch_execz .LBB148_15
; %bb.6:
	s_clause 0x1
	s_load_dwordx2 s[0:1], s[4:5], 0x10
	s_load_dwordx2 s[6:7], s[4:5], 0x38
	v_ashrrev_i32_e32 v6, 31, v5
	v_and_b32_e32 v0, 15, v0
	v_mov_b32_e32 v11, 0
	v_mov_b32_e32 v12, 0
	s_mov_b32 s9, exec_lo
	v_lshlrev_b64 v[7:8], 2, v[5:6]
	v_subrev_nc_u32_e32 v9, s8, v0
	s_waitcnt lgkmcnt(0)
	v_add_co_u32 v7, vcc_lo, s0, v7
	v_add_co_ci_u32_e64 v8, null, s1, v8, vcc_lo
	global_load_dwordx2 v[7:8], v[7:8], off
	s_waitcnt vmcnt(0)
	v_subrev_nc_u32_e32 v13, s8, v8
	v_add_nc_u32_e32 v7, v7, v9
	v_cmpx_lt_i32_e64 v7, v13
	s_cbranch_execz .LBB148_10
; %bb.7:
	s_clause 0x1
	s_load_dwordx4 s[0:3], s[4:5], 0x18
	s_load_dwordx2 s[4:5], s[4:5], 0x28
	v_mov_b32_e32 v11, 0
	v_lshlrev_b32_e32 v9, 4, v7
	v_mov_b32_e32 v12, 0
	v_mov_b32_e32 v10, 0
	s_mov_b32 s10, 0
.LBB148_8:                              ; =>This Inner Loop Header: Depth=1
	v_ashrrev_i32_e32 v8, 31, v7
	v_mov_b32_e32 v23, v10
	v_lshlrev_b64 v[14:15], 2, v[7:8]
	v_add_nc_u32_e32 v7, 16, v7
	s_waitcnt lgkmcnt(0)
	v_add_co_u32 v14, vcc_lo, s0, v14
	v_add_co_ci_u32_e64 v15, null, s1, v15, vcc_lo
	global_load_dword v8, v[14:15], off
	v_lshlrev_b64 v[14:15], 3, v[9:10]
	v_add_nc_u32_e32 v9, 0x100, v9
	v_add_co_u32 v62, vcc_lo, s2, v14
	v_add_co_ci_u32_e64 v63, null, s3, v15, vcc_lo
	s_clause 0x1
	global_load_dwordx4 v[14:17], v[62:63], off offset:16
	global_load_dwordx4 v[18:21], v[62:63], off
	s_waitcnt vmcnt(2)
	v_subrev_nc_u32_e32 v8, s8, v8
	v_lshlrev_b32_e32 v22, 4, v8
	v_lshlrev_b64 v[22:23], 3, v[22:23]
	v_add_co_u32 v64, vcc_lo, s4, v22
	v_add_co_ci_u32_e64 v65, null, s5, v23, vcc_lo
	v_cmp_ge_i32_e32 vcc_lo, v7, v13
	s_clause 0x1
	global_load_dwordx4 v[22:25], v[64:65], off
	global_load_dwordx4 v[26:29], v[64:65], off offset:16
	global_load_dwordx4 v[30:33], v[62:63], off offset:32
	;; [unrolled: 1-line block ×9, first 2 shown]
	s_or_b32 s10, vcc_lo, s10
	s_waitcnt vmcnt(9)
	v_fma_f64 v[11:12], v[18:19], v[22:23], v[11:12]
	v_fma_f64 v[11:12], v[20:21], v[24:25], v[11:12]
	global_load_dwordx4 v[18:21], v[62:63], off offset:96
	global_load_dwordx4 v[22:25], v[64:65], off offset:96
	s_waitcnt vmcnt(10)
	v_fma_f64 v[11:12], v[14:15], v[26:27], v[11:12]
	v_fma_f64 v[11:12], v[16:17], v[28:29], v[11:12]
	global_load_dwordx4 v[14:17], v[62:63], off offset:112
	global_load_dwordx4 v[26:29], v[64:65], off offset:112
	s_waitcnt vmcnt(10)
	v_fma_f64 v[11:12], v[30:31], v[34:35], v[11:12]
	v_fma_f64 v[11:12], v[32:33], v[36:37], v[11:12]
	s_waitcnt vmcnt(8)
	v_fma_f64 v[11:12], v[38:39], v[42:43], v[11:12]
	v_fma_f64 v[11:12], v[40:41], v[44:45], v[11:12]
	;; [unrolled: 3-line block ×6, first 2 shown]
	s_andn2_b32 exec_lo, exec_lo, s10
	s_cbranch_execnz .LBB148_8
; %bb.9:
	s_or_b32 exec_lo, exec_lo, s10
.LBB148_10:
	s_or_b32 exec_lo, exec_lo, s9
	v_mbcnt_lo_u32_b32 v13, -1, 0
	v_xor_b32_e32 v7, 8, v13
	v_xor_b32_e32 v9, 4, v13
	v_cmp_gt_i32_e32 vcc_lo, 32, v7
	v_cndmask_b32_e32 v7, v13, v7, vcc_lo
	v_cmp_gt_i32_e32 vcc_lo, 32, v9
	v_lshlrev_b32_e32 v8, 2, v7
	v_cndmask_b32_e32 v9, v13, v9, vcc_lo
	ds_bpermute_b32 v7, v8, v11
	ds_bpermute_b32 v8, v8, v12
	v_lshlrev_b32_e32 v10, 2, v9
	s_waitcnt lgkmcnt(0)
	v_add_f64 v[7:8], v[11:12], v[7:8]
	ds_bpermute_b32 v9, v10, v7
	ds_bpermute_b32 v10, v10, v8
	s_waitcnt lgkmcnt(0)
	v_add_f64 v[7:8], v[7:8], v[9:10]
	v_xor_b32_e32 v9, 2, v13
	v_cmp_gt_i32_e32 vcc_lo, 32, v9
	v_cndmask_b32_e32 v9, v13, v9, vcc_lo
	v_lshlrev_b32_e32 v10, 2, v9
	ds_bpermute_b32 v9, v10, v7
	ds_bpermute_b32 v10, v10, v8
	s_waitcnt lgkmcnt(0)
	v_add_f64 v[7:8], v[7:8], v[9:10]
	v_xor_b32_e32 v9, 1, v13
	v_cmp_gt_i32_e32 vcc_lo, 32, v9
	v_cndmask_b32_e32 v9, v13, v9, vcc_lo
	v_cmp_eq_u32_e32 vcc_lo, 15, v0
	v_lshlrev_b32_e32 v10, 2, v9
	ds_bpermute_b32 v9, v10, v7
	ds_bpermute_b32 v10, v10, v8
	s_and_b32 exec_lo, exec_lo, vcc_lo
	s_cbranch_execz .LBB148_15
; %bb.11:
	s_waitcnt lgkmcnt(0)
	v_add_f64 v[7:8], v[7:8], v[9:10]
	v_lshlrev_b64 v[5:6], 3, v[5:6]
	s_mov_b32 s0, exec_lo
	v_mul_f64 v[3:4], v[3:4], v[7:8]
	v_cmpx_eq_f64_e32 0, v[1:2]
	s_xor_b32 s0, exec_lo, s0
	s_cbranch_execz .LBB148_13
; %bb.12:
	v_add_co_u32 v0, vcc_lo, s6, v5
	v_add_co_ci_u32_e64 v1, null, s7, v6, vcc_lo
                                        ; implicit-def: $vgpr5_vgpr6
	global_store_dwordx2 v[0:1], v[3:4], off
                                        ; implicit-def: $vgpr1_vgpr2
                                        ; implicit-def: $vgpr3_vgpr4
.LBB148_13:
	s_andn2_saveexec_b32 s0, s0
	s_cbranch_execz .LBB148_15
; %bb.14:
	v_add_co_u32 v5, vcc_lo, s6, v5
	v_add_co_ci_u32_e64 v6, null, s7, v6, vcc_lo
	global_load_dwordx2 v[7:8], v[5:6], off
	s_waitcnt vmcnt(0)
	v_fma_f64 v[0:1], v[1:2], v[7:8], v[3:4]
	global_store_dwordx2 v[5:6], v[0:1], off
.LBB148_15:
	s_endpgm
	.section	.rodata,"a",@progbits
	.p2align	6, 0x0
	.amdhsa_kernel _ZN9rocsparseL19gebsrmvn_1xn_kernelILj128ELj16ELj16EdEEvi20rocsparse_direction_NS_24const_host_device_scalarIT2_EEPKiS6_PKS3_S8_S4_PS3_21rocsparse_index_base_b
		.amdhsa_group_segment_fixed_size 0
		.amdhsa_private_segment_fixed_size 0
		.amdhsa_kernarg_size 72
		.amdhsa_user_sgpr_count 6
		.amdhsa_user_sgpr_private_segment_buffer 1
		.amdhsa_user_sgpr_dispatch_ptr 0
		.amdhsa_user_sgpr_queue_ptr 0
		.amdhsa_user_sgpr_kernarg_segment_ptr 1
		.amdhsa_user_sgpr_dispatch_id 0
		.amdhsa_user_sgpr_flat_scratch_init 0
		.amdhsa_user_sgpr_private_segment_size 0
		.amdhsa_wavefront_size32 1
		.amdhsa_uses_dynamic_stack 0
		.amdhsa_system_sgpr_private_segment_wavefront_offset 0
		.amdhsa_system_sgpr_workgroup_id_x 1
		.amdhsa_system_sgpr_workgroup_id_y 0
		.amdhsa_system_sgpr_workgroup_id_z 0
		.amdhsa_system_sgpr_workgroup_info 0
		.amdhsa_system_vgpr_workitem_id 0
		.amdhsa_next_free_vgpr 66
		.amdhsa_next_free_sgpr 11
		.amdhsa_reserve_vcc 1
		.amdhsa_reserve_flat_scratch 0
		.amdhsa_float_round_mode_32 0
		.amdhsa_float_round_mode_16_64 0
		.amdhsa_float_denorm_mode_32 3
		.amdhsa_float_denorm_mode_16_64 3
		.amdhsa_dx10_clamp 1
		.amdhsa_ieee_mode 1
		.amdhsa_fp16_overflow 0
		.amdhsa_workgroup_processor_mode 1
		.amdhsa_memory_ordered 1
		.amdhsa_forward_progress 1
		.amdhsa_shared_vgpr_count 0
		.amdhsa_exception_fp_ieee_invalid_op 0
		.amdhsa_exception_fp_denorm_src 0
		.amdhsa_exception_fp_ieee_div_zero 0
		.amdhsa_exception_fp_ieee_overflow 0
		.amdhsa_exception_fp_ieee_underflow 0
		.amdhsa_exception_fp_ieee_inexact 0
		.amdhsa_exception_int_div_zero 0
	.end_amdhsa_kernel
	.section	.text._ZN9rocsparseL19gebsrmvn_1xn_kernelILj128ELj16ELj16EdEEvi20rocsparse_direction_NS_24const_host_device_scalarIT2_EEPKiS6_PKS3_S8_S4_PS3_21rocsparse_index_base_b,"axG",@progbits,_ZN9rocsparseL19gebsrmvn_1xn_kernelILj128ELj16ELj16EdEEvi20rocsparse_direction_NS_24const_host_device_scalarIT2_EEPKiS6_PKS3_S8_S4_PS3_21rocsparse_index_base_b,comdat
.Lfunc_end148:
	.size	_ZN9rocsparseL19gebsrmvn_1xn_kernelILj128ELj16ELj16EdEEvi20rocsparse_direction_NS_24const_host_device_scalarIT2_EEPKiS6_PKS3_S8_S4_PS3_21rocsparse_index_base_b, .Lfunc_end148-_ZN9rocsparseL19gebsrmvn_1xn_kernelILj128ELj16ELj16EdEEvi20rocsparse_direction_NS_24const_host_device_scalarIT2_EEPKiS6_PKS3_S8_S4_PS3_21rocsparse_index_base_b
                                        ; -- End function
	.set _ZN9rocsparseL19gebsrmvn_1xn_kernelILj128ELj16ELj16EdEEvi20rocsparse_direction_NS_24const_host_device_scalarIT2_EEPKiS6_PKS3_S8_S4_PS3_21rocsparse_index_base_b.num_vgpr, 66
	.set _ZN9rocsparseL19gebsrmvn_1xn_kernelILj128ELj16ELj16EdEEvi20rocsparse_direction_NS_24const_host_device_scalarIT2_EEPKiS6_PKS3_S8_S4_PS3_21rocsparse_index_base_b.num_agpr, 0
	.set _ZN9rocsparseL19gebsrmvn_1xn_kernelILj128ELj16ELj16EdEEvi20rocsparse_direction_NS_24const_host_device_scalarIT2_EEPKiS6_PKS3_S8_S4_PS3_21rocsparse_index_base_b.numbered_sgpr, 11
	.set _ZN9rocsparseL19gebsrmvn_1xn_kernelILj128ELj16ELj16EdEEvi20rocsparse_direction_NS_24const_host_device_scalarIT2_EEPKiS6_PKS3_S8_S4_PS3_21rocsparse_index_base_b.num_named_barrier, 0
	.set _ZN9rocsparseL19gebsrmvn_1xn_kernelILj128ELj16ELj16EdEEvi20rocsparse_direction_NS_24const_host_device_scalarIT2_EEPKiS6_PKS3_S8_S4_PS3_21rocsparse_index_base_b.private_seg_size, 0
	.set _ZN9rocsparseL19gebsrmvn_1xn_kernelILj128ELj16ELj16EdEEvi20rocsparse_direction_NS_24const_host_device_scalarIT2_EEPKiS6_PKS3_S8_S4_PS3_21rocsparse_index_base_b.uses_vcc, 1
	.set _ZN9rocsparseL19gebsrmvn_1xn_kernelILj128ELj16ELj16EdEEvi20rocsparse_direction_NS_24const_host_device_scalarIT2_EEPKiS6_PKS3_S8_S4_PS3_21rocsparse_index_base_b.uses_flat_scratch, 0
	.set _ZN9rocsparseL19gebsrmvn_1xn_kernelILj128ELj16ELj16EdEEvi20rocsparse_direction_NS_24const_host_device_scalarIT2_EEPKiS6_PKS3_S8_S4_PS3_21rocsparse_index_base_b.has_dyn_sized_stack, 0
	.set _ZN9rocsparseL19gebsrmvn_1xn_kernelILj128ELj16ELj16EdEEvi20rocsparse_direction_NS_24const_host_device_scalarIT2_EEPKiS6_PKS3_S8_S4_PS3_21rocsparse_index_base_b.has_recursion, 0
	.set _ZN9rocsparseL19gebsrmvn_1xn_kernelILj128ELj16ELj16EdEEvi20rocsparse_direction_NS_24const_host_device_scalarIT2_EEPKiS6_PKS3_S8_S4_PS3_21rocsparse_index_base_b.has_indirect_call, 0
	.section	.AMDGPU.csdata,"",@progbits
; Kernel info:
; codeLenInByte = 1060
; TotalNumSgprs: 13
; NumVgprs: 66
; ScratchSize: 0
; MemoryBound: 1
; FloatMode: 240
; IeeeMode: 1
; LDSByteSize: 0 bytes/workgroup (compile time only)
; SGPRBlocks: 0
; VGPRBlocks: 8
; NumSGPRsForWavesPerEU: 13
; NumVGPRsForWavesPerEU: 66
; Occupancy: 12
; WaveLimiterHint : 1
; COMPUTE_PGM_RSRC2:SCRATCH_EN: 0
; COMPUTE_PGM_RSRC2:USER_SGPR: 6
; COMPUTE_PGM_RSRC2:TRAP_HANDLER: 0
; COMPUTE_PGM_RSRC2:TGID_X_EN: 1
; COMPUTE_PGM_RSRC2:TGID_Y_EN: 0
; COMPUTE_PGM_RSRC2:TGID_Z_EN: 0
; COMPUTE_PGM_RSRC2:TIDIG_COMP_CNT: 0
	.section	.text._ZN9rocsparseL19gebsrmvn_1xn_kernelILj128ELj16ELj32EdEEvi20rocsparse_direction_NS_24const_host_device_scalarIT2_EEPKiS6_PKS3_S8_S4_PS3_21rocsparse_index_base_b,"axG",@progbits,_ZN9rocsparseL19gebsrmvn_1xn_kernelILj128ELj16ELj32EdEEvi20rocsparse_direction_NS_24const_host_device_scalarIT2_EEPKiS6_PKS3_S8_S4_PS3_21rocsparse_index_base_b,comdat
	.globl	_ZN9rocsparseL19gebsrmvn_1xn_kernelILj128ELj16ELj32EdEEvi20rocsparse_direction_NS_24const_host_device_scalarIT2_EEPKiS6_PKS3_S8_S4_PS3_21rocsparse_index_base_b ; -- Begin function _ZN9rocsparseL19gebsrmvn_1xn_kernelILj128ELj16ELj32EdEEvi20rocsparse_direction_NS_24const_host_device_scalarIT2_EEPKiS6_PKS3_S8_S4_PS3_21rocsparse_index_base_b
	.p2align	8
	.type	_ZN9rocsparseL19gebsrmvn_1xn_kernelILj128ELj16ELj32EdEEvi20rocsparse_direction_NS_24const_host_device_scalarIT2_EEPKiS6_PKS3_S8_S4_PS3_21rocsparse_index_base_b,@function
_ZN9rocsparseL19gebsrmvn_1xn_kernelILj128ELj16ELj32EdEEvi20rocsparse_direction_NS_24const_host_device_scalarIT2_EEPKiS6_PKS3_S8_S4_PS3_21rocsparse_index_base_b: ; @_ZN9rocsparseL19gebsrmvn_1xn_kernelILj128ELj16ELj32EdEEvi20rocsparse_direction_NS_24const_host_device_scalarIT2_EEPKiS6_PKS3_S8_S4_PS3_21rocsparse_index_base_b
; %bb.0:
	s_clause 0x2
	s_load_dwordx2 s[8:9], s[4:5], 0x40
	s_load_dwordx2 s[2:3], s[4:5], 0x8
	;; [unrolled: 1-line block ×3, first 2 shown]
	s_waitcnt lgkmcnt(0)
	s_bitcmp1_b32 s9, 0
	v_mov_b32_e32 v4, s3
	v_mov_b32_e32 v3, s2
	s_cselect_b32 s7, -1, 0
	s_and_b32 vcc_lo, exec_lo, s7
	s_xor_b32 s7, s7, -1
	s_cbranch_vccnz .LBB149_2
; %bb.1:
	v_mov_b32_e32 v1, s2
	v_mov_b32_e32 v2, s3
	flat_load_dwordx2 v[3:4], v[1:2]
.LBB149_2:
	v_mov_b32_e32 v2, s1
	v_mov_b32_e32 v1, s0
	s_andn2_b32 vcc_lo, exec_lo, s7
	s_cbranch_vccnz .LBB149_4
; %bb.3:
	v_mov_b32_e32 v2, s1
	v_mov_b32_e32 v1, s0
	flat_load_dwordx2 v[1:2], v[1:2]
.LBB149_4:
	s_waitcnt vmcnt(0) lgkmcnt(0)
	v_cmp_neq_f64_e32 vcc_lo, 0, v[3:4]
	v_cmp_neq_f64_e64 s0, 1.0, v[1:2]
	s_or_b32 s0, vcc_lo, s0
	s_and_saveexec_b32 s1, s0
	s_cbranch_execz .LBB149_15
; %bb.5:
	s_load_dword s0, s[4:5], 0x0
	v_lshrrev_b32_e32 v5, 5, v0
	v_lshl_or_b32 v5, s6, 2, v5
	s_waitcnt lgkmcnt(0)
	v_cmp_gt_i32_e32 vcc_lo, s0, v5
	s_and_b32 exec_lo, exec_lo, vcc_lo
	s_cbranch_execz .LBB149_15
; %bb.6:
	s_clause 0x1
	s_load_dwordx2 s[0:1], s[4:5], 0x10
	s_load_dwordx2 s[6:7], s[4:5], 0x38
	v_ashrrev_i32_e32 v6, 31, v5
	v_and_b32_e32 v0, 31, v0
	v_mov_b32_e32 v11, 0
	v_mov_b32_e32 v12, 0
	s_mov_b32 s9, exec_lo
	v_lshlrev_b64 v[7:8], 2, v[5:6]
	v_subrev_nc_u32_e32 v9, s8, v0
	s_waitcnt lgkmcnt(0)
	v_add_co_u32 v7, vcc_lo, s0, v7
	v_add_co_ci_u32_e64 v8, null, s1, v8, vcc_lo
	global_load_dwordx2 v[7:8], v[7:8], off
	s_waitcnt vmcnt(0)
	v_subrev_nc_u32_e32 v13, s8, v8
	v_add_nc_u32_e32 v7, v7, v9
	v_cmpx_lt_i32_e64 v7, v13
	s_cbranch_execz .LBB149_10
; %bb.7:
	s_clause 0x1
	s_load_dwordx4 s[0:3], s[4:5], 0x18
	s_load_dwordx2 s[4:5], s[4:5], 0x28
	v_mov_b32_e32 v11, 0
	v_lshlrev_b32_e32 v9, 4, v7
	v_mov_b32_e32 v12, 0
	v_mov_b32_e32 v10, 0
	s_mov_b32 s10, 0
.LBB149_8:                              ; =>This Inner Loop Header: Depth=1
	v_ashrrev_i32_e32 v8, 31, v7
	v_mov_b32_e32 v23, v10
	v_lshlrev_b64 v[14:15], 2, v[7:8]
	v_add_nc_u32_e32 v7, 32, v7
	s_waitcnt lgkmcnt(0)
	v_add_co_u32 v14, vcc_lo, s0, v14
	v_add_co_ci_u32_e64 v15, null, s1, v15, vcc_lo
	global_load_dword v8, v[14:15], off
	v_lshlrev_b64 v[14:15], 3, v[9:10]
	v_add_nc_u32_e32 v9, 0x200, v9
	v_add_co_u32 v62, vcc_lo, s2, v14
	v_add_co_ci_u32_e64 v63, null, s3, v15, vcc_lo
	s_clause 0x1
	global_load_dwordx4 v[14:17], v[62:63], off offset:16
	global_load_dwordx4 v[18:21], v[62:63], off
	s_waitcnt vmcnt(2)
	v_subrev_nc_u32_e32 v8, s8, v8
	v_lshlrev_b32_e32 v22, 4, v8
	v_lshlrev_b64 v[22:23], 3, v[22:23]
	v_add_co_u32 v64, vcc_lo, s4, v22
	v_add_co_ci_u32_e64 v65, null, s5, v23, vcc_lo
	v_cmp_ge_i32_e32 vcc_lo, v7, v13
	s_clause 0x1
	global_load_dwordx4 v[22:25], v[64:65], off
	global_load_dwordx4 v[26:29], v[64:65], off offset:16
	global_load_dwordx4 v[30:33], v[62:63], off offset:32
	;; [unrolled: 1-line block ×9, first 2 shown]
	s_or_b32 s10, vcc_lo, s10
	s_waitcnt vmcnt(9)
	v_fma_f64 v[11:12], v[18:19], v[22:23], v[11:12]
	v_fma_f64 v[11:12], v[20:21], v[24:25], v[11:12]
	global_load_dwordx4 v[18:21], v[62:63], off offset:96
	global_load_dwordx4 v[22:25], v[64:65], off offset:96
	s_waitcnt vmcnt(10)
	v_fma_f64 v[11:12], v[14:15], v[26:27], v[11:12]
	v_fma_f64 v[11:12], v[16:17], v[28:29], v[11:12]
	global_load_dwordx4 v[14:17], v[62:63], off offset:112
	global_load_dwordx4 v[26:29], v[64:65], off offset:112
	s_waitcnt vmcnt(10)
	v_fma_f64 v[11:12], v[30:31], v[34:35], v[11:12]
	v_fma_f64 v[11:12], v[32:33], v[36:37], v[11:12]
	s_waitcnt vmcnt(8)
	v_fma_f64 v[11:12], v[38:39], v[42:43], v[11:12]
	v_fma_f64 v[11:12], v[40:41], v[44:45], v[11:12]
	;; [unrolled: 3-line block ×6, first 2 shown]
	s_andn2_b32 exec_lo, exec_lo, s10
	s_cbranch_execnz .LBB149_8
; %bb.9:
	s_or_b32 exec_lo, exec_lo, s10
.LBB149_10:
	s_or_b32 exec_lo, exec_lo, s9
	v_mbcnt_lo_u32_b32 v13, -1, 0
	v_xor_b32_e32 v7, 16, v13
	v_xor_b32_e32 v9, 8, v13
	v_cmp_gt_i32_e32 vcc_lo, 32, v7
	v_cndmask_b32_e32 v7, v13, v7, vcc_lo
	v_cmp_gt_i32_e32 vcc_lo, 32, v9
	v_lshlrev_b32_e32 v8, 2, v7
	v_cndmask_b32_e32 v9, v13, v9, vcc_lo
	ds_bpermute_b32 v7, v8, v11
	ds_bpermute_b32 v8, v8, v12
	v_lshlrev_b32_e32 v10, 2, v9
	s_waitcnt lgkmcnt(0)
	v_add_f64 v[7:8], v[11:12], v[7:8]
	ds_bpermute_b32 v9, v10, v7
	ds_bpermute_b32 v10, v10, v8
	s_waitcnt lgkmcnt(0)
	v_add_f64 v[7:8], v[7:8], v[9:10]
	v_xor_b32_e32 v9, 4, v13
	v_cmp_gt_i32_e32 vcc_lo, 32, v9
	v_cndmask_b32_e32 v9, v13, v9, vcc_lo
	v_lshlrev_b32_e32 v10, 2, v9
	ds_bpermute_b32 v9, v10, v7
	ds_bpermute_b32 v10, v10, v8
	s_waitcnt lgkmcnt(0)
	v_add_f64 v[7:8], v[7:8], v[9:10]
	v_xor_b32_e32 v9, 2, v13
	v_cmp_gt_i32_e32 vcc_lo, 32, v9
	v_cndmask_b32_e32 v9, v13, v9, vcc_lo
	v_lshlrev_b32_e32 v10, 2, v9
	ds_bpermute_b32 v9, v10, v7
	ds_bpermute_b32 v10, v10, v8
	s_waitcnt lgkmcnt(0)
	v_add_f64 v[7:8], v[7:8], v[9:10]
	v_xor_b32_e32 v9, 1, v13
	v_cmp_gt_i32_e32 vcc_lo, 32, v9
	v_cndmask_b32_e32 v9, v13, v9, vcc_lo
	v_cmp_eq_u32_e32 vcc_lo, 31, v0
	v_lshlrev_b32_e32 v10, 2, v9
	ds_bpermute_b32 v9, v10, v7
	ds_bpermute_b32 v10, v10, v8
	s_and_b32 exec_lo, exec_lo, vcc_lo
	s_cbranch_execz .LBB149_15
; %bb.11:
	s_waitcnt lgkmcnt(0)
	v_add_f64 v[7:8], v[7:8], v[9:10]
	v_lshlrev_b64 v[5:6], 3, v[5:6]
	s_mov_b32 s0, exec_lo
	v_mul_f64 v[3:4], v[3:4], v[7:8]
	v_cmpx_eq_f64_e32 0, v[1:2]
	s_xor_b32 s0, exec_lo, s0
	s_cbranch_execz .LBB149_13
; %bb.12:
	v_add_co_u32 v0, vcc_lo, s6, v5
	v_add_co_ci_u32_e64 v1, null, s7, v6, vcc_lo
                                        ; implicit-def: $vgpr5_vgpr6
	global_store_dwordx2 v[0:1], v[3:4], off
                                        ; implicit-def: $vgpr1_vgpr2
                                        ; implicit-def: $vgpr3_vgpr4
.LBB149_13:
	s_andn2_saveexec_b32 s0, s0
	s_cbranch_execz .LBB149_15
; %bb.14:
	v_add_co_u32 v5, vcc_lo, s6, v5
	v_add_co_ci_u32_e64 v6, null, s7, v6, vcc_lo
	global_load_dwordx2 v[7:8], v[5:6], off
	s_waitcnt vmcnt(0)
	v_fma_f64 v[0:1], v[1:2], v[7:8], v[3:4]
	global_store_dwordx2 v[5:6], v[0:1], off
.LBB149_15:
	s_endpgm
	.section	.rodata,"a",@progbits
	.p2align	6, 0x0
	.amdhsa_kernel _ZN9rocsparseL19gebsrmvn_1xn_kernelILj128ELj16ELj32EdEEvi20rocsparse_direction_NS_24const_host_device_scalarIT2_EEPKiS6_PKS3_S8_S4_PS3_21rocsparse_index_base_b
		.amdhsa_group_segment_fixed_size 0
		.amdhsa_private_segment_fixed_size 0
		.amdhsa_kernarg_size 72
		.amdhsa_user_sgpr_count 6
		.amdhsa_user_sgpr_private_segment_buffer 1
		.amdhsa_user_sgpr_dispatch_ptr 0
		.amdhsa_user_sgpr_queue_ptr 0
		.amdhsa_user_sgpr_kernarg_segment_ptr 1
		.amdhsa_user_sgpr_dispatch_id 0
		.amdhsa_user_sgpr_flat_scratch_init 0
		.amdhsa_user_sgpr_private_segment_size 0
		.amdhsa_wavefront_size32 1
		.amdhsa_uses_dynamic_stack 0
		.amdhsa_system_sgpr_private_segment_wavefront_offset 0
		.amdhsa_system_sgpr_workgroup_id_x 1
		.amdhsa_system_sgpr_workgroup_id_y 0
		.amdhsa_system_sgpr_workgroup_id_z 0
		.amdhsa_system_sgpr_workgroup_info 0
		.amdhsa_system_vgpr_workitem_id 0
		.amdhsa_next_free_vgpr 66
		.amdhsa_next_free_sgpr 11
		.amdhsa_reserve_vcc 1
		.amdhsa_reserve_flat_scratch 0
		.amdhsa_float_round_mode_32 0
		.amdhsa_float_round_mode_16_64 0
		.amdhsa_float_denorm_mode_32 3
		.amdhsa_float_denorm_mode_16_64 3
		.amdhsa_dx10_clamp 1
		.amdhsa_ieee_mode 1
		.amdhsa_fp16_overflow 0
		.amdhsa_workgroup_processor_mode 1
		.amdhsa_memory_ordered 1
		.amdhsa_forward_progress 1
		.amdhsa_shared_vgpr_count 0
		.amdhsa_exception_fp_ieee_invalid_op 0
		.amdhsa_exception_fp_denorm_src 0
		.amdhsa_exception_fp_ieee_div_zero 0
		.amdhsa_exception_fp_ieee_overflow 0
		.amdhsa_exception_fp_ieee_underflow 0
		.amdhsa_exception_fp_ieee_inexact 0
		.amdhsa_exception_int_div_zero 0
	.end_amdhsa_kernel
	.section	.text._ZN9rocsparseL19gebsrmvn_1xn_kernelILj128ELj16ELj32EdEEvi20rocsparse_direction_NS_24const_host_device_scalarIT2_EEPKiS6_PKS3_S8_S4_PS3_21rocsparse_index_base_b,"axG",@progbits,_ZN9rocsparseL19gebsrmvn_1xn_kernelILj128ELj16ELj32EdEEvi20rocsparse_direction_NS_24const_host_device_scalarIT2_EEPKiS6_PKS3_S8_S4_PS3_21rocsparse_index_base_b,comdat
.Lfunc_end149:
	.size	_ZN9rocsparseL19gebsrmvn_1xn_kernelILj128ELj16ELj32EdEEvi20rocsparse_direction_NS_24const_host_device_scalarIT2_EEPKiS6_PKS3_S8_S4_PS3_21rocsparse_index_base_b, .Lfunc_end149-_ZN9rocsparseL19gebsrmvn_1xn_kernelILj128ELj16ELj32EdEEvi20rocsparse_direction_NS_24const_host_device_scalarIT2_EEPKiS6_PKS3_S8_S4_PS3_21rocsparse_index_base_b
                                        ; -- End function
	.set _ZN9rocsparseL19gebsrmvn_1xn_kernelILj128ELj16ELj32EdEEvi20rocsparse_direction_NS_24const_host_device_scalarIT2_EEPKiS6_PKS3_S8_S4_PS3_21rocsparse_index_base_b.num_vgpr, 66
	.set _ZN9rocsparseL19gebsrmvn_1xn_kernelILj128ELj16ELj32EdEEvi20rocsparse_direction_NS_24const_host_device_scalarIT2_EEPKiS6_PKS3_S8_S4_PS3_21rocsparse_index_base_b.num_agpr, 0
	.set _ZN9rocsparseL19gebsrmvn_1xn_kernelILj128ELj16ELj32EdEEvi20rocsparse_direction_NS_24const_host_device_scalarIT2_EEPKiS6_PKS3_S8_S4_PS3_21rocsparse_index_base_b.numbered_sgpr, 11
	.set _ZN9rocsparseL19gebsrmvn_1xn_kernelILj128ELj16ELj32EdEEvi20rocsparse_direction_NS_24const_host_device_scalarIT2_EEPKiS6_PKS3_S8_S4_PS3_21rocsparse_index_base_b.num_named_barrier, 0
	.set _ZN9rocsparseL19gebsrmvn_1xn_kernelILj128ELj16ELj32EdEEvi20rocsparse_direction_NS_24const_host_device_scalarIT2_EEPKiS6_PKS3_S8_S4_PS3_21rocsparse_index_base_b.private_seg_size, 0
	.set _ZN9rocsparseL19gebsrmvn_1xn_kernelILj128ELj16ELj32EdEEvi20rocsparse_direction_NS_24const_host_device_scalarIT2_EEPKiS6_PKS3_S8_S4_PS3_21rocsparse_index_base_b.uses_vcc, 1
	.set _ZN9rocsparseL19gebsrmvn_1xn_kernelILj128ELj16ELj32EdEEvi20rocsparse_direction_NS_24const_host_device_scalarIT2_EEPKiS6_PKS3_S8_S4_PS3_21rocsparse_index_base_b.uses_flat_scratch, 0
	.set _ZN9rocsparseL19gebsrmvn_1xn_kernelILj128ELj16ELj32EdEEvi20rocsparse_direction_NS_24const_host_device_scalarIT2_EEPKiS6_PKS3_S8_S4_PS3_21rocsparse_index_base_b.has_dyn_sized_stack, 0
	.set _ZN9rocsparseL19gebsrmvn_1xn_kernelILj128ELj16ELj32EdEEvi20rocsparse_direction_NS_24const_host_device_scalarIT2_EEPKiS6_PKS3_S8_S4_PS3_21rocsparse_index_base_b.has_recursion, 0
	.set _ZN9rocsparseL19gebsrmvn_1xn_kernelILj128ELj16ELj32EdEEvi20rocsparse_direction_NS_24const_host_device_scalarIT2_EEPKiS6_PKS3_S8_S4_PS3_21rocsparse_index_base_b.has_indirect_call, 0
	.section	.AMDGPU.csdata,"",@progbits
; Kernel info:
; codeLenInByte = 1104
; TotalNumSgprs: 13
; NumVgprs: 66
; ScratchSize: 0
; MemoryBound: 1
; FloatMode: 240
; IeeeMode: 1
; LDSByteSize: 0 bytes/workgroup (compile time only)
; SGPRBlocks: 0
; VGPRBlocks: 8
; NumSGPRsForWavesPerEU: 13
; NumVGPRsForWavesPerEU: 66
; Occupancy: 12
; WaveLimiterHint : 1
; COMPUTE_PGM_RSRC2:SCRATCH_EN: 0
; COMPUTE_PGM_RSRC2:USER_SGPR: 6
; COMPUTE_PGM_RSRC2:TRAP_HANDLER: 0
; COMPUTE_PGM_RSRC2:TGID_X_EN: 1
; COMPUTE_PGM_RSRC2:TGID_Y_EN: 0
; COMPUTE_PGM_RSRC2:TGID_Z_EN: 0
; COMPUTE_PGM_RSRC2:TIDIG_COMP_CNT: 0
	.section	.text._ZN9rocsparseL19gebsrmvn_1xn_kernelILj128ELj16ELj64EdEEvi20rocsparse_direction_NS_24const_host_device_scalarIT2_EEPKiS6_PKS3_S8_S4_PS3_21rocsparse_index_base_b,"axG",@progbits,_ZN9rocsparseL19gebsrmvn_1xn_kernelILj128ELj16ELj64EdEEvi20rocsparse_direction_NS_24const_host_device_scalarIT2_EEPKiS6_PKS3_S8_S4_PS3_21rocsparse_index_base_b,comdat
	.globl	_ZN9rocsparseL19gebsrmvn_1xn_kernelILj128ELj16ELj64EdEEvi20rocsparse_direction_NS_24const_host_device_scalarIT2_EEPKiS6_PKS3_S8_S4_PS3_21rocsparse_index_base_b ; -- Begin function _ZN9rocsparseL19gebsrmvn_1xn_kernelILj128ELj16ELj64EdEEvi20rocsparse_direction_NS_24const_host_device_scalarIT2_EEPKiS6_PKS3_S8_S4_PS3_21rocsparse_index_base_b
	.p2align	8
	.type	_ZN9rocsparseL19gebsrmvn_1xn_kernelILj128ELj16ELj64EdEEvi20rocsparse_direction_NS_24const_host_device_scalarIT2_EEPKiS6_PKS3_S8_S4_PS3_21rocsparse_index_base_b,@function
_ZN9rocsparseL19gebsrmvn_1xn_kernelILj128ELj16ELj64EdEEvi20rocsparse_direction_NS_24const_host_device_scalarIT2_EEPKiS6_PKS3_S8_S4_PS3_21rocsparse_index_base_b: ; @_ZN9rocsparseL19gebsrmvn_1xn_kernelILj128ELj16ELj64EdEEvi20rocsparse_direction_NS_24const_host_device_scalarIT2_EEPKiS6_PKS3_S8_S4_PS3_21rocsparse_index_base_b
; %bb.0:
	s_clause 0x2
	s_load_dwordx2 s[8:9], s[4:5], 0x40
	s_load_dwordx2 s[2:3], s[4:5], 0x8
	;; [unrolled: 1-line block ×3, first 2 shown]
	s_waitcnt lgkmcnt(0)
	s_bitcmp1_b32 s9, 0
	v_mov_b32_e32 v4, s3
	v_mov_b32_e32 v3, s2
	s_cselect_b32 s7, -1, 0
	s_and_b32 vcc_lo, exec_lo, s7
	s_xor_b32 s7, s7, -1
	s_cbranch_vccnz .LBB150_2
; %bb.1:
	v_mov_b32_e32 v1, s2
	v_mov_b32_e32 v2, s3
	flat_load_dwordx2 v[3:4], v[1:2]
.LBB150_2:
	v_mov_b32_e32 v2, s1
	v_mov_b32_e32 v1, s0
	s_andn2_b32 vcc_lo, exec_lo, s7
	s_cbranch_vccnz .LBB150_4
; %bb.3:
	v_mov_b32_e32 v2, s1
	v_mov_b32_e32 v1, s0
	flat_load_dwordx2 v[1:2], v[1:2]
.LBB150_4:
	s_waitcnt vmcnt(0) lgkmcnt(0)
	v_cmp_neq_f64_e32 vcc_lo, 0, v[3:4]
	v_cmp_neq_f64_e64 s0, 1.0, v[1:2]
	s_or_b32 s0, vcc_lo, s0
	s_and_saveexec_b32 s1, s0
	s_cbranch_execz .LBB150_15
; %bb.5:
	s_load_dword s0, s[4:5], 0x0
	v_lshrrev_b32_e32 v5, 6, v0
	v_lshl_or_b32 v5, s6, 1, v5
	s_waitcnt lgkmcnt(0)
	v_cmp_gt_i32_e32 vcc_lo, s0, v5
	s_and_b32 exec_lo, exec_lo, vcc_lo
	s_cbranch_execz .LBB150_15
; %bb.6:
	s_clause 0x1
	s_load_dwordx2 s[0:1], s[4:5], 0x10
	s_load_dwordx2 s[6:7], s[4:5], 0x38
	v_ashrrev_i32_e32 v6, 31, v5
	v_and_b32_e32 v0, 63, v0
	v_mov_b32_e32 v11, 0
	v_mov_b32_e32 v12, 0
	s_mov_b32 s9, exec_lo
	v_lshlrev_b64 v[7:8], 2, v[5:6]
	v_subrev_nc_u32_e32 v9, s8, v0
	s_waitcnt lgkmcnt(0)
	v_add_co_u32 v7, vcc_lo, s0, v7
	v_add_co_ci_u32_e64 v8, null, s1, v8, vcc_lo
	global_load_dwordx2 v[7:8], v[7:8], off
	s_waitcnt vmcnt(0)
	v_subrev_nc_u32_e32 v13, s8, v8
	v_add_nc_u32_e32 v7, v7, v9
	v_cmpx_lt_i32_e64 v7, v13
	s_cbranch_execz .LBB150_10
; %bb.7:
	s_clause 0x1
	s_load_dwordx4 s[0:3], s[4:5], 0x18
	s_load_dwordx2 s[4:5], s[4:5], 0x28
	v_mov_b32_e32 v11, 0
	v_lshlrev_b32_e32 v9, 4, v7
	v_mov_b32_e32 v12, 0
	v_mov_b32_e32 v10, 0
	s_mov_b32 s10, 0
.LBB150_8:                              ; =>This Inner Loop Header: Depth=1
	v_ashrrev_i32_e32 v8, 31, v7
	v_mov_b32_e32 v23, v10
	v_lshlrev_b64 v[14:15], 2, v[7:8]
	v_add_nc_u32_e32 v7, 64, v7
	s_waitcnt lgkmcnt(0)
	v_add_co_u32 v14, vcc_lo, s0, v14
	v_add_co_ci_u32_e64 v15, null, s1, v15, vcc_lo
	global_load_dword v8, v[14:15], off
	v_lshlrev_b64 v[14:15], 3, v[9:10]
	v_add_nc_u32_e32 v9, 0x400, v9
	v_add_co_u32 v62, vcc_lo, s2, v14
	v_add_co_ci_u32_e64 v63, null, s3, v15, vcc_lo
	s_clause 0x1
	global_load_dwordx4 v[14:17], v[62:63], off offset:16
	global_load_dwordx4 v[18:21], v[62:63], off
	s_waitcnt vmcnt(2)
	v_subrev_nc_u32_e32 v8, s8, v8
	v_lshlrev_b32_e32 v22, 4, v8
	v_lshlrev_b64 v[22:23], 3, v[22:23]
	v_add_co_u32 v64, vcc_lo, s4, v22
	v_add_co_ci_u32_e64 v65, null, s5, v23, vcc_lo
	v_cmp_ge_i32_e32 vcc_lo, v7, v13
	s_clause 0x1
	global_load_dwordx4 v[22:25], v[64:65], off
	global_load_dwordx4 v[26:29], v[64:65], off offset:16
	global_load_dwordx4 v[30:33], v[62:63], off offset:32
	;; [unrolled: 1-line block ×9, first 2 shown]
	s_or_b32 s10, vcc_lo, s10
	s_waitcnt vmcnt(9)
	v_fma_f64 v[11:12], v[18:19], v[22:23], v[11:12]
	v_fma_f64 v[11:12], v[20:21], v[24:25], v[11:12]
	global_load_dwordx4 v[18:21], v[62:63], off offset:96
	global_load_dwordx4 v[22:25], v[64:65], off offset:96
	s_waitcnt vmcnt(10)
	v_fma_f64 v[11:12], v[14:15], v[26:27], v[11:12]
	v_fma_f64 v[11:12], v[16:17], v[28:29], v[11:12]
	global_load_dwordx4 v[14:17], v[62:63], off offset:112
	global_load_dwordx4 v[26:29], v[64:65], off offset:112
	s_waitcnt vmcnt(10)
	v_fma_f64 v[11:12], v[30:31], v[34:35], v[11:12]
	v_fma_f64 v[11:12], v[32:33], v[36:37], v[11:12]
	s_waitcnt vmcnt(8)
	v_fma_f64 v[11:12], v[38:39], v[42:43], v[11:12]
	v_fma_f64 v[11:12], v[40:41], v[44:45], v[11:12]
	;; [unrolled: 3-line block ×6, first 2 shown]
	s_andn2_b32 exec_lo, exec_lo, s10
	s_cbranch_execnz .LBB150_8
; %bb.9:
	s_or_b32 exec_lo, exec_lo, s10
.LBB150_10:
	s_or_b32 exec_lo, exec_lo, s9
	v_mbcnt_lo_u32_b32 v13, -1, 0
	v_or_b32_e32 v7, 32, v13
	v_xor_b32_e32 v9, 16, v13
	v_cmp_gt_i32_e32 vcc_lo, 32, v7
	v_cndmask_b32_e32 v7, v13, v7, vcc_lo
	v_cmp_gt_i32_e32 vcc_lo, 32, v9
	v_lshlrev_b32_e32 v8, 2, v7
	v_cndmask_b32_e32 v9, v13, v9, vcc_lo
	ds_bpermute_b32 v7, v8, v11
	ds_bpermute_b32 v8, v8, v12
	v_lshlrev_b32_e32 v10, 2, v9
	s_waitcnt lgkmcnt(0)
	v_add_f64 v[7:8], v[11:12], v[7:8]
	ds_bpermute_b32 v9, v10, v7
	ds_bpermute_b32 v10, v10, v8
	s_waitcnt lgkmcnt(0)
	v_add_f64 v[7:8], v[7:8], v[9:10]
	v_xor_b32_e32 v9, 8, v13
	v_cmp_gt_i32_e32 vcc_lo, 32, v9
	v_cndmask_b32_e32 v9, v13, v9, vcc_lo
	v_lshlrev_b32_e32 v10, 2, v9
	ds_bpermute_b32 v9, v10, v7
	ds_bpermute_b32 v10, v10, v8
	s_waitcnt lgkmcnt(0)
	v_add_f64 v[7:8], v[7:8], v[9:10]
	v_xor_b32_e32 v9, 4, v13
	v_cmp_gt_i32_e32 vcc_lo, 32, v9
	v_cndmask_b32_e32 v9, v13, v9, vcc_lo
	v_lshlrev_b32_e32 v10, 2, v9
	ds_bpermute_b32 v9, v10, v7
	ds_bpermute_b32 v10, v10, v8
	s_waitcnt lgkmcnt(0)
	v_add_f64 v[7:8], v[7:8], v[9:10]
	v_xor_b32_e32 v9, 2, v13
	v_cmp_gt_i32_e32 vcc_lo, 32, v9
	v_cndmask_b32_e32 v9, v13, v9, vcc_lo
	v_lshlrev_b32_e32 v10, 2, v9
	ds_bpermute_b32 v9, v10, v7
	ds_bpermute_b32 v10, v10, v8
	s_waitcnt lgkmcnt(0)
	v_add_f64 v[7:8], v[7:8], v[9:10]
	v_xor_b32_e32 v9, 1, v13
	v_cmp_gt_i32_e32 vcc_lo, 32, v9
	v_cndmask_b32_e32 v9, v13, v9, vcc_lo
	v_cmp_eq_u32_e32 vcc_lo, 63, v0
	v_lshlrev_b32_e32 v10, 2, v9
	ds_bpermute_b32 v9, v10, v7
	ds_bpermute_b32 v10, v10, v8
	s_and_b32 exec_lo, exec_lo, vcc_lo
	s_cbranch_execz .LBB150_15
; %bb.11:
	s_waitcnt lgkmcnt(0)
	v_add_f64 v[7:8], v[7:8], v[9:10]
	v_lshlrev_b64 v[5:6], 3, v[5:6]
	s_mov_b32 s0, exec_lo
	v_mul_f64 v[3:4], v[3:4], v[7:8]
	v_cmpx_eq_f64_e32 0, v[1:2]
	s_xor_b32 s0, exec_lo, s0
	s_cbranch_execz .LBB150_13
; %bb.12:
	v_add_co_u32 v0, vcc_lo, s6, v5
	v_add_co_ci_u32_e64 v1, null, s7, v6, vcc_lo
                                        ; implicit-def: $vgpr5_vgpr6
	global_store_dwordx2 v[0:1], v[3:4], off
                                        ; implicit-def: $vgpr1_vgpr2
                                        ; implicit-def: $vgpr3_vgpr4
.LBB150_13:
	s_andn2_saveexec_b32 s0, s0
	s_cbranch_execz .LBB150_15
; %bb.14:
	v_add_co_u32 v5, vcc_lo, s6, v5
	v_add_co_ci_u32_e64 v6, null, s7, v6, vcc_lo
	global_load_dwordx2 v[7:8], v[5:6], off
	s_waitcnt vmcnt(0)
	v_fma_f64 v[0:1], v[1:2], v[7:8], v[3:4]
	global_store_dwordx2 v[5:6], v[0:1], off
.LBB150_15:
	s_endpgm
	.section	.rodata,"a",@progbits
	.p2align	6, 0x0
	.amdhsa_kernel _ZN9rocsparseL19gebsrmvn_1xn_kernelILj128ELj16ELj64EdEEvi20rocsparse_direction_NS_24const_host_device_scalarIT2_EEPKiS6_PKS3_S8_S4_PS3_21rocsparse_index_base_b
		.amdhsa_group_segment_fixed_size 0
		.amdhsa_private_segment_fixed_size 0
		.amdhsa_kernarg_size 72
		.amdhsa_user_sgpr_count 6
		.amdhsa_user_sgpr_private_segment_buffer 1
		.amdhsa_user_sgpr_dispatch_ptr 0
		.amdhsa_user_sgpr_queue_ptr 0
		.amdhsa_user_sgpr_kernarg_segment_ptr 1
		.amdhsa_user_sgpr_dispatch_id 0
		.amdhsa_user_sgpr_flat_scratch_init 0
		.amdhsa_user_sgpr_private_segment_size 0
		.amdhsa_wavefront_size32 1
		.amdhsa_uses_dynamic_stack 0
		.amdhsa_system_sgpr_private_segment_wavefront_offset 0
		.amdhsa_system_sgpr_workgroup_id_x 1
		.amdhsa_system_sgpr_workgroup_id_y 0
		.amdhsa_system_sgpr_workgroup_id_z 0
		.amdhsa_system_sgpr_workgroup_info 0
		.amdhsa_system_vgpr_workitem_id 0
		.amdhsa_next_free_vgpr 66
		.amdhsa_next_free_sgpr 11
		.amdhsa_reserve_vcc 1
		.amdhsa_reserve_flat_scratch 0
		.amdhsa_float_round_mode_32 0
		.amdhsa_float_round_mode_16_64 0
		.amdhsa_float_denorm_mode_32 3
		.amdhsa_float_denorm_mode_16_64 3
		.amdhsa_dx10_clamp 1
		.amdhsa_ieee_mode 1
		.amdhsa_fp16_overflow 0
		.amdhsa_workgroup_processor_mode 1
		.amdhsa_memory_ordered 1
		.amdhsa_forward_progress 1
		.amdhsa_shared_vgpr_count 0
		.amdhsa_exception_fp_ieee_invalid_op 0
		.amdhsa_exception_fp_denorm_src 0
		.amdhsa_exception_fp_ieee_div_zero 0
		.amdhsa_exception_fp_ieee_overflow 0
		.amdhsa_exception_fp_ieee_underflow 0
		.amdhsa_exception_fp_ieee_inexact 0
		.amdhsa_exception_int_div_zero 0
	.end_amdhsa_kernel
	.section	.text._ZN9rocsparseL19gebsrmvn_1xn_kernelILj128ELj16ELj64EdEEvi20rocsparse_direction_NS_24const_host_device_scalarIT2_EEPKiS6_PKS3_S8_S4_PS3_21rocsparse_index_base_b,"axG",@progbits,_ZN9rocsparseL19gebsrmvn_1xn_kernelILj128ELj16ELj64EdEEvi20rocsparse_direction_NS_24const_host_device_scalarIT2_EEPKiS6_PKS3_S8_S4_PS3_21rocsparse_index_base_b,comdat
.Lfunc_end150:
	.size	_ZN9rocsparseL19gebsrmvn_1xn_kernelILj128ELj16ELj64EdEEvi20rocsparse_direction_NS_24const_host_device_scalarIT2_EEPKiS6_PKS3_S8_S4_PS3_21rocsparse_index_base_b, .Lfunc_end150-_ZN9rocsparseL19gebsrmvn_1xn_kernelILj128ELj16ELj64EdEEvi20rocsparse_direction_NS_24const_host_device_scalarIT2_EEPKiS6_PKS3_S8_S4_PS3_21rocsparse_index_base_b
                                        ; -- End function
	.set _ZN9rocsparseL19gebsrmvn_1xn_kernelILj128ELj16ELj64EdEEvi20rocsparse_direction_NS_24const_host_device_scalarIT2_EEPKiS6_PKS3_S8_S4_PS3_21rocsparse_index_base_b.num_vgpr, 66
	.set _ZN9rocsparseL19gebsrmvn_1xn_kernelILj128ELj16ELj64EdEEvi20rocsparse_direction_NS_24const_host_device_scalarIT2_EEPKiS6_PKS3_S8_S4_PS3_21rocsparse_index_base_b.num_agpr, 0
	.set _ZN9rocsparseL19gebsrmvn_1xn_kernelILj128ELj16ELj64EdEEvi20rocsparse_direction_NS_24const_host_device_scalarIT2_EEPKiS6_PKS3_S8_S4_PS3_21rocsparse_index_base_b.numbered_sgpr, 11
	.set _ZN9rocsparseL19gebsrmvn_1xn_kernelILj128ELj16ELj64EdEEvi20rocsparse_direction_NS_24const_host_device_scalarIT2_EEPKiS6_PKS3_S8_S4_PS3_21rocsparse_index_base_b.num_named_barrier, 0
	.set _ZN9rocsparseL19gebsrmvn_1xn_kernelILj128ELj16ELj64EdEEvi20rocsparse_direction_NS_24const_host_device_scalarIT2_EEPKiS6_PKS3_S8_S4_PS3_21rocsparse_index_base_b.private_seg_size, 0
	.set _ZN9rocsparseL19gebsrmvn_1xn_kernelILj128ELj16ELj64EdEEvi20rocsparse_direction_NS_24const_host_device_scalarIT2_EEPKiS6_PKS3_S8_S4_PS3_21rocsparse_index_base_b.uses_vcc, 1
	.set _ZN9rocsparseL19gebsrmvn_1xn_kernelILj128ELj16ELj64EdEEvi20rocsparse_direction_NS_24const_host_device_scalarIT2_EEPKiS6_PKS3_S8_S4_PS3_21rocsparse_index_base_b.uses_flat_scratch, 0
	.set _ZN9rocsparseL19gebsrmvn_1xn_kernelILj128ELj16ELj64EdEEvi20rocsparse_direction_NS_24const_host_device_scalarIT2_EEPKiS6_PKS3_S8_S4_PS3_21rocsparse_index_base_b.has_dyn_sized_stack, 0
	.set _ZN9rocsparseL19gebsrmvn_1xn_kernelILj128ELj16ELj64EdEEvi20rocsparse_direction_NS_24const_host_device_scalarIT2_EEPKiS6_PKS3_S8_S4_PS3_21rocsparse_index_base_b.has_recursion, 0
	.set _ZN9rocsparseL19gebsrmvn_1xn_kernelILj128ELj16ELj64EdEEvi20rocsparse_direction_NS_24const_host_device_scalarIT2_EEPKiS6_PKS3_S8_S4_PS3_21rocsparse_index_base_b.has_indirect_call, 0
	.section	.AMDGPU.csdata,"",@progbits
; Kernel info:
; codeLenInByte = 1148
; TotalNumSgprs: 13
; NumVgprs: 66
; ScratchSize: 0
; MemoryBound: 1
; FloatMode: 240
; IeeeMode: 1
; LDSByteSize: 0 bytes/workgroup (compile time only)
; SGPRBlocks: 0
; VGPRBlocks: 8
; NumSGPRsForWavesPerEU: 13
; NumVGPRsForWavesPerEU: 66
; Occupancy: 12
; WaveLimiterHint : 1
; COMPUTE_PGM_RSRC2:SCRATCH_EN: 0
; COMPUTE_PGM_RSRC2:USER_SGPR: 6
; COMPUTE_PGM_RSRC2:TRAP_HANDLER: 0
; COMPUTE_PGM_RSRC2:TGID_X_EN: 1
; COMPUTE_PGM_RSRC2:TGID_Y_EN: 0
; COMPUTE_PGM_RSRC2:TGID_Z_EN: 0
; COMPUTE_PGM_RSRC2:TIDIG_COMP_CNT: 0
	.section	.text._ZN9rocsparseL23gebsrmvn_general_kernelILj32ELj32EdEEvi20rocsparse_direction_NS_24const_host_device_scalarIT1_EEPKiS6_PKS3_iiS8_S4_PS3_21rocsparse_index_base_b,"axG",@progbits,_ZN9rocsparseL23gebsrmvn_general_kernelILj32ELj32EdEEvi20rocsparse_direction_NS_24const_host_device_scalarIT1_EEPKiS6_PKS3_iiS8_S4_PS3_21rocsparse_index_base_b,comdat
	.globl	_ZN9rocsparseL23gebsrmvn_general_kernelILj32ELj32EdEEvi20rocsparse_direction_NS_24const_host_device_scalarIT1_EEPKiS6_PKS3_iiS8_S4_PS3_21rocsparse_index_base_b ; -- Begin function _ZN9rocsparseL23gebsrmvn_general_kernelILj32ELj32EdEEvi20rocsparse_direction_NS_24const_host_device_scalarIT1_EEPKiS6_PKS3_iiS8_S4_PS3_21rocsparse_index_base_b
	.p2align	8
	.type	_ZN9rocsparseL23gebsrmvn_general_kernelILj32ELj32EdEEvi20rocsparse_direction_NS_24const_host_device_scalarIT1_EEPKiS6_PKS3_iiS8_S4_PS3_21rocsparse_index_base_b,@function
_ZN9rocsparseL23gebsrmvn_general_kernelILj32ELj32EdEEvi20rocsparse_direction_NS_24const_host_device_scalarIT1_EEPKiS6_PKS3_iiS8_S4_PS3_21rocsparse_index_base_b: ; @_ZN9rocsparseL23gebsrmvn_general_kernelILj32ELj32EdEEvi20rocsparse_direction_NS_24const_host_device_scalarIT1_EEPKiS6_PKS3_iiS8_S4_PS3_21rocsparse_index_base_b
; %bb.0:
	s_clause 0x2
	s_load_dwordx2 s[12:13], s[4:5], 0x48
	s_load_dwordx2 s[2:3], s[4:5], 0x8
	;; [unrolled: 1-line block ×3, first 2 shown]
	s_waitcnt lgkmcnt(0)
	s_bitcmp1_b32 s13, 0
	v_mov_b32_e32 v1, s2
	v_mov_b32_e32 v2, s3
	s_cselect_b32 s7, -1, 0
	s_and_b32 vcc_lo, exec_lo, s7
	s_xor_b32 s7, s7, -1
	s_cbranch_vccnz .LBB151_2
; %bb.1:
	v_mov_b32_e32 v1, s2
	v_mov_b32_e32 v2, s3
	flat_load_dwordx2 v[1:2], v[1:2]
.LBB151_2:
	v_mov_b32_e32 v4, s1
	v_mov_b32_e32 v3, s0
	s_andn2_b32 vcc_lo, exec_lo, s7
	s_cbranch_vccnz .LBB151_4
; %bb.3:
	v_mov_b32_e32 v4, s1
	v_mov_b32_e32 v3, s0
	flat_load_dwordx2 v[3:4], v[3:4]
.LBB151_4:
	s_waitcnt vmcnt(0) lgkmcnt(0)
	v_cmp_neq_f64_e32 vcc_lo, 0, v[1:2]
	v_cmp_neq_f64_e64 s0, 1.0, v[3:4]
	s_or_b32 s0, vcc_lo, s0
	s_and_saveexec_b32 s1, s0
	s_cbranch_execz .LBB151_24
; %bb.5:
	s_load_dwordx2 s[14:15], s[4:5], 0x28
	s_mov_b32 s3, 0
	s_waitcnt lgkmcnt(0)
	s_cmp_gt_i32 s14, 0
	s_cselect_b32 s0, -1, 0
	s_and_b32 exec_lo, exec_lo, s0
	s_cbranch_execz .LBB151_24
; %bb.6:
	s_clause 0x3
	s_load_dwordx4 s[8:11], s[4:5], 0x10
	s_load_dwordx2 s[16:17], s[4:5], 0x20
	s_load_dwordx2 s[18:19], s[4:5], 0x30
	s_load_dwordx2 s[20:21], s[4:5], 0x40
	v_mbcnt_lo_u32_b32 v6, -1, 0
	s_ashr_i32 s7, s6, 31
	s_load_dword s13, s[4:5], 0x4
	s_lshl_b64 s[4:5], s[6:7], 2
	v_cmp_eq_f64_e64 s2, 0, v[3:4]
	v_xor_b32_e32 v7, 16, v6
	v_xor_b32_e32 v8, 8, v6
	;; [unrolled: 1-line block ×5, first 2 shown]
	v_cmp_gt_i32_e32 vcc_lo, 32, v7
	v_mov_b32_e32 v5, 0
	v_cmp_gt_i32_e64 s0, s15, v0
	v_cmp_eq_u32_e64 s1, 31, v0
	s_mul_i32 s6, s14, s6
	v_cndmask_b32_e32 v7, v6, v7, vcc_lo
	s_waitcnt lgkmcnt(0)
	s_add_u32 s4, s8, s4
	s_addc_u32 s5, s9, s5
	v_cmp_gt_i32_e32 vcc_lo, 32, v8
	s_load_dwordx2 s[4:5], s[4:5], 0x0
	s_mul_i32 s22, s15, s14
	v_cndmask_b32_e32 v8, v6, v8, vcc_lo
	v_cmp_gt_i32_e32 vcc_lo, 32, v9
	v_cndmask_b32_e32 v9, v6, v9, vcc_lo
	v_cmp_gt_i32_e32 vcc_lo, 32, v10
	v_lshlrev_b32_e32 v12, 2, v9
	v_cndmask_b32_e32 v13, v6, v10, vcc_lo
	v_cmp_gt_i32_e32 vcc_lo, 32, v11
	v_lshlrev_b32_e32 v10, 2, v7
	s_waitcnt lgkmcnt(0)
	s_sub_i32 s7, s4, s12
	s_sub_i32 s8, s5, s12
	v_cndmask_b32_e32 v6, v6, v11, vcc_lo
	s_cmp_lt_i32 s4, s5
	s_mul_i32 s4, s14, s7
	v_lshlrev_b32_e32 v11, 2, v8
	s_mul_i32 s4, s15, s4
	v_lshlrev_b32_e32 v13, 2, v13
	v_lshlrev_b32_e32 v14, 2, v6
	v_mov_b32_e32 v15, s4
	s_cselect_b32 s9, -1, 0
	s_cmp_lg_u32 s13, 0
	s_cselect_b32 s13, -1, 0
	s_branch .LBB151_8
.LBB151_7:                              ;   in Loop: Header=BB151_8 Depth=1
	s_or_b32 exec_lo, exec_lo, s4
	v_add_nc_u32_e32 v5, 1, v5
	v_add_nc_u32_e32 v15, s15, v15
	v_cmp_le_i32_e32 vcc_lo, s14, v5
	s_or_b32 s3, vcc_lo, s3
	s_andn2_b32 exec_lo, exec_lo, s3
	s_cbranch_execz .LBB151_24
.LBB151_8:                              ; =>This Loop Header: Depth=1
                                        ;     Child Loop BB151_12 Depth 2
                                        ;       Child Loop BB151_15 Depth 3
	v_mov_b32_e32 v6, 0
	v_mov_b32_e32 v7, 0
	s_andn2_b32 vcc_lo, exec_lo, s9
	s_cbranch_vccnz .LBB151_19
; %bb.9:                                ;   in Loop: Header=BB151_8 Depth=1
	v_mov_b32_e32 v6, 0
	v_mov_b32_e32 v7, 0
	;; [unrolled: 1-line block ×3, first 2 shown]
	s_mov_b32 s4, s7
	s_branch .LBB151_12
.LBB151_10:                             ;   in Loop: Header=BB151_12 Depth=2
	s_inst_prefetch 0x2
	s_or_b32 exec_lo, exec_lo, s24
.LBB151_11:                             ;   in Loop: Header=BB151_12 Depth=2
	s_or_b32 exec_lo, exec_lo, s23
	v_add_nc_u32_e32 v16, s22, v16
	s_add_i32 s4, s4, 1
	s_cmp_ge_i32 s4, s8
	s_cbranch_scc1 .LBB151_19
.LBB151_12:                             ;   Parent Loop BB151_8 Depth=1
                                        ; =>  This Loop Header: Depth=2
                                        ;       Child Loop BB151_15 Depth 3
	s_and_saveexec_b32 s23, s0
	s_cbranch_execz .LBB151_11
; %bb.13:                               ;   in Loop: Header=BB151_12 Depth=2
	s_ashr_i32 s5, s4, 31
	v_mov_b32_e32 v17, v0
	s_lshl_b64 s[24:25], s[4:5], 2
	s_add_u32 s24, s10, s24
	s_addc_u32 s25, s11, s25
	s_load_dword s5, s[24:25], 0x0
	s_mov_b32 s24, 0
	s_waitcnt lgkmcnt(0)
	s_sub_i32 s25, s5, s12
	s_mul_i32 s5, s4, s15
	s_mul_i32 s25, s25, s15
	s_inst_prefetch 0x1
	s_branch .LBB151_15
	.p2align	6
.LBB151_14:                             ;   in Loop: Header=BB151_15 Depth=3
	v_add_nc_u32_e32 v18, s25, v17
	v_ashrrev_i32_e32 v9, 31, v8
	v_add_nc_u32_e32 v17, 32, v17
	v_ashrrev_i32_e32 v19, 31, v18
	v_lshlrev_b64 v[8:9], 3, v[8:9]
	v_lshlrev_b64 v[18:19], 3, v[18:19]
	v_add_co_u32 v8, vcc_lo, s16, v8
	v_add_co_ci_u32_e64 v9, null, s17, v9, vcc_lo
	v_add_co_u32 v18, vcc_lo, s18, v18
	v_add_co_ci_u32_e64 v19, null, s19, v19, vcc_lo
	v_cmp_le_i32_e32 vcc_lo, s15, v17
	global_load_dwordx2 v[8:9], v[8:9], off
	global_load_dwordx2 v[18:19], v[18:19], off
	s_or_b32 s24, vcc_lo, s24
	s_waitcnt vmcnt(0)
	v_fma_f64 v[6:7], v[8:9], v[18:19], v[6:7]
	s_andn2_b32 exec_lo, exec_lo, s24
	s_cbranch_execz .LBB151_10
.LBB151_15:                             ;   Parent Loop BB151_8 Depth=1
                                        ;     Parent Loop BB151_12 Depth=2
                                        ; =>    This Inner Loop Header: Depth=3
	s_and_b32 vcc_lo, exec_lo, s13
	s_cbranch_vccz .LBB151_17
; %bb.16:                               ;   in Loop: Header=BB151_15 Depth=3
	v_add_nc_u32_e32 v8, s5, v17
	v_mad_u64_u32 v[8:9], null, v8, s14, v[5:6]
	s_cbranch_execnz .LBB151_14
	s_branch .LBB151_18
	.p2align	6
.LBB151_17:                             ;   in Loop: Header=BB151_15 Depth=3
                                        ; implicit-def: $vgpr8
.LBB151_18:                             ;   in Loop: Header=BB151_15 Depth=3
	v_add_nc_u32_e32 v8, v16, v17
	s_branch .LBB151_14
.LBB151_19:                             ;   in Loop: Header=BB151_8 Depth=1
	s_waitcnt lgkmcnt(1)
	ds_bpermute_b32 v8, v10, v6
	s_waitcnt lgkmcnt(1)
	ds_bpermute_b32 v9, v10, v7
	s_waitcnt lgkmcnt(0)
	v_add_f64 v[6:7], v[6:7], v[8:9]
	ds_bpermute_b32 v8, v11, v6
	ds_bpermute_b32 v9, v11, v7
	s_waitcnt lgkmcnt(0)
	v_add_f64 v[6:7], v[6:7], v[8:9]
	ds_bpermute_b32 v8, v12, v6
	;; [unrolled: 4-line block ×4, first 2 shown]
	ds_bpermute_b32 v9, v14, v7
	s_and_saveexec_b32 s4, s1
	s_cbranch_execz .LBB151_7
; %bb.20:                               ;   in Loop: Header=BB151_8 Depth=1
	s_waitcnt lgkmcnt(0)
	v_add_f64 v[6:7], v[6:7], v[8:9]
	v_add_nc_u32_e32 v8, s6, v5
	v_ashrrev_i32_e32 v9, 31, v8
	v_mul_f64 v[6:7], v[1:2], v[6:7]
	s_and_saveexec_b32 s5, s2
	s_xor_b32 s5, exec_lo, s5
	s_cbranch_execz .LBB151_22
; %bb.21:                               ;   in Loop: Header=BB151_8 Depth=1
	v_lshlrev_b64 v[8:9], 3, v[8:9]
	v_add_co_u32 v8, vcc_lo, s20, v8
	v_add_co_ci_u32_e64 v9, null, s21, v9, vcc_lo
	global_store_dwordx2 v[8:9], v[6:7], off
                                        ; implicit-def: $vgpr8
                                        ; implicit-def: $vgpr6_vgpr7
.LBB151_22:                             ;   in Loop: Header=BB151_8 Depth=1
	s_andn2_saveexec_b32 s5, s5
	s_cbranch_execz .LBB151_7
; %bb.23:                               ;   in Loop: Header=BB151_8 Depth=1
	v_lshlrev_b64 v[8:9], 3, v[8:9]
	v_add_co_u32 v8, vcc_lo, s20, v8
	v_add_co_ci_u32_e64 v9, null, s21, v9, vcc_lo
	global_load_dwordx2 v[16:17], v[8:9], off
	s_waitcnt vmcnt(0)
	v_fma_f64 v[6:7], v[3:4], v[16:17], v[6:7]
	global_store_dwordx2 v[8:9], v[6:7], off
	s_branch .LBB151_7
.LBB151_24:
	s_endpgm
	.section	.rodata,"a",@progbits
	.p2align	6, 0x0
	.amdhsa_kernel _ZN9rocsparseL23gebsrmvn_general_kernelILj32ELj32EdEEvi20rocsparse_direction_NS_24const_host_device_scalarIT1_EEPKiS6_PKS3_iiS8_S4_PS3_21rocsparse_index_base_b
		.amdhsa_group_segment_fixed_size 0
		.amdhsa_private_segment_fixed_size 0
		.amdhsa_kernarg_size 80
		.amdhsa_user_sgpr_count 6
		.amdhsa_user_sgpr_private_segment_buffer 1
		.amdhsa_user_sgpr_dispatch_ptr 0
		.amdhsa_user_sgpr_queue_ptr 0
		.amdhsa_user_sgpr_kernarg_segment_ptr 1
		.amdhsa_user_sgpr_dispatch_id 0
		.amdhsa_user_sgpr_flat_scratch_init 0
		.amdhsa_user_sgpr_private_segment_size 0
		.amdhsa_wavefront_size32 1
		.amdhsa_uses_dynamic_stack 0
		.amdhsa_system_sgpr_private_segment_wavefront_offset 0
		.amdhsa_system_sgpr_workgroup_id_x 1
		.amdhsa_system_sgpr_workgroup_id_y 0
		.amdhsa_system_sgpr_workgroup_id_z 0
		.amdhsa_system_sgpr_workgroup_info 0
		.amdhsa_system_vgpr_workitem_id 0
		.amdhsa_next_free_vgpr 20
		.amdhsa_next_free_sgpr 26
		.amdhsa_reserve_vcc 1
		.amdhsa_reserve_flat_scratch 0
		.amdhsa_float_round_mode_32 0
		.amdhsa_float_round_mode_16_64 0
		.amdhsa_float_denorm_mode_32 3
		.amdhsa_float_denorm_mode_16_64 3
		.amdhsa_dx10_clamp 1
		.amdhsa_ieee_mode 1
		.amdhsa_fp16_overflow 0
		.amdhsa_workgroup_processor_mode 1
		.amdhsa_memory_ordered 1
		.amdhsa_forward_progress 1
		.amdhsa_shared_vgpr_count 0
		.amdhsa_exception_fp_ieee_invalid_op 0
		.amdhsa_exception_fp_denorm_src 0
		.amdhsa_exception_fp_ieee_div_zero 0
		.amdhsa_exception_fp_ieee_overflow 0
		.amdhsa_exception_fp_ieee_underflow 0
		.amdhsa_exception_fp_ieee_inexact 0
		.amdhsa_exception_int_div_zero 0
	.end_amdhsa_kernel
	.section	.text._ZN9rocsparseL23gebsrmvn_general_kernelILj32ELj32EdEEvi20rocsparse_direction_NS_24const_host_device_scalarIT1_EEPKiS6_PKS3_iiS8_S4_PS3_21rocsparse_index_base_b,"axG",@progbits,_ZN9rocsparseL23gebsrmvn_general_kernelILj32ELj32EdEEvi20rocsparse_direction_NS_24const_host_device_scalarIT1_EEPKiS6_PKS3_iiS8_S4_PS3_21rocsparse_index_base_b,comdat
.Lfunc_end151:
	.size	_ZN9rocsparseL23gebsrmvn_general_kernelILj32ELj32EdEEvi20rocsparse_direction_NS_24const_host_device_scalarIT1_EEPKiS6_PKS3_iiS8_S4_PS3_21rocsparse_index_base_b, .Lfunc_end151-_ZN9rocsparseL23gebsrmvn_general_kernelILj32ELj32EdEEvi20rocsparse_direction_NS_24const_host_device_scalarIT1_EEPKiS6_PKS3_iiS8_S4_PS3_21rocsparse_index_base_b
                                        ; -- End function
	.set _ZN9rocsparseL23gebsrmvn_general_kernelILj32ELj32EdEEvi20rocsparse_direction_NS_24const_host_device_scalarIT1_EEPKiS6_PKS3_iiS8_S4_PS3_21rocsparse_index_base_b.num_vgpr, 20
	.set _ZN9rocsparseL23gebsrmvn_general_kernelILj32ELj32EdEEvi20rocsparse_direction_NS_24const_host_device_scalarIT1_EEPKiS6_PKS3_iiS8_S4_PS3_21rocsparse_index_base_b.num_agpr, 0
	.set _ZN9rocsparseL23gebsrmvn_general_kernelILj32ELj32EdEEvi20rocsparse_direction_NS_24const_host_device_scalarIT1_EEPKiS6_PKS3_iiS8_S4_PS3_21rocsparse_index_base_b.numbered_sgpr, 26
	.set _ZN9rocsparseL23gebsrmvn_general_kernelILj32ELj32EdEEvi20rocsparse_direction_NS_24const_host_device_scalarIT1_EEPKiS6_PKS3_iiS8_S4_PS3_21rocsparse_index_base_b.num_named_barrier, 0
	.set _ZN9rocsparseL23gebsrmvn_general_kernelILj32ELj32EdEEvi20rocsparse_direction_NS_24const_host_device_scalarIT1_EEPKiS6_PKS3_iiS8_S4_PS3_21rocsparse_index_base_b.private_seg_size, 0
	.set _ZN9rocsparseL23gebsrmvn_general_kernelILj32ELj32EdEEvi20rocsparse_direction_NS_24const_host_device_scalarIT1_EEPKiS6_PKS3_iiS8_S4_PS3_21rocsparse_index_base_b.uses_vcc, 1
	.set _ZN9rocsparseL23gebsrmvn_general_kernelILj32ELj32EdEEvi20rocsparse_direction_NS_24const_host_device_scalarIT1_EEPKiS6_PKS3_iiS8_S4_PS3_21rocsparse_index_base_b.uses_flat_scratch, 0
	.set _ZN9rocsparseL23gebsrmvn_general_kernelILj32ELj32EdEEvi20rocsparse_direction_NS_24const_host_device_scalarIT1_EEPKiS6_PKS3_iiS8_S4_PS3_21rocsparse_index_base_b.has_dyn_sized_stack, 0
	.set _ZN9rocsparseL23gebsrmvn_general_kernelILj32ELj32EdEEvi20rocsparse_direction_NS_24const_host_device_scalarIT1_EEPKiS6_PKS3_iiS8_S4_PS3_21rocsparse_index_base_b.has_recursion, 0
	.set _ZN9rocsparseL23gebsrmvn_general_kernelILj32ELj32EdEEvi20rocsparse_direction_NS_24const_host_device_scalarIT1_EEPKiS6_PKS3_iiS8_S4_PS3_21rocsparse_index_base_b.has_indirect_call, 0
	.section	.AMDGPU.csdata,"",@progbits
; Kernel info:
; codeLenInByte = 1060
; TotalNumSgprs: 28
; NumVgprs: 20
; ScratchSize: 0
; MemoryBound: 0
; FloatMode: 240
; IeeeMode: 1
; LDSByteSize: 0 bytes/workgroup (compile time only)
; SGPRBlocks: 0
; VGPRBlocks: 2
; NumSGPRsForWavesPerEU: 28
; NumVGPRsForWavesPerEU: 20
; Occupancy: 16
; WaveLimiterHint : 1
; COMPUTE_PGM_RSRC2:SCRATCH_EN: 0
; COMPUTE_PGM_RSRC2:USER_SGPR: 6
; COMPUTE_PGM_RSRC2:TRAP_HANDLER: 0
; COMPUTE_PGM_RSRC2:TGID_X_EN: 1
; COMPUTE_PGM_RSRC2:TGID_Y_EN: 0
; COMPUTE_PGM_RSRC2:TGID_Z_EN: 0
; COMPUTE_PGM_RSRC2:TIDIG_COMP_CNT: 0
	.section	.text._ZN9rocsparseL19gebsrmvn_1xn_kernelILj128ELj2ELj4E21rocsparse_complex_numIfEEEvi20rocsparse_direction_NS_24const_host_device_scalarIT2_EEPKiS8_PKS5_SA_S6_PS5_21rocsparse_index_base_b,"axG",@progbits,_ZN9rocsparseL19gebsrmvn_1xn_kernelILj128ELj2ELj4E21rocsparse_complex_numIfEEEvi20rocsparse_direction_NS_24const_host_device_scalarIT2_EEPKiS8_PKS5_SA_S6_PS5_21rocsparse_index_base_b,comdat
	.globl	_ZN9rocsparseL19gebsrmvn_1xn_kernelILj128ELj2ELj4E21rocsparse_complex_numIfEEEvi20rocsparse_direction_NS_24const_host_device_scalarIT2_EEPKiS8_PKS5_SA_S6_PS5_21rocsparse_index_base_b ; -- Begin function _ZN9rocsparseL19gebsrmvn_1xn_kernelILj128ELj2ELj4E21rocsparse_complex_numIfEEEvi20rocsparse_direction_NS_24const_host_device_scalarIT2_EEPKiS8_PKS5_SA_S6_PS5_21rocsparse_index_base_b
	.p2align	8
	.type	_ZN9rocsparseL19gebsrmvn_1xn_kernelILj128ELj2ELj4E21rocsparse_complex_numIfEEEvi20rocsparse_direction_NS_24const_host_device_scalarIT2_EEPKiS8_PKS5_SA_S6_PS5_21rocsparse_index_base_b,@function
_ZN9rocsparseL19gebsrmvn_1xn_kernelILj128ELj2ELj4E21rocsparse_complex_numIfEEEvi20rocsparse_direction_NS_24const_host_device_scalarIT2_EEPKiS8_PKS5_SA_S6_PS5_21rocsparse_index_base_b: ; @_ZN9rocsparseL19gebsrmvn_1xn_kernelILj128ELj2ELj4E21rocsparse_complex_numIfEEEvi20rocsparse_direction_NS_24const_host_device_scalarIT2_EEPKiS8_PKS5_SA_S6_PS5_21rocsparse_index_base_b
; %bb.0:
	s_clause 0x2
	s_load_dwordx2 s[8:9], s[4:5], 0x40
	s_load_dwordx2 s[0:1], s[4:5], 0x8
	;; [unrolled: 1-line block ×3, first 2 shown]
	s_add_u32 s7, s4, 8
	s_addc_u32 s10, s5, 0
	s_add_u32 s11, s4, 48
	s_addc_u32 s12, s5, 0
	s_waitcnt lgkmcnt(0)
	s_bitcmp1_b32 s9, 0
	s_cselect_b32 s0, s7, s0
	s_cselect_b32 s1, s10, s1
	v_mov_b32_e32 v1, s0
	v_mov_b32_e32 v2, s1
	s_cselect_b32 s0, s11, s2
	s_cselect_b32 s1, s12, s3
	flat_load_dwordx2 v[3:4], v[1:2]
	v_mov_b32_e32 v1, s0
	v_mov_b32_e32 v2, s1
	flat_load_dwordx2 v[1:2], v[1:2]
	s_waitcnt vmcnt(1) lgkmcnt(1)
	v_cmp_eq_f32_e32 vcc_lo, 0, v3
	v_cmp_eq_f32_e64 s0, 0, v4
	s_and_b32 s2, vcc_lo, s0
	s_mov_b32 s0, -1
	s_and_saveexec_b32 s1, s2
	s_cbranch_execz .LBB152_2
; %bb.1:
	s_waitcnt vmcnt(0) lgkmcnt(0)
	v_cmp_neq_f32_e32 vcc_lo, 1.0, v1
	v_cmp_neq_f32_e64 s0, 0, v2
	s_or_b32 s0, vcc_lo, s0
	s_orn2_b32 s0, s0, exec_lo
.LBB152_2:
	s_or_b32 exec_lo, exec_lo, s1
	s_and_saveexec_b32 s1, s0
	s_cbranch_execz .LBB152_13
; %bb.3:
	s_load_dword s0, s[4:5], 0x0
	v_lshrrev_b32_e32 v5, 2, v0
	v_lshl_or_b32 v5, s6, 5, v5
	s_waitcnt lgkmcnt(0)
	v_cmp_gt_i32_e32 vcc_lo, s0, v5
	s_and_b32 exec_lo, exec_lo, vcc_lo
	s_cbranch_execz .LBB152_13
; %bb.4:
	s_clause 0x1
	s_load_dwordx2 s[0:1], s[4:5], 0x10
	s_load_dwordx2 s[6:7], s[4:5], 0x38
	v_ashrrev_i32_e32 v6, 31, v5
	v_and_b32_e32 v0, 3, v0
	v_mov_b32_e32 v11, 0
	v_mov_b32_e32 v13, 0
	s_mov_b32 s9, exec_lo
	v_lshlrev_b64 v[7:8], 2, v[5:6]
	v_subrev_nc_u32_e32 v9, s8, v0
	s_waitcnt lgkmcnt(0)
	v_add_co_u32 v7, vcc_lo, s0, v7
	v_add_co_ci_u32_e64 v8, null, s1, v8, vcc_lo
	global_load_dwordx2 v[7:8], v[7:8], off
	s_waitcnt vmcnt(0)
	v_subrev_nc_u32_e32 v12, s8, v8
	v_add_nc_u32_e32 v7, v7, v9
	v_cmpx_lt_i32_e64 v7, v12
	s_cbranch_execz .LBB152_8
; %bb.5:
	s_clause 0x1
	s_load_dwordx4 s[0:3], s[4:5], 0x18
	s_load_dwordx2 s[4:5], s[4:5], 0x28
	v_mov_b32_e32 v10, 0
	v_lshlrev_b32_e32 v9, 1, v7
	s_mov_b32 s10, 0
	v_mov_b32_e32 v11, v10
	v_mov_b32_e32 v13, v10
	s_inst_prefetch 0x1
	.p2align	6
.LBB152_6:                              ; =>This Inner Loop Header: Depth=1
	v_ashrrev_i32_e32 v8, 31, v7
	v_mov_b32_e32 v17, v10
	v_lshlrev_b64 v[14:15], 2, v[7:8]
	v_add_nc_u32_e32 v7, 4, v7
	s_waitcnt lgkmcnt(0)
	v_add_co_u32 v14, vcc_lo, s0, v14
	v_add_co_ci_u32_e64 v15, null, s1, v15, vcc_lo
	global_load_dword v8, v[14:15], off
	v_lshlrev_b64 v[14:15], 3, v[9:10]
	v_add_nc_u32_e32 v9, 8, v9
	v_add_co_u32 v14, vcc_lo, s2, v14
	v_add_co_ci_u32_e64 v15, null, s3, v15, vcc_lo
	s_waitcnt vmcnt(0)
	v_subrev_nc_u32_e32 v8, s8, v8
	v_lshlrev_b32_e32 v16, 1, v8
	v_lshlrev_b64 v[16:17], 3, v[16:17]
	v_add_co_u32 v18, vcc_lo, s4, v16
	v_add_co_ci_u32_e64 v19, null, s5, v17, vcc_lo
	v_cmp_ge_i32_e32 vcc_lo, v7, v12
	global_load_dwordx4 v[14:17], v[14:15], off
	global_load_dwordx4 v[18:21], v[18:19], off
	s_or_b32 s10, vcc_lo, s10
	s_waitcnt vmcnt(0)
	v_fmac_f32_e32 v13, v14, v18
	v_fmac_f32_e32 v11, v15, v18
	v_fma_f32 v8, -v15, v19, v13
	v_fmac_f32_e32 v11, v14, v19
	v_fmac_f32_e32 v8, v16, v20
	;; [unrolled: 1-line block ×3, first 2 shown]
	v_fma_f32 v13, -v17, v21, v8
	v_fmac_f32_e32 v11, v16, v21
	s_andn2_b32 exec_lo, exec_lo, s10
	s_cbranch_execnz .LBB152_6
; %bb.7:
	s_inst_prefetch 0x2
	s_or_b32 exec_lo, exec_lo, s10
.LBB152_8:
	s_or_b32 exec_lo, exec_lo, s9
	v_mbcnt_lo_u32_b32 v7, -1, 0
	v_xor_b32_e32 v8, 2, v7
	v_xor_b32_e32 v10, 1, v7
	v_cmp_gt_i32_e32 vcc_lo, 32, v8
	v_cndmask_b32_e32 v8, v7, v8, vcc_lo
	v_cmp_gt_i32_e32 vcc_lo, 32, v10
	v_lshlrev_b32_e32 v8, 2, v8
	v_cndmask_b32_e32 v7, v7, v10, vcc_lo
	v_cmp_eq_u32_e32 vcc_lo, 3, v0
	ds_bpermute_b32 v9, v8, v13
	ds_bpermute_b32 v8, v8, v11
	v_lshlrev_b32_e32 v10, 2, v7
	s_waitcnt lgkmcnt(1)
	v_add_f32_e32 v7, v13, v9
	s_waitcnt lgkmcnt(0)
	v_add_f32_e32 v9, v11, v8
	ds_bpermute_b32 v8, v10, v7
	ds_bpermute_b32 v10, v10, v9
	s_and_b32 exec_lo, exec_lo, vcc_lo
	s_cbranch_execz .LBB152_13
; %bb.9:
	s_waitcnt lgkmcnt(0)
	v_add_f32_e32 v0, v9, v10
	v_add_f32_e32 v9, v7, v8
	v_cmp_eq_f32_e32 vcc_lo, 0, v1
	v_cmp_eq_f32_e64 s0, 0, v2
	v_lshlrev_b64 v[5:6], 3, v[5:6]
	v_mul_f32_e64 v7, v0, -v4
	v_mul_f32_e32 v8, v3, v0
	s_and_b32 s0, vcc_lo, s0
	v_fmac_f32_e32 v7, v3, v9
	v_fmac_f32_e32 v8, v4, v9
	s_and_saveexec_b32 s1, s0
	s_xor_b32 s0, exec_lo, s1
	s_cbranch_execz .LBB152_11
; %bb.10:
	v_add_co_u32 v0, vcc_lo, s6, v5
	v_add_co_ci_u32_e64 v1, null, s7, v6, vcc_lo
                                        ; implicit-def: $vgpr5_vgpr6
	global_store_dwordx2 v[0:1], v[7:8], off
                                        ; implicit-def: $vgpr1_vgpr2
                                        ; implicit-def: $vgpr7
.LBB152_11:
	s_andn2_saveexec_b32 s0, s0
	s_cbranch_execz .LBB152_13
; %bb.12:
	v_add_co_u32 v3, vcc_lo, s6, v5
	v_add_co_ci_u32_e64 v4, null, s7, v6, vcc_lo
	global_load_dwordx2 v[5:6], v[3:4], off
	s_waitcnt vmcnt(0)
	v_fmac_f32_e32 v7, v1, v5
	v_fmac_f32_e32 v8, v2, v5
	v_fma_f32 v7, -v2, v6, v7
	v_fmac_f32_e32 v8, v1, v6
	global_store_dwordx2 v[3:4], v[7:8], off
.LBB152_13:
	s_endpgm
	.section	.rodata,"a",@progbits
	.p2align	6, 0x0
	.amdhsa_kernel _ZN9rocsparseL19gebsrmvn_1xn_kernelILj128ELj2ELj4E21rocsparse_complex_numIfEEEvi20rocsparse_direction_NS_24const_host_device_scalarIT2_EEPKiS8_PKS5_SA_S6_PS5_21rocsparse_index_base_b
		.amdhsa_group_segment_fixed_size 0
		.amdhsa_private_segment_fixed_size 0
		.amdhsa_kernarg_size 72
		.amdhsa_user_sgpr_count 6
		.amdhsa_user_sgpr_private_segment_buffer 1
		.amdhsa_user_sgpr_dispatch_ptr 0
		.amdhsa_user_sgpr_queue_ptr 0
		.amdhsa_user_sgpr_kernarg_segment_ptr 1
		.amdhsa_user_sgpr_dispatch_id 0
		.amdhsa_user_sgpr_flat_scratch_init 0
		.amdhsa_user_sgpr_private_segment_size 0
		.amdhsa_wavefront_size32 1
		.amdhsa_uses_dynamic_stack 0
		.amdhsa_system_sgpr_private_segment_wavefront_offset 0
		.amdhsa_system_sgpr_workgroup_id_x 1
		.amdhsa_system_sgpr_workgroup_id_y 0
		.amdhsa_system_sgpr_workgroup_id_z 0
		.amdhsa_system_sgpr_workgroup_info 0
		.amdhsa_system_vgpr_workitem_id 0
		.amdhsa_next_free_vgpr 22
		.amdhsa_next_free_sgpr 13
		.amdhsa_reserve_vcc 1
		.amdhsa_reserve_flat_scratch 0
		.amdhsa_float_round_mode_32 0
		.amdhsa_float_round_mode_16_64 0
		.amdhsa_float_denorm_mode_32 3
		.amdhsa_float_denorm_mode_16_64 3
		.amdhsa_dx10_clamp 1
		.amdhsa_ieee_mode 1
		.amdhsa_fp16_overflow 0
		.amdhsa_workgroup_processor_mode 1
		.amdhsa_memory_ordered 1
		.amdhsa_forward_progress 1
		.amdhsa_shared_vgpr_count 0
		.amdhsa_exception_fp_ieee_invalid_op 0
		.amdhsa_exception_fp_denorm_src 0
		.amdhsa_exception_fp_ieee_div_zero 0
		.amdhsa_exception_fp_ieee_overflow 0
		.amdhsa_exception_fp_ieee_underflow 0
		.amdhsa_exception_fp_ieee_inexact 0
		.amdhsa_exception_int_div_zero 0
	.end_amdhsa_kernel
	.section	.text._ZN9rocsparseL19gebsrmvn_1xn_kernelILj128ELj2ELj4E21rocsparse_complex_numIfEEEvi20rocsparse_direction_NS_24const_host_device_scalarIT2_EEPKiS8_PKS5_SA_S6_PS5_21rocsparse_index_base_b,"axG",@progbits,_ZN9rocsparseL19gebsrmvn_1xn_kernelILj128ELj2ELj4E21rocsparse_complex_numIfEEEvi20rocsparse_direction_NS_24const_host_device_scalarIT2_EEPKiS8_PKS5_SA_S6_PS5_21rocsparse_index_base_b,comdat
.Lfunc_end152:
	.size	_ZN9rocsparseL19gebsrmvn_1xn_kernelILj128ELj2ELj4E21rocsparse_complex_numIfEEEvi20rocsparse_direction_NS_24const_host_device_scalarIT2_EEPKiS8_PKS5_SA_S6_PS5_21rocsparse_index_base_b, .Lfunc_end152-_ZN9rocsparseL19gebsrmvn_1xn_kernelILj128ELj2ELj4E21rocsparse_complex_numIfEEEvi20rocsparse_direction_NS_24const_host_device_scalarIT2_EEPKiS8_PKS5_SA_S6_PS5_21rocsparse_index_base_b
                                        ; -- End function
	.set _ZN9rocsparseL19gebsrmvn_1xn_kernelILj128ELj2ELj4E21rocsparse_complex_numIfEEEvi20rocsparse_direction_NS_24const_host_device_scalarIT2_EEPKiS8_PKS5_SA_S6_PS5_21rocsparse_index_base_b.num_vgpr, 22
	.set _ZN9rocsparseL19gebsrmvn_1xn_kernelILj128ELj2ELj4E21rocsparse_complex_numIfEEEvi20rocsparse_direction_NS_24const_host_device_scalarIT2_EEPKiS8_PKS5_SA_S6_PS5_21rocsparse_index_base_b.num_agpr, 0
	.set _ZN9rocsparseL19gebsrmvn_1xn_kernelILj128ELj2ELj4E21rocsparse_complex_numIfEEEvi20rocsparse_direction_NS_24const_host_device_scalarIT2_EEPKiS8_PKS5_SA_S6_PS5_21rocsparse_index_base_b.numbered_sgpr, 13
	.set _ZN9rocsparseL19gebsrmvn_1xn_kernelILj128ELj2ELj4E21rocsparse_complex_numIfEEEvi20rocsparse_direction_NS_24const_host_device_scalarIT2_EEPKiS8_PKS5_SA_S6_PS5_21rocsparse_index_base_b.num_named_barrier, 0
	.set _ZN9rocsparseL19gebsrmvn_1xn_kernelILj128ELj2ELj4E21rocsparse_complex_numIfEEEvi20rocsparse_direction_NS_24const_host_device_scalarIT2_EEPKiS8_PKS5_SA_S6_PS5_21rocsparse_index_base_b.private_seg_size, 0
	.set _ZN9rocsparseL19gebsrmvn_1xn_kernelILj128ELj2ELj4E21rocsparse_complex_numIfEEEvi20rocsparse_direction_NS_24const_host_device_scalarIT2_EEPKiS8_PKS5_SA_S6_PS5_21rocsparse_index_base_b.uses_vcc, 1
	.set _ZN9rocsparseL19gebsrmvn_1xn_kernelILj128ELj2ELj4E21rocsparse_complex_numIfEEEvi20rocsparse_direction_NS_24const_host_device_scalarIT2_EEPKiS8_PKS5_SA_S6_PS5_21rocsparse_index_base_b.uses_flat_scratch, 0
	.set _ZN9rocsparseL19gebsrmvn_1xn_kernelILj128ELj2ELj4E21rocsparse_complex_numIfEEEvi20rocsparse_direction_NS_24const_host_device_scalarIT2_EEPKiS8_PKS5_SA_S6_PS5_21rocsparse_index_base_b.has_dyn_sized_stack, 0
	.set _ZN9rocsparseL19gebsrmvn_1xn_kernelILj128ELj2ELj4E21rocsparse_complex_numIfEEEvi20rocsparse_direction_NS_24const_host_device_scalarIT2_EEPKiS8_PKS5_SA_S6_PS5_21rocsparse_index_base_b.has_recursion, 0
	.set _ZN9rocsparseL19gebsrmvn_1xn_kernelILj128ELj2ELj4E21rocsparse_complex_numIfEEEvi20rocsparse_direction_NS_24const_host_device_scalarIT2_EEPKiS8_PKS5_SA_S6_PS5_21rocsparse_index_base_b.has_indirect_call, 0
	.section	.AMDGPU.csdata,"",@progbits
; Kernel info:
; codeLenInByte = 844
; TotalNumSgprs: 15
; NumVgprs: 22
; ScratchSize: 0
; MemoryBound: 0
; FloatMode: 240
; IeeeMode: 1
; LDSByteSize: 0 bytes/workgroup (compile time only)
; SGPRBlocks: 0
; VGPRBlocks: 2
; NumSGPRsForWavesPerEU: 15
; NumVGPRsForWavesPerEU: 22
; Occupancy: 16
; WaveLimiterHint : 1
; COMPUTE_PGM_RSRC2:SCRATCH_EN: 0
; COMPUTE_PGM_RSRC2:USER_SGPR: 6
; COMPUTE_PGM_RSRC2:TRAP_HANDLER: 0
; COMPUTE_PGM_RSRC2:TGID_X_EN: 1
; COMPUTE_PGM_RSRC2:TGID_Y_EN: 0
; COMPUTE_PGM_RSRC2:TGID_Z_EN: 0
; COMPUTE_PGM_RSRC2:TIDIG_COMP_CNT: 0
	.section	.text._ZN9rocsparseL19gebsrmvn_1xn_kernelILj128ELj2ELj8E21rocsparse_complex_numIfEEEvi20rocsparse_direction_NS_24const_host_device_scalarIT2_EEPKiS8_PKS5_SA_S6_PS5_21rocsparse_index_base_b,"axG",@progbits,_ZN9rocsparseL19gebsrmvn_1xn_kernelILj128ELj2ELj8E21rocsparse_complex_numIfEEEvi20rocsparse_direction_NS_24const_host_device_scalarIT2_EEPKiS8_PKS5_SA_S6_PS5_21rocsparse_index_base_b,comdat
	.globl	_ZN9rocsparseL19gebsrmvn_1xn_kernelILj128ELj2ELj8E21rocsparse_complex_numIfEEEvi20rocsparse_direction_NS_24const_host_device_scalarIT2_EEPKiS8_PKS5_SA_S6_PS5_21rocsparse_index_base_b ; -- Begin function _ZN9rocsparseL19gebsrmvn_1xn_kernelILj128ELj2ELj8E21rocsparse_complex_numIfEEEvi20rocsparse_direction_NS_24const_host_device_scalarIT2_EEPKiS8_PKS5_SA_S6_PS5_21rocsparse_index_base_b
	.p2align	8
	.type	_ZN9rocsparseL19gebsrmvn_1xn_kernelILj128ELj2ELj8E21rocsparse_complex_numIfEEEvi20rocsparse_direction_NS_24const_host_device_scalarIT2_EEPKiS8_PKS5_SA_S6_PS5_21rocsparse_index_base_b,@function
_ZN9rocsparseL19gebsrmvn_1xn_kernelILj128ELj2ELj8E21rocsparse_complex_numIfEEEvi20rocsparse_direction_NS_24const_host_device_scalarIT2_EEPKiS8_PKS5_SA_S6_PS5_21rocsparse_index_base_b: ; @_ZN9rocsparseL19gebsrmvn_1xn_kernelILj128ELj2ELj8E21rocsparse_complex_numIfEEEvi20rocsparse_direction_NS_24const_host_device_scalarIT2_EEPKiS8_PKS5_SA_S6_PS5_21rocsparse_index_base_b
; %bb.0:
	s_clause 0x2
	s_load_dwordx2 s[8:9], s[4:5], 0x40
	s_load_dwordx2 s[0:1], s[4:5], 0x8
	;; [unrolled: 1-line block ×3, first 2 shown]
	s_add_u32 s7, s4, 8
	s_addc_u32 s10, s5, 0
	s_add_u32 s11, s4, 48
	s_addc_u32 s12, s5, 0
	s_waitcnt lgkmcnt(0)
	s_bitcmp1_b32 s9, 0
	s_cselect_b32 s0, s7, s0
	s_cselect_b32 s1, s10, s1
	v_mov_b32_e32 v1, s0
	v_mov_b32_e32 v2, s1
	s_cselect_b32 s0, s11, s2
	s_cselect_b32 s1, s12, s3
	flat_load_dwordx2 v[3:4], v[1:2]
	v_mov_b32_e32 v1, s0
	v_mov_b32_e32 v2, s1
	flat_load_dwordx2 v[1:2], v[1:2]
	s_waitcnt vmcnt(1) lgkmcnt(1)
	v_cmp_eq_f32_e32 vcc_lo, 0, v3
	v_cmp_eq_f32_e64 s0, 0, v4
	s_and_b32 s2, vcc_lo, s0
	s_mov_b32 s0, -1
	s_and_saveexec_b32 s1, s2
	s_cbranch_execz .LBB153_2
; %bb.1:
	s_waitcnt vmcnt(0) lgkmcnt(0)
	v_cmp_neq_f32_e32 vcc_lo, 1.0, v1
	v_cmp_neq_f32_e64 s0, 0, v2
	s_or_b32 s0, vcc_lo, s0
	s_orn2_b32 s0, s0, exec_lo
.LBB153_2:
	s_or_b32 exec_lo, exec_lo, s1
	s_and_saveexec_b32 s1, s0
	s_cbranch_execz .LBB153_13
; %bb.3:
	s_load_dword s0, s[4:5], 0x0
	v_lshrrev_b32_e32 v5, 3, v0
	v_lshl_or_b32 v5, s6, 4, v5
	s_waitcnt lgkmcnt(0)
	v_cmp_gt_i32_e32 vcc_lo, s0, v5
	s_and_b32 exec_lo, exec_lo, vcc_lo
	s_cbranch_execz .LBB153_13
; %bb.4:
	s_clause 0x1
	s_load_dwordx2 s[0:1], s[4:5], 0x10
	s_load_dwordx2 s[6:7], s[4:5], 0x38
	v_ashrrev_i32_e32 v6, 31, v5
	v_and_b32_e32 v0, 7, v0
	v_mov_b32_e32 v11, 0
	v_mov_b32_e32 v13, 0
	s_mov_b32 s9, exec_lo
	v_lshlrev_b64 v[7:8], 2, v[5:6]
	v_subrev_nc_u32_e32 v9, s8, v0
	s_waitcnt lgkmcnt(0)
	v_add_co_u32 v7, vcc_lo, s0, v7
	v_add_co_ci_u32_e64 v8, null, s1, v8, vcc_lo
	global_load_dwordx2 v[7:8], v[7:8], off
	s_waitcnt vmcnt(0)
	v_subrev_nc_u32_e32 v12, s8, v8
	v_add_nc_u32_e32 v7, v7, v9
	v_cmpx_lt_i32_e64 v7, v12
	s_cbranch_execz .LBB153_8
; %bb.5:
	s_clause 0x1
	s_load_dwordx4 s[0:3], s[4:5], 0x18
	s_load_dwordx2 s[4:5], s[4:5], 0x28
	v_mov_b32_e32 v10, 0
	v_lshlrev_b32_e32 v9, 1, v7
	s_mov_b32 s10, 0
	v_mov_b32_e32 v11, v10
	v_mov_b32_e32 v13, v10
	s_inst_prefetch 0x1
	.p2align	6
.LBB153_6:                              ; =>This Inner Loop Header: Depth=1
	v_ashrrev_i32_e32 v8, 31, v7
	v_mov_b32_e32 v17, v10
	v_lshlrev_b64 v[14:15], 2, v[7:8]
	v_add_nc_u32_e32 v7, 8, v7
	s_waitcnt lgkmcnt(0)
	v_add_co_u32 v14, vcc_lo, s0, v14
	v_add_co_ci_u32_e64 v15, null, s1, v15, vcc_lo
	global_load_dword v8, v[14:15], off
	v_lshlrev_b64 v[14:15], 3, v[9:10]
	v_add_nc_u32_e32 v9, 16, v9
	v_add_co_u32 v14, vcc_lo, s2, v14
	v_add_co_ci_u32_e64 v15, null, s3, v15, vcc_lo
	s_waitcnt vmcnt(0)
	v_subrev_nc_u32_e32 v8, s8, v8
	v_lshlrev_b32_e32 v16, 1, v8
	v_lshlrev_b64 v[16:17], 3, v[16:17]
	v_add_co_u32 v18, vcc_lo, s4, v16
	v_add_co_ci_u32_e64 v19, null, s5, v17, vcc_lo
	v_cmp_ge_i32_e32 vcc_lo, v7, v12
	global_load_dwordx4 v[14:17], v[14:15], off
	global_load_dwordx4 v[18:21], v[18:19], off
	s_or_b32 s10, vcc_lo, s10
	s_waitcnt vmcnt(0)
	v_fmac_f32_e32 v13, v14, v18
	v_fmac_f32_e32 v11, v15, v18
	v_fma_f32 v8, -v15, v19, v13
	v_fmac_f32_e32 v11, v14, v19
	v_fmac_f32_e32 v8, v16, v20
	;; [unrolled: 1-line block ×3, first 2 shown]
	v_fma_f32 v13, -v17, v21, v8
	v_fmac_f32_e32 v11, v16, v21
	s_andn2_b32 exec_lo, exec_lo, s10
	s_cbranch_execnz .LBB153_6
; %bb.7:
	s_inst_prefetch 0x2
	s_or_b32 exec_lo, exec_lo, s10
.LBB153_8:
	s_or_b32 exec_lo, exec_lo, s9
	v_mbcnt_lo_u32_b32 v7, -1, 0
	v_xor_b32_e32 v8, 4, v7
	v_xor_b32_e32 v10, 2, v7
	;; [unrolled: 1-line block ×3, first 2 shown]
	v_cmp_gt_i32_e32 vcc_lo, 32, v8
	v_cndmask_b32_e32 v8, v7, v8, vcc_lo
	v_cmp_gt_i32_e32 vcc_lo, 32, v10
	v_lshlrev_b32_e32 v8, 2, v8
	v_cndmask_b32_e32 v10, v7, v10, vcc_lo
	v_cmp_gt_i32_e32 vcc_lo, 32, v12
	ds_bpermute_b32 v9, v8, v13
	ds_bpermute_b32 v8, v8, v11
	v_lshlrev_b32_e32 v10, 2, v10
	v_cndmask_b32_e32 v7, v7, v12, vcc_lo
	v_cmp_eq_u32_e32 vcc_lo, 7, v0
	v_lshlrev_b32_e32 v12, 2, v7
	s_waitcnt lgkmcnt(1)
	v_add_f32_e32 v9, v13, v9
	s_waitcnt lgkmcnt(0)
	v_add_f32_e32 v8, v11, v8
	ds_bpermute_b32 v11, v10, v9
	ds_bpermute_b32 v10, v10, v8
	s_waitcnt lgkmcnt(1)
	v_add_f32_e32 v7, v9, v11
	s_waitcnt lgkmcnt(0)
	v_add_f32_e32 v9, v8, v10
	ds_bpermute_b32 v8, v12, v7
	ds_bpermute_b32 v10, v12, v9
	s_and_b32 exec_lo, exec_lo, vcc_lo
	s_cbranch_execz .LBB153_13
; %bb.9:
	s_waitcnt lgkmcnt(0)
	v_add_f32_e32 v0, v9, v10
	v_add_f32_e32 v9, v7, v8
	v_cmp_eq_f32_e32 vcc_lo, 0, v1
	v_cmp_eq_f32_e64 s0, 0, v2
	v_lshlrev_b64 v[5:6], 3, v[5:6]
	v_mul_f32_e64 v7, v0, -v4
	v_mul_f32_e32 v8, v3, v0
	s_and_b32 s0, vcc_lo, s0
	v_fmac_f32_e32 v7, v3, v9
	v_fmac_f32_e32 v8, v4, v9
	s_and_saveexec_b32 s1, s0
	s_xor_b32 s0, exec_lo, s1
	s_cbranch_execz .LBB153_11
; %bb.10:
	v_add_co_u32 v0, vcc_lo, s6, v5
	v_add_co_ci_u32_e64 v1, null, s7, v6, vcc_lo
                                        ; implicit-def: $vgpr5_vgpr6
	global_store_dwordx2 v[0:1], v[7:8], off
                                        ; implicit-def: $vgpr1_vgpr2
                                        ; implicit-def: $vgpr7
.LBB153_11:
	s_andn2_saveexec_b32 s0, s0
	s_cbranch_execz .LBB153_13
; %bb.12:
	v_add_co_u32 v3, vcc_lo, s6, v5
	v_add_co_ci_u32_e64 v4, null, s7, v6, vcc_lo
	global_load_dwordx2 v[5:6], v[3:4], off
	s_waitcnt vmcnt(0)
	v_fmac_f32_e32 v7, v1, v5
	v_fmac_f32_e32 v8, v2, v5
	v_fma_f32 v7, -v2, v6, v7
	v_fmac_f32_e32 v8, v1, v6
	global_store_dwordx2 v[3:4], v[7:8], off
.LBB153_13:
	s_endpgm
	.section	.rodata,"a",@progbits
	.p2align	6, 0x0
	.amdhsa_kernel _ZN9rocsparseL19gebsrmvn_1xn_kernelILj128ELj2ELj8E21rocsparse_complex_numIfEEEvi20rocsparse_direction_NS_24const_host_device_scalarIT2_EEPKiS8_PKS5_SA_S6_PS5_21rocsparse_index_base_b
		.amdhsa_group_segment_fixed_size 0
		.amdhsa_private_segment_fixed_size 0
		.amdhsa_kernarg_size 72
		.amdhsa_user_sgpr_count 6
		.amdhsa_user_sgpr_private_segment_buffer 1
		.amdhsa_user_sgpr_dispatch_ptr 0
		.amdhsa_user_sgpr_queue_ptr 0
		.amdhsa_user_sgpr_kernarg_segment_ptr 1
		.amdhsa_user_sgpr_dispatch_id 0
		.amdhsa_user_sgpr_flat_scratch_init 0
		.amdhsa_user_sgpr_private_segment_size 0
		.amdhsa_wavefront_size32 1
		.amdhsa_uses_dynamic_stack 0
		.amdhsa_system_sgpr_private_segment_wavefront_offset 0
		.amdhsa_system_sgpr_workgroup_id_x 1
		.amdhsa_system_sgpr_workgroup_id_y 0
		.amdhsa_system_sgpr_workgroup_id_z 0
		.amdhsa_system_sgpr_workgroup_info 0
		.amdhsa_system_vgpr_workitem_id 0
		.amdhsa_next_free_vgpr 22
		.amdhsa_next_free_sgpr 13
		.amdhsa_reserve_vcc 1
		.amdhsa_reserve_flat_scratch 0
		.amdhsa_float_round_mode_32 0
		.amdhsa_float_round_mode_16_64 0
		.amdhsa_float_denorm_mode_32 3
		.amdhsa_float_denorm_mode_16_64 3
		.amdhsa_dx10_clamp 1
		.amdhsa_ieee_mode 1
		.amdhsa_fp16_overflow 0
		.amdhsa_workgroup_processor_mode 1
		.amdhsa_memory_ordered 1
		.amdhsa_forward_progress 1
		.amdhsa_shared_vgpr_count 0
		.amdhsa_exception_fp_ieee_invalid_op 0
		.amdhsa_exception_fp_denorm_src 0
		.amdhsa_exception_fp_ieee_div_zero 0
		.amdhsa_exception_fp_ieee_overflow 0
		.amdhsa_exception_fp_ieee_underflow 0
		.amdhsa_exception_fp_ieee_inexact 0
		.amdhsa_exception_int_div_zero 0
	.end_amdhsa_kernel
	.section	.text._ZN9rocsparseL19gebsrmvn_1xn_kernelILj128ELj2ELj8E21rocsparse_complex_numIfEEEvi20rocsparse_direction_NS_24const_host_device_scalarIT2_EEPKiS8_PKS5_SA_S6_PS5_21rocsparse_index_base_b,"axG",@progbits,_ZN9rocsparseL19gebsrmvn_1xn_kernelILj128ELj2ELj8E21rocsparse_complex_numIfEEEvi20rocsparse_direction_NS_24const_host_device_scalarIT2_EEPKiS8_PKS5_SA_S6_PS5_21rocsparse_index_base_b,comdat
.Lfunc_end153:
	.size	_ZN9rocsparseL19gebsrmvn_1xn_kernelILj128ELj2ELj8E21rocsparse_complex_numIfEEEvi20rocsparse_direction_NS_24const_host_device_scalarIT2_EEPKiS8_PKS5_SA_S6_PS5_21rocsparse_index_base_b, .Lfunc_end153-_ZN9rocsparseL19gebsrmvn_1xn_kernelILj128ELj2ELj8E21rocsparse_complex_numIfEEEvi20rocsparse_direction_NS_24const_host_device_scalarIT2_EEPKiS8_PKS5_SA_S6_PS5_21rocsparse_index_base_b
                                        ; -- End function
	.set _ZN9rocsparseL19gebsrmvn_1xn_kernelILj128ELj2ELj8E21rocsparse_complex_numIfEEEvi20rocsparse_direction_NS_24const_host_device_scalarIT2_EEPKiS8_PKS5_SA_S6_PS5_21rocsparse_index_base_b.num_vgpr, 22
	.set _ZN9rocsparseL19gebsrmvn_1xn_kernelILj128ELj2ELj8E21rocsparse_complex_numIfEEEvi20rocsparse_direction_NS_24const_host_device_scalarIT2_EEPKiS8_PKS5_SA_S6_PS5_21rocsparse_index_base_b.num_agpr, 0
	.set _ZN9rocsparseL19gebsrmvn_1xn_kernelILj128ELj2ELj8E21rocsparse_complex_numIfEEEvi20rocsparse_direction_NS_24const_host_device_scalarIT2_EEPKiS8_PKS5_SA_S6_PS5_21rocsparse_index_base_b.numbered_sgpr, 13
	.set _ZN9rocsparseL19gebsrmvn_1xn_kernelILj128ELj2ELj8E21rocsparse_complex_numIfEEEvi20rocsparse_direction_NS_24const_host_device_scalarIT2_EEPKiS8_PKS5_SA_S6_PS5_21rocsparse_index_base_b.num_named_barrier, 0
	.set _ZN9rocsparseL19gebsrmvn_1xn_kernelILj128ELj2ELj8E21rocsparse_complex_numIfEEEvi20rocsparse_direction_NS_24const_host_device_scalarIT2_EEPKiS8_PKS5_SA_S6_PS5_21rocsparse_index_base_b.private_seg_size, 0
	.set _ZN9rocsparseL19gebsrmvn_1xn_kernelILj128ELj2ELj8E21rocsparse_complex_numIfEEEvi20rocsparse_direction_NS_24const_host_device_scalarIT2_EEPKiS8_PKS5_SA_S6_PS5_21rocsparse_index_base_b.uses_vcc, 1
	.set _ZN9rocsparseL19gebsrmvn_1xn_kernelILj128ELj2ELj8E21rocsparse_complex_numIfEEEvi20rocsparse_direction_NS_24const_host_device_scalarIT2_EEPKiS8_PKS5_SA_S6_PS5_21rocsparse_index_base_b.uses_flat_scratch, 0
	.set _ZN9rocsparseL19gebsrmvn_1xn_kernelILj128ELj2ELj8E21rocsparse_complex_numIfEEEvi20rocsparse_direction_NS_24const_host_device_scalarIT2_EEPKiS8_PKS5_SA_S6_PS5_21rocsparse_index_base_b.has_dyn_sized_stack, 0
	.set _ZN9rocsparseL19gebsrmvn_1xn_kernelILj128ELj2ELj8E21rocsparse_complex_numIfEEEvi20rocsparse_direction_NS_24const_host_device_scalarIT2_EEPKiS8_PKS5_SA_S6_PS5_21rocsparse_index_base_b.has_recursion, 0
	.set _ZN9rocsparseL19gebsrmvn_1xn_kernelILj128ELj2ELj8E21rocsparse_complex_numIfEEEvi20rocsparse_direction_NS_24const_host_device_scalarIT2_EEPKiS8_PKS5_SA_S6_PS5_21rocsparse_index_base_b.has_indirect_call, 0
	.section	.AMDGPU.csdata,"",@progbits
; Kernel info:
; codeLenInByte = 892
; TotalNumSgprs: 15
; NumVgprs: 22
; ScratchSize: 0
; MemoryBound: 0
; FloatMode: 240
; IeeeMode: 1
; LDSByteSize: 0 bytes/workgroup (compile time only)
; SGPRBlocks: 0
; VGPRBlocks: 2
; NumSGPRsForWavesPerEU: 15
; NumVGPRsForWavesPerEU: 22
; Occupancy: 16
; WaveLimiterHint : 1
; COMPUTE_PGM_RSRC2:SCRATCH_EN: 0
; COMPUTE_PGM_RSRC2:USER_SGPR: 6
; COMPUTE_PGM_RSRC2:TRAP_HANDLER: 0
; COMPUTE_PGM_RSRC2:TGID_X_EN: 1
; COMPUTE_PGM_RSRC2:TGID_Y_EN: 0
; COMPUTE_PGM_RSRC2:TGID_Z_EN: 0
; COMPUTE_PGM_RSRC2:TIDIG_COMP_CNT: 0
	.section	.text._ZN9rocsparseL19gebsrmvn_1xn_kernelILj128ELj2ELj16E21rocsparse_complex_numIfEEEvi20rocsparse_direction_NS_24const_host_device_scalarIT2_EEPKiS8_PKS5_SA_S6_PS5_21rocsparse_index_base_b,"axG",@progbits,_ZN9rocsparseL19gebsrmvn_1xn_kernelILj128ELj2ELj16E21rocsparse_complex_numIfEEEvi20rocsparse_direction_NS_24const_host_device_scalarIT2_EEPKiS8_PKS5_SA_S6_PS5_21rocsparse_index_base_b,comdat
	.globl	_ZN9rocsparseL19gebsrmvn_1xn_kernelILj128ELj2ELj16E21rocsparse_complex_numIfEEEvi20rocsparse_direction_NS_24const_host_device_scalarIT2_EEPKiS8_PKS5_SA_S6_PS5_21rocsparse_index_base_b ; -- Begin function _ZN9rocsparseL19gebsrmvn_1xn_kernelILj128ELj2ELj16E21rocsparse_complex_numIfEEEvi20rocsparse_direction_NS_24const_host_device_scalarIT2_EEPKiS8_PKS5_SA_S6_PS5_21rocsparse_index_base_b
	.p2align	8
	.type	_ZN9rocsparseL19gebsrmvn_1xn_kernelILj128ELj2ELj16E21rocsparse_complex_numIfEEEvi20rocsparse_direction_NS_24const_host_device_scalarIT2_EEPKiS8_PKS5_SA_S6_PS5_21rocsparse_index_base_b,@function
_ZN9rocsparseL19gebsrmvn_1xn_kernelILj128ELj2ELj16E21rocsparse_complex_numIfEEEvi20rocsparse_direction_NS_24const_host_device_scalarIT2_EEPKiS8_PKS5_SA_S6_PS5_21rocsparse_index_base_b: ; @_ZN9rocsparseL19gebsrmvn_1xn_kernelILj128ELj2ELj16E21rocsparse_complex_numIfEEEvi20rocsparse_direction_NS_24const_host_device_scalarIT2_EEPKiS8_PKS5_SA_S6_PS5_21rocsparse_index_base_b
; %bb.0:
	s_clause 0x2
	s_load_dwordx2 s[8:9], s[4:5], 0x40
	s_load_dwordx2 s[0:1], s[4:5], 0x8
	;; [unrolled: 1-line block ×3, first 2 shown]
	s_add_u32 s7, s4, 8
	s_addc_u32 s10, s5, 0
	s_add_u32 s11, s4, 48
	s_addc_u32 s12, s5, 0
	s_waitcnt lgkmcnt(0)
	s_bitcmp1_b32 s9, 0
	s_cselect_b32 s0, s7, s0
	s_cselect_b32 s1, s10, s1
	v_mov_b32_e32 v1, s0
	v_mov_b32_e32 v2, s1
	s_cselect_b32 s0, s11, s2
	s_cselect_b32 s1, s12, s3
	flat_load_dwordx2 v[3:4], v[1:2]
	v_mov_b32_e32 v1, s0
	v_mov_b32_e32 v2, s1
	flat_load_dwordx2 v[1:2], v[1:2]
	s_waitcnt vmcnt(1) lgkmcnt(1)
	v_cmp_eq_f32_e32 vcc_lo, 0, v3
	v_cmp_eq_f32_e64 s0, 0, v4
	s_and_b32 s2, vcc_lo, s0
	s_mov_b32 s0, -1
	s_and_saveexec_b32 s1, s2
	s_cbranch_execz .LBB154_2
; %bb.1:
	s_waitcnt vmcnt(0) lgkmcnt(0)
	v_cmp_neq_f32_e32 vcc_lo, 1.0, v1
	v_cmp_neq_f32_e64 s0, 0, v2
	s_or_b32 s0, vcc_lo, s0
	s_orn2_b32 s0, s0, exec_lo
.LBB154_2:
	s_or_b32 exec_lo, exec_lo, s1
	s_and_saveexec_b32 s1, s0
	s_cbranch_execz .LBB154_13
; %bb.3:
	s_load_dword s0, s[4:5], 0x0
	v_lshrrev_b32_e32 v5, 4, v0
	v_lshl_or_b32 v5, s6, 3, v5
	s_waitcnt lgkmcnt(0)
	v_cmp_gt_i32_e32 vcc_lo, s0, v5
	s_and_b32 exec_lo, exec_lo, vcc_lo
	s_cbranch_execz .LBB154_13
; %bb.4:
	s_clause 0x1
	s_load_dwordx2 s[0:1], s[4:5], 0x10
	s_load_dwordx2 s[6:7], s[4:5], 0x38
	v_ashrrev_i32_e32 v6, 31, v5
	v_and_b32_e32 v0, 15, v0
	v_mov_b32_e32 v11, 0
	v_mov_b32_e32 v12, 0
	s_mov_b32 s9, exec_lo
	v_lshlrev_b64 v[7:8], 2, v[5:6]
	v_subrev_nc_u32_e32 v9, s8, v0
	s_waitcnt lgkmcnt(0)
	v_add_co_u32 v7, vcc_lo, s0, v7
	v_add_co_ci_u32_e64 v8, null, s1, v8, vcc_lo
	global_load_dwordx2 v[7:8], v[7:8], off
	s_waitcnt vmcnt(0)
	v_subrev_nc_u32_e32 v13, s8, v8
	v_add_nc_u32_e32 v7, v7, v9
	v_cmpx_lt_i32_e64 v7, v13
	s_cbranch_execz .LBB154_8
; %bb.5:
	s_clause 0x1
	s_load_dwordx4 s[0:3], s[4:5], 0x18
	s_load_dwordx2 s[4:5], s[4:5], 0x28
	v_mov_b32_e32 v10, 0
	v_lshlrev_b32_e32 v9, 1, v7
	s_mov_b32 s10, 0
	v_mov_b32_e32 v11, v10
	v_mov_b32_e32 v12, v10
	s_inst_prefetch 0x1
	.p2align	6
.LBB154_6:                              ; =>This Inner Loop Header: Depth=1
	v_ashrrev_i32_e32 v8, 31, v7
	v_mov_b32_e32 v17, v10
	v_lshlrev_b64 v[14:15], 2, v[7:8]
	v_add_nc_u32_e32 v7, 16, v7
	s_waitcnt lgkmcnt(0)
	v_add_co_u32 v14, vcc_lo, s0, v14
	v_add_co_ci_u32_e64 v15, null, s1, v15, vcc_lo
	global_load_dword v8, v[14:15], off
	v_lshlrev_b64 v[14:15], 3, v[9:10]
	v_add_nc_u32_e32 v9, 32, v9
	v_add_co_u32 v14, vcc_lo, s2, v14
	v_add_co_ci_u32_e64 v15, null, s3, v15, vcc_lo
	s_waitcnt vmcnt(0)
	v_subrev_nc_u32_e32 v8, s8, v8
	v_lshlrev_b32_e32 v16, 1, v8
	v_lshlrev_b64 v[16:17], 3, v[16:17]
	v_add_co_u32 v18, vcc_lo, s4, v16
	v_add_co_ci_u32_e64 v19, null, s5, v17, vcc_lo
	v_cmp_ge_i32_e32 vcc_lo, v7, v13
	global_load_dwordx4 v[14:17], v[14:15], off
	global_load_dwordx4 v[18:21], v[18:19], off
	s_or_b32 s10, vcc_lo, s10
	s_waitcnt vmcnt(0)
	v_fmac_f32_e32 v12, v14, v18
	v_fmac_f32_e32 v11, v15, v18
	v_fma_f32 v8, -v15, v19, v12
	v_fmac_f32_e32 v11, v14, v19
	v_fmac_f32_e32 v8, v16, v20
	;; [unrolled: 1-line block ×3, first 2 shown]
	v_fma_f32 v12, -v17, v21, v8
	v_fmac_f32_e32 v11, v16, v21
	s_andn2_b32 exec_lo, exec_lo, s10
	s_cbranch_execnz .LBB154_6
; %bb.7:
	s_inst_prefetch 0x2
	s_or_b32 exec_lo, exec_lo, s10
.LBB154_8:
	s_or_b32 exec_lo, exec_lo, s9
	v_mbcnt_lo_u32_b32 v7, -1, 0
	v_xor_b32_e32 v8, 8, v7
	v_xor_b32_e32 v10, 4, v7
	v_cmp_gt_i32_e32 vcc_lo, 32, v8
	v_cndmask_b32_e32 v8, v7, v8, vcc_lo
	v_cmp_gt_i32_e32 vcc_lo, 32, v10
	v_lshlrev_b32_e32 v8, 2, v8
	v_cndmask_b32_e32 v10, v7, v10, vcc_lo
	ds_bpermute_b32 v9, v8, v12
	ds_bpermute_b32 v8, v8, v11
	v_lshlrev_b32_e32 v10, 2, v10
	s_waitcnt lgkmcnt(1)
	v_add_f32_e32 v9, v12, v9
	s_waitcnt lgkmcnt(0)
	v_add_f32_e32 v8, v11, v8
	v_xor_b32_e32 v12, 2, v7
	ds_bpermute_b32 v11, v10, v9
	ds_bpermute_b32 v10, v10, v8
	v_cmp_gt_i32_e32 vcc_lo, 32, v12
	v_cndmask_b32_e32 v12, v7, v12, vcc_lo
	v_lshlrev_b32_e32 v12, 2, v12
	s_waitcnt lgkmcnt(1)
	v_add_f32_e32 v9, v9, v11
	s_waitcnt lgkmcnt(0)
	v_add_f32_e32 v8, v8, v10
	ds_bpermute_b32 v10, v12, v9
	ds_bpermute_b32 v11, v12, v8
	v_xor_b32_e32 v12, 1, v7
	v_cmp_gt_i32_e32 vcc_lo, 32, v12
	v_cndmask_b32_e32 v7, v7, v12, vcc_lo
	v_cmp_eq_u32_e32 vcc_lo, 15, v0
	v_lshlrev_b32_e32 v12, 2, v7
	s_waitcnt lgkmcnt(1)
	v_add_f32_e32 v7, v9, v10
	s_waitcnt lgkmcnt(0)
	v_add_f32_e32 v9, v8, v11
	ds_bpermute_b32 v8, v12, v7
	ds_bpermute_b32 v10, v12, v9
	s_and_b32 exec_lo, exec_lo, vcc_lo
	s_cbranch_execz .LBB154_13
; %bb.9:
	s_waitcnt lgkmcnt(0)
	v_add_f32_e32 v0, v9, v10
	v_add_f32_e32 v9, v7, v8
	v_cmp_eq_f32_e32 vcc_lo, 0, v1
	v_cmp_eq_f32_e64 s0, 0, v2
	v_lshlrev_b64 v[5:6], 3, v[5:6]
	v_mul_f32_e64 v7, v0, -v4
	v_mul_f32_e32 v8, v3, v0
	s_and_b32 s0, vcc_lo, s0
	v_fmac_f32_e32 v7, v3, v9
	v_fmac_f32_e32 v8, v4, v9
	s_and_saveexec_b32 s1, s0
	s_xor_b32 s0, exec_lo, s1
	s_cbranch_execz .LBB154_11
; %bb.10:
	v_add_co_u32 v0, vcc_lo, s6, v5
	v_add_co_ci_u32_e64 v1, null, s7, v6, vcc_lo
                                        ; implicit-def: $vgpr5_vgpr6
	global_store_dwordx2 v[0:1], v[7:8], off
                                        ; implicit-def: $vgpr1_vgpr2
                                        ; implicit-def: $vgpr7
.LBB154_11:
	s_andn2_saveexec_b32 s0, s0
	s_cbranch_execz .LBB154_13
; %bb.12:
	v_add_co_u32 v3, vcc_lo, s6, v5
	v_add_co_ci_u32_e64 v4, null, s7, v6, vcc_lo
	global_load_dwordx2 v[5:6], v[3:4], off
	s_waitcnt vmcnt(0)
	v_fmac_f32_e32 v7, v1, v5
	v_fmac_f32_e32 v8, v2, v5
	v_fma_f32 v7, -v2, v6, v7
	v_fmac_f32_e32 v8, v1, v6
	global_store_dwordx2 v[3:4], v[7:8], off
.LBB154_13:
	s_endpgm
	.section	.rodata,"a",@progbits
	.p2align	6, 0x0
	.amdhsa_kernel _ZN9rocsparseL19gebsrmvn_1xn_kernelILj128ELj2ELj16E21rocsparse_complex_numIfEEEvi20rocsparse_direction_NS_24const_host_device_scalarIT2_EEPKiS8_PKS5_SA_S6_PS5_21rocsparse_index_base_b
		.amdhsa_group_segment_fixed_size 0
		.amdhsa_private_segment_fixed_size 0
		.amdhsa_kernarg_size 72
		.amdhsa_user_sgpr_count 6
		.amdhsa_user_sgpr_private_segment_buffer 1
		.amdhsa_user_sgpr_dispatch_ptr 0
		.amdhsa_user_sgpr_queue_ptr 0
		.amdhsa_user_sgpr_kernarg_segment_ptr 1
		.amdhsa_user_sgpr_dispatch_id 0
		.amdhsa_user_sgpr_flat_scratch_init 0
		.amdhsa_user_sgpr_private_segment_size 0
		.amdhsa_wavefront_size32 1
		.amdhsa_uses_dynamic_stack 0
		.amdhsa_system_sgpr_private_segment_wavefront_offset 0
		.amdhsa_system_sgpr_workgroup_id_x 1
		.amdhsa_system_sgpr_workgroup_id_y 0
		.amdhsa_system_sgpr_workgroup_id_z 0
		.amdhsa_system_sgpr_workgroup_info 0
		.amdhsa_system_vgpr_workitem_id 0
		.amdhsa_next_free_vgpr 22
		.amdhsa_next_free_sgpr 13
		.amdhsa_reserve_vcc 1
		.amdhsa_reserve_flat_scratch 0
		.amdhsa_float_round_mode_32 0
		.amdhsa_float_round_mode_16_64 0
		.amdhsa_float_denorm_mode_32 3
		.amdhsa_float_denorm_mode_16_64 3
		.amdhsa_dx10_clamp 1
		.amdhsa_ieee_mode 1
		.amdhsa_fp16_overflow 0
		.amdhsa_workgroup_processor_mode 1
		.amdhsa_memory_ordered 1
		.amdhsa_forward_progress 1
		.amdhsa_shared_vgpr_count 0
		.amdhsa_exception_fp_ieee_invalid_op 0
		.amdhsa_exception_fp_denorm_src 0
		.amdhsa_exception_fp_ieee_div_zero 0
		.amdhsa_exception_fp_ieee_overflow 0
		.amdhsa_exception_fp_ieee_underflow 0
		.amdhsa_exception_fp_ieee_inexact 0
		.amdhsa_exception_int_div_zero 0
	.end_amdhsa_kernel
	.section	.text._ZN9rocsparseL19gebsrmvn_1xn_kernelILj128ELj2ELj16E21rocsparse_complex_numIfEEEvi20rocsparse_direction_NS_24const_host_device_scalarIT2_EEPKiS8_PKS5_SA_S6_PS5_21rocsparse_index_base_b,"axG",@progbits,_ZN9rocsparseL19gebsrmvn_1xn_kernelILj128ELj2ELj16E21rocsparse_complex_numIfEEEvi20rocsparse_direction_NS_24const_host_device_scalarIT2_EEPKiS8_PKS5_SA_S6_PS5_21rocsparse_index_base_b,comdat
.Lfunc_end154:
	.size	_ZN9rocsparseL19gebsrmvn_1xn_kernelILj128ELj2ELj16E21rocsparse_complex_numIfEEEvi20rocsparse_direction_NS_24const_host_device_scalarIT2_EEPKiS8_PKS5_SA_S6_PS5_21rocsparse_index_base_b, .Lfunc_end154-_ZN9rocsparseL19gebsrmvn_1xn_kernelILj128ELj2ELj16E21rocsparse_complex_numIfEEEvi20rocsparse_direction_NS_24const_host_device_scalarIT2_EEPKiS8_PKS5_SA_S6_PS5_21rocsparse_index_base_b
                                        ; -- End function
	.set _ZN9rocsparseL19gebsrmvn_1xn_kernelILj128ELj2ELj16E21rocsparse_complex_numIfEEEvi20rocsparse_direction_NS_24const_host_device_scalarIT2_EEPKiS8_PKS5_SA_S6_PS5_21rocsparse_index_base_b.num_vgpr, 22
	.set _ZN9rocsparseL19gebsrmvn_1xn_kernelILj128ELj2ELj16E21rocsparse_complex_numIfEEEvi20rocsparse_direction_NS_24const_host_device_scalarIT2_EEPKiS8_PKS5_SA_S6_PS5_21rocsparse_index_base_b.num_agpr, 0
	.set _ZN9rocsparseL19gebsrmvn_1xn_kernelILj128ELj2ELj16E21rocsparse_complex_numIfEEEvi20rocsparse_direction_NS_24const_host_device_scalarIT2_EEPKiS8_PKS5_SA_S6_PS5_21rocsparse_index_base_b.numbered_sgpr, 13
	.set _ZN9rocsparseL19gebsrmvn_1xn_kernelILj128ELj2ELj16E21rocsparse_complex_numIfEEEvi20rocsparse_direction_NS_24const_host_device_scalarIT2_EEPKiS8_PKS5_SA_S6_PS5_21rocsparse_index_base_b.num_named_barrier, 0
	.set _ZN9rocsparseL19gebsrmvn_1xn_kernelILj128ELj2ELj16E21rocsparse_complex_numIfEEEvi20rocsparse_direction_NS_24const_host_device_scalarIT2_EEPKiS8_PKS5_SA_S6_PS5_21rocsparse_index_base_b.private_seg_size, 0
	.set _ZN9rocsparseL19gebsrmvn_1xn_kernelILj128ELj2ELj16E21rocsparse_complex_numIfEEEvi20rocsparse_direction_NS_24const_host_device_scalarIT2_EEPKiS8_PKS5_SA_S6_PS5_21rocsparse_index_base_b.uses_vcc, 1
	.set _ZN9rocsparseL19gebsrmvn_1xn_kernelILj128ELj2ELj16E21rocsparse_complex_numIfEEEvi20rocsparse_direction_NS_24const_host_device_scalarIT2_EEPKiS8_PKS5_SA_S6_PS5_21rocsparse_index_base_b.uses_flat_scratch, 0
	.set _ZN9rocsparseL19gebsrmvn_1xn_kernelILj128ELj2ELj16E21rocsparse_complex_numIfEEEvi20rocsparse_direction_NS_24const_host_device_scalarIT2_EEPKiS8_PKS5_SA_S6_PS5_21rocsparse_index_base_b.has_dyn_sized_stack, 0
	.set _ZN9rocsparseL19gebsrmvn_1xn_kernelILj128ELj2ELj16E21rocsparse_complex_numIfEEEvi20rocsparse_direction_NS_24const_host_device_scalarIT2_EEPKiS8_PKS5_SA_S6_PS5_21rocsparse_index_base_b.has_recursion, 0
	.set _ZN9rocsparseL19gebsrmvn_1xn_kernelILj128ELj2ELj16E21rocsparse_complex_numIfEEEvi20rocsparse_direction_NS_24const_host_device_scalarIT2_EEPKiS8_PKS5_SA_S6_PS5_21rocsparse_index_base_b.has_indirect_call, 0
	.section	.AMDGPU.csdata,"",@progbits
; Kernel info:
; codeLenInByte = 940
; TotalNumSgprs: 15
; NumVgprs: 22
; ScratchSize: 0
; MemoryBound: 0
; FloatMode: 240
; IeeeMode: 1
; LDSByteSize: 0 bytes/workgroup (compile time only)
; SGPRBlocks: 0
; VGPRBlocks: 2
; NumSGPRsForWavesPerEU: 15
; NumVGPRsForWavesPerEU: 22
; Occupancy: 16
; WaveLimiterHint : 1
; COMPUTE_PGM_RSRC2:SCRATCH_EN: 0
; COMPUTE_PGM_RSRC2:USER_SGPR: 6
; COMPUTE_PGM_RSRC2:TRAP_HANDLER: 0
; COMPUTE_PGM_RSRC2:TGID_X_EN: 1
; COMPUTE_PGM_RSRC2:TGID_Y_EN: 0
; COMPUTE_PGM_RSRC2:TGID_Z_EN: 0
; COMPUTE_PGM_RSRC2:TIDIG_COMP_CNT: 0
	.section	.text._ZN9rocsparseL19gebsrmvn_1xn_kernelILj128ELj2ELj32E21rocsparse_complex_numIfEEEvi20rocsparse_direction_NS_24const_host_device_scalarIT2_EEPKiS8_PKS5_SA_S6_PS5_21rocsparse_index_base_b,"axG",@progbits,_ZN9rocsparseL19gebsrmvn_1xn_kernelILj128ELj2ELj32E21rocsparse_complex_numIfEEEvi20rocsparse_direction_NS_24const_host_device_scalarIT2_EEPKiS8_PKS5_SA_S6_PS5_21rocsparse_index_base_b,comdat
	.globl	_ZN9rocsparseL19gebsrmvn_1xn_kernelILj128ELj2ELj32E21rocsparse_complex_numIfEEEvi20rocsparse_direction_NS_24const_host_device_scalarIT2_EEPKiS8_PKS5_SA_S6_PS5_21rocsparse_index_base_b ; -- Begin function _ZN9rocsparseL19gebsrmvn_1xn_kernelILj128ELj2ELj32E21rocsparse_complex_numIfEEEvi20rocsparse_direction_NS_24const_host_device_scalarIT2_EEPKiS8_PKS5_SA_S6_PS5_21rocsparse_index_base_b
	.p2align	8
	.type	_ZN9rocsparseL19gebsrmvn_1xn_kernelILj128ELj2ELj32E21rocsparse_complex_numIfEEEvi20rocsparse_direction_NS_24const_host_device_scalarIT2_EEPKiS8_PKS5_SA_S6_PS5_21rocsparse_index_base_b,@function
_ZN9rocsparseL19gebsrmvn_1xn_kernelILj128ELj2ELj32E21rocsparse_complex_numIfEEEvi20rocsparse_direction_NS_24const_host_device_scalarIT2_EEPKiS8_PKS5_SA_S6_PS5_21rocsparse_index_base_b: ; @_ZN9rocsparseL19gebsrmvn_1xn_kernelILj128ELj2ELj32E21rocsparse_complex_numIfEEEvi20rocsparse_direction_NS_24const_host_device_scalarIT2_EEPKiS8_PKS5_SA_S6_PS5_21rocsparse_index_base_b
; %bb.0:
	s_clause 0x2
	s_load_dwordx2 s[8:9], s[4:5], 0x40
	s_load_dwordx2 s[0:1], s[4:5], 0x8
	;; [unrolled: 1-line block ×3, first 2 shown]
	s_add_u32 s7, s4, 8
	s_addc_u32 s10, s5, 0
	s_add_u32 s11, s4, 48
	s_addc_u32 s12, s5, 0
	s_waitcnt lgkmcnt(0)
	s_bitcmp1_b32 s9, 0
	s_cselect_b32 s0, s7, s0
	s_cselect_b32 s1, s10, s1
	v_mov_b32_e32 v1, s0
	v_mov_b32_e32 v2, s1
	s_cselect_b32 s0, s11, s2
	s_cselect_b32 s1, s12, s3
	flat_load_dwordx2 v[3:4], v[1:2]
	v_mov_b32_e32 v1, s0
	v_mov_b32_e32 v2, s1
	flat_load_dwordx2 v[1:2], v[1:2]
	s_waitcnt vmcnt(1) lgkmcnt(1)
	v_cmp_eq_f32_e32 vcc_lo, 0, v3
	v_cmp_eq_f32_e64 s0, 0, v4
	s_and_b32 s2, vcc_lo, s0
	s_mov_b32 s0, -1
	s_and_saveexec_b32 s1, s2
	s_cbranch_execz .LBB155_2
; %bb.1:
	s_waitcnt vmcnt(0) lgkmcnt(0)
	v_cmp_neq_f32_e32 vcc_lo, 1.0, v1
	v_cmp_neq_f32_e64 s0, 0, v2
	s_or_b32 s0, vcc_lo, s0
	s_orn2_b32 s0, s0, exec_lo
.LBB155_2:
	s_or_b32 exec_lo, exec_lo, s1
	s_and_saveexec_b32 s1, s0
	s_cbranch_execz .LBB155_13
; %bb.3:
	s_load_dword s0, s[4:5], 0x0
	v_lshrrev_b32_e32 v5, 5, v0
	v_lshl_or_b32 v5, s6, 2, v5
	s_waitcnt lgkmcnt(0)
	v_cmp_gt_i32_e32 vcc_lo, s0, v5
	s_and_b32 exec_lo, exec_lo, vcc_lo
	s_cbranch_execz .LBB155_13
; %bb.4:
	s_clause 0x1
	s_load_dwordx2 s[0:1], s[4:5], 0x10
	s_load_dwordx2 s[6:7], s[4:5], 0x38
	v_ashrrev_i32_e32 v6, 31, v5
	v_and_b32_e32 v0, 31, v0
	v_mov_b32_e32 v11, 0
	v_mov_b32_e32 v12, 0
	s_mov_b32 s9, exec_lo
	v_lshlrev_b64 v[7:8], 2, v[5:6]
	v_subrev_nc_u32_e32 v9, s8, v0
	s_waitcnt lgkmcnt(0)
	v_add_co_u32 v7, vcc_lo, s0, v7
	v_add_co_ci_u32_e64 v8, null, s1, v8, vcc_lo
	global_load_dwordx2 v[7:8], v[7:8], off
	s_waitcnt vmcnt(0)
	v_subrev_nc_u32_e32 v13, s8, v8
	v_add_nc_u32_e32 v7, v7, v9
	v_cmpx_lt_i32_e64 v7, v13
	s_cbranch_execz .LBB155_8
; %bb.5:
	s_clause 0x1
	s_load_dwordx4 s[0:3], s[4:5], 0x18
	s_load_dwordx2 s[4:5], s[4:5], 0x28
	v_mov_b32_e32 v10, 0
	v_lshlrev_b32_e32 v9, 1, v7
	s_mov_b32 s10, 0
	v_mov_b32_e32 v11, v10
	v_mov_b32_e32 v12, v10
	s_inst_prefetch 0x1
	.p2align	6
.LBB155_6:                              ; =>This Inner Loop Header: Depth=1
	v_ashrrev_i32_e32 v8, 31, v7
	v_mov_b32_e32 v17, v10
	v_lshlrev_b64 v[14:15], 2, v[7:8]
	v_add_nc_u32_e32 v7, 32, v7
	s_waitcnt lgkmcnt(0)
	v_add_co_u32 v14, vcc_lo, s0, v14
	v_add_co_ci_u32_e64 v15, null, s1, v15, vcc_lo
	global_load_dword v8, v[14:15], off
	v_lshlrev_b64 v[14:15], 3, v[9:10]
	v_add_nc_u32_e32 v9, 64, v9
	v_add_co_u32 v14, vcc_lo, s2, v14
	v_add_co_ci_u32_e64 v15, null, s3, v15, vcc_lo
	s_waitcnt vmcnt(0)
	v_subrev_nc_u32_e32 v8, s8, v8
	v_lshlrev_b32_e32 v16, 1, v8
	v_lshlrev_b64 v[16:17], 3, v[16:17]
	v_add_co_u32 v18, vcc_lo, s4, v16
	v_add_co_ci_u32_e64 v19, null, s5, v17, vcc_lo
	v_cmp_ge_i32_e32 vcc_lo, v7, v13
	global_load_dwordx4 v[14:17], v[14:15], off
	global_load_dwordx4 v[18:21], v[18:19], off
	s_or_b32 s10, vcc_lo, s10
	s_waitcnt vmcnt(0)
	v_fmac_f32_e32 v12, v14, v18
	v_fmac_f32_e32 v11, v15, v18
	v_fma_f32 v8, -v15, v19, v12
	v_fmac_f32_e32 v11, v14, v19
	v_fmac_f32_e32 v8, v16, v20
	;; [unrolled: 1-line block ×3, first 2 shown]
	v_fma_f32 v12, -v17, v21, v8
	v_fmac_f32_e32 v11, v16, v21
	s_andn2_b32 exec_lo, exec_lo, s10
	s_cbranch_execnz .LBB155_6
; %bb.7:
	s_inst_prefetch 0x2
	s_or_b32 exec_lo, exec_lo, s10
.LBB155_8:
	s_or_b32 exec_lo, exec_lo, s9
	v_mbcnt_lo_u32_b32 v7, -1, 0
	v_xor_b32_e32 v8, 16, v7
	v_xor_b32_e32 v10, 8, v7
	v_cmp_gt_i32_e32 vcc_lo, 32, v8
	v_cndmask_b32_e32 v8, v7, v8, vcc_lo
	v_cmp_gt_i32_e32 vcc_lo, 32, v10
	v_lshlrev_b32_e32 v8, 2, v8
	v_cndmask_b32_e32 v10, v7, v10, vcc_lo
	ds_bpermute_b32 v9, v8, v12
	ds_bpermute_b32 v8, v8, v11
	v_lshlrev_b32_e32 v10, 2, v10
	s_waitcnt lgkmcnt(1)
	v_add_f32_e32 v9, v12, v9
	s_waitcnt lgkmcnt(0)
	v_add_f32_e32 v8, v11, v8
	v_xor_b32_e32 v12, 4, v7
	ds_bpermute_b32 v11, v10, v9
	ds_bpermute_b32 v10, v10, v8
	v_cmp_gt_i32_e32 vcc_lo, 32, v12
	v_cndmask_b32_e32 v12, v7, v12, vcc_lo
	v_lshlrev_b32_e32 v12, 2, v12
	s_waitcnt lgkmcnt(1)
	v_add_f32_e32 v9, v9, v11
	s_waitcnt lgkmcnt(0)
	v_add_f32_e32 v8, v8, v10
	ds_bpermute_b32 v10, v12, v9
	ds_bpermute_b32 v11, v12, v8
	v_xor_b32_e32 v12, 2, v7
	v_cmp_gt_i32_e32 vcc_lo, 32, v12
	v_cndmask_b32_e32 v12, v7, v12, vcc_lo
	v_lshlrev_b32_e32 v12, 2, v12
	s_waitcnt lgkmcnt(1)
	v_add_f32_e32 v9, v9, v10
	s_waitcnt lgkmcnt(0)
	v_add_f32_e32 v8, v8, v11
	ds_bpermute_b32 v10, v12, v9
	ds_bpermute_b32 v11, v12, v8
	v_xor_b32_e32 v12, 1, v7
	v_cmp_gt_i32_e32 vcc_lo, 32, v12
	v_cndmask_b32_e32 v7, v7, v12, vcc_lo
	v_cmp_eq_u32_e32 vcc_lo, 31, v0
	v_lshlrev_b32_e32 v12, 2, v7
	s_waitcnt lgkmcnt(1)
	v_add_f32_e32 v7, v9, v10
	s_waitcnt lgkmcnt(0)
	v_add_f32_e32 v9, v8, v11
	ds_bpermute_b32 v8, v12, v7
	ds_bpermute_b32 v10, v12, v9
	s_and_b32 exec_lo, exec_lo, vcc_lo
	s_cbranch_execz .LBB155_13
; %bb.9:
	s_waitcnt lgkmcnt(0)
	v_add_f32_e32 v0, v9, v10
	v_add_f32_e32 v9, v7, v8
	v_cmp_eq_f32_e32 vcc_lo, 0, v1
	v_cmp_eq_f32_e64 s0, 0, v2
	v_lshlrev_b64 v[5:6], 3, v[5:6]
	v_mul_f32_e64 v7, v0, -v4
	v_mul_f32_e32 v8, v3, v0
	s_and_b32 s0, vcc_lo, s0
	v_fmac_f32_e32 v7, v3, v9
	v_fmac_f32_e32 v8, v4, v9
	s_and_saveexec_b32 s1, s0
	s_xor_b32 s0, exec_lo, s1
	s_cbranch_execz .LBB155_11
; %bb.10:
	v_add_co_u32 v0, vcc_lo, s6, v5
	v_add_co_ci_u32_e64 v1, null, s7, v6, vcc_lo
                                        ; implicit-def: $vgpr5_vgpr6
	global_store_dwordx2 v[0:1], v[7:8], off
                                        ; implicit-def: $vgpr1_vgpr2
                                        ; implicit-def: $vgpr7
.LBB155_11:
	s_andn2_saveexec_b32 s0, s0
	s_cbranch_execz .LBB155_13
; %bb.12:
	v_add_co_u32 v3, vcc_lo, s6, v5
	v_add_co_ci_u32_e64 v4, null, s7, v6, vcc_lo
	global_load_dwordx2 v[5:6], v[3:4], off
	s_waitcnt vmcnt(0)
	v_fmac_f32_e32 v7, v1, v5
	v_fmac_f32_e32 v8, v2, v5
	v_fma_f32 v7, -v2, v6, v7
	v_fmac_f32_e32 v8, v1, v6
	global_store_dwordx2 v[3:4], v[7:8], off
.LBB155_13:
	s_endpgm
	.section	.rodata,"a",@progbits
	.p2align	6, 0x0
	.amdhsa_kernel _ZN9rocsparseL19gebsrmvn_1xn_kernelILj128ELj2ELj32E21rocsparse_complex_numIfEEEvi20rocsparse_direction_NS_24const_host_device_scalarIT2_EEPKiS8_PKS5_SA_S6_PS5_21rocsparse_index_base_b
		.amdhsa_group_segment_fixed_size 0
		.amdhsa_private_segment_fixed_size 0
		.amdhsa_kernarg_size 72
		.amdhsa_user_sgpr_count 6
		.amdhsa_user_sgpr_private_segment_buffer 1
		.amdhsa_user_sgpr_dispatch_ptr 0
		.amdhsa_user_sgpr_queue_ptr 0
		.amdhsa_user_sgpr_kernarg_segment_ptr 1
		.amdhsa_user_sgpr_dispatch_id 0
		.amdhsa_user_sgpr_flat_scratch_init 0
		.amdhsa_user_sgpr_private_segment_size 0
		.amdhsa_wavefront_size32 1
		.amdhsa_uses_dynamic_stack 0
		.amdhsa_system_sgpr_private_segment_wavefront_offset 0
		.amdhsa_system_sgpr_workgroup_id_x 1
		.amdhsa_system_sgpr_workgroup_id_y 0
		.amdhsa_system_sgpr_workgroup_id_z 0
		.amdhsa_system_sgpr_workgroup_info 0
		.amdhsa_system_vgpr_workitem_id 0
		.amdhsa_next_free_vgpr 22
		.amdhsa_next_free_sgpr 13
		.amdhsa_reserve_vcc 1
		.amdhsa_reserve_flat_scratch 0
		.amdhsa_float_round_mode_32 0
		.amdhsa_float_round_mode_16_64 0
		.amdhsa_float_denorm_mode_32 3
		.amdhsa_float_denorm_mode_16_64 3
		.amdhsa_dx10_clamp 1
		.amdhsa_ieee_mode 1
		.amdhsa_fp16_overflow 0
		.amdhsa_workgroup_processor_mode 1
		.amdhsa_memory_ordered 1
		.amdhsa_forward_progress 1
		.amdhsa_shared_vgpr_count 0
		.amdhsa_exception_fp_ieee_invalid_op 0
		.amdhsa_exception_fp_denorm_src 0
		.amdhsa_exception_fp_ieee_div_zero 0
		.amdhsa_exception_fp_ieee_overflow 0
		.amdhsa_exception_fp_ieee_underflow 0
		.amdhsa_exception_fp_ieee_inexact 0
		.amdhsa_exception_int_div_zero 0
	.end_amdhsa_kernel
	.section	.text._ZN9rocsparseL19gebsrmvn_1xn_kernelILj128ELj2ELj32E21rocsparse_complex_numIfEEEvi20rocsparse_direction_NS_24const_host_device_scalarIT2_EEPKiS8_PKS5_SA_S6_PS5_21rocsparse_index_base_b,"axG",@progbits,_ZN9rocsparseL19gebsrmvn_1xn_kernelILj128ELj2ELj32E21rocsparse_complex_numIfEEEvi20rocsparse_direction_NS_24const_host_device_scalarIT2_EEPKiS8_PKS5_SA_S6_PS5_21rocsparse_index_base_b,comdat
.Lfunc_end155:
	.size	_ZN9rocsparseL19gebsrmvn_1xn_kernelILj128ELj2ELj32E21rocsparse_complex_numIfEEEvi20rocsparse_direction_NS_24const_host_device_scalarIT2_EEPKiS8_PKS5_SA_S6_PS5_21rocsparse_index_base_b, .Lfunc_end155-_ZN9rocsparseL19gebsrmvn_1xn_kernelILj128ELj2ELj32E21rocsparse_complex_numIfEEEvi20rocsparse_direction_NS_24const_host_device_scalarIT2_EEPKiS8_PKS5_SA_S6_PS5_21rocsparse_index_base_b
                                        ; -- End function
	.set _ZN9rocsparseL19gebsrmvn_1xn_kernelILj128ELj2ELj32E21rocsparse_complex_numIfEEEvi20rocsparse_direction_NS_24const_host_device_scalarIT2_EEPKiS8_PKS5_SA_S6_PS5_21rocsparse_index_base_b.num_vgpr, 22
	.set _ZN9rocsparseL19gebsrmvn_1xn_kernelILj128ELj2ELj32E21rocsparse_complex_numIfEEEvi20rocsparse_direction_NS_24const_host_device_scalarIT2_EEPKiS8_PKS5_SA_S6_PS5_21rocsparse_index_base_b.num_agpr, 0
	.set _ZN9rocsparseL19gebsrmvn_1xn_kernelILj128ELj2ELj32E21rocsparse_complex_numIfEEEvi20rocsparse_direction_NS_24const_host_device_scalarIT2_EEPKiS8_PKS5_SA_S6_PS5_21rocsparse_index_base_b.numbered_sgpr, 13
	.set _ZN9rocsparseL19gebsrmvn_1xn_kernelILj128ELj2ELj32E21rocsparse_complex_numIfEEEvi20rocsparse_direction_NS_24const_host_device_scalarIT2_EEPKiS8_PKS5_SA_S6_PS5_21rocsparse_index_base_b.num_named_barrier, 0
	.set _ZN9rocsparseL19gebsrmvn_1xn_kernelILj128ELj2ELj32E21rocsparse_complex_numIfEEEvi20rocsparse_direction_NS_24const_host_device_scalarIT2_EEPKiS8_PKS5_SA_S6_PS5_21rocsparse_index_base_b.private_seg_size, 0
	.set _ZN9rocsparseL19gebsrmvn_1xn_kernelILj128ELj2ELj32E21rocsparse_complex_numIfEEEvi20rocsparse_direction_NS_24const_host_device_scalarIT2_EEPKiS8_PKS5_SA_S6_PS5_21rocsparse_index_base_b.uses_vcc, 1
	.set _ZN9rocsparseL19gebsrmvn_1xn_kernelILj128ELj2ELj32E21rocsparse_complex_numIfEEEvi20rocsparse_direction_NS_24const_host_device_scalarIT2_EEPKiS8_PKS5_SA_S6_PS5_21rocsparse_index_base_b.uses_flat_scratch, 0
	.set _ZN9rocsparseL19gebsrmvn_1xn_kernelILj128ELj2ELj32E21rocsparse_complex_numIfEEEvi20rocsparse_direction_NS_24const_host_device_scalarIT2_EEPKiS8_PKS5_SA_S6_PS5_21rocsparse_index_base_b.has_dyn_sized_stack, 0
	.set _ZN9rocsparseL19gebsrmvn_1xn_kernelILj128ELj2ELj32E21rocsparse_complex_numIfEEEvi20rocsparse_direction_NS_24const_host_device_scalarIT2_EEPKiS8_PKS5_SA_S6_PS5_21rocsparse_index_base_b.has_recursion, 0
	.set _ZN9rocsparseL19gebsrmvn_1xn_kernelILj128ELj2ELj32E21rocsparse_complex_numIfEEEvi20rocsparse_direction_NS_24const_host_device_scalarIT2_EEPKiS8_PKS5_SA_S6_PS5_21rocsparse_index_base_b.has_indirect_call, 0
	.section	.AMDGPU.csdata,"",@progbits
; Kernel info:
; codeLenInByte = 988
; TotalNumSgprs: 15
; NumVgprs: 22
; ScratchSize: 0
; MemoryBound: 0
; FloatMode: 240
; IeeeMode: 1
; LDSByteSize: 0 bytes/workgroup (compile time only)
; SGPRBlocks: 0
; VGPRBlocks: 2
; NumSGPRsForWavesPerEU: 15
; NumVGPRsForWavesPerEU: 22
; Occupancy: 16
; WaveLimiterHint : 1
; COMPUTE_PGM_RSRC2:SCRATCH_EN: 0
; COMPUTE_PGM_RSRC2:USER_SGPR: 6
; COMPUTE_PGM_RSRC2:TRAP_HANDLER: 0
; COMPUTE_PGM_RSRC2:TGID_X_EN: 1
; COMPUTE_PGM_RSRC2:TGID_Y_EN: 0
; COMPUTE_PGM_RSRC2:TGID_Z_EN: 0
; COMPUTE_PGM_RSRC2:TIDIG_COMP_CNT: 0
	.section	.text._ZN9rocsparseL19gebsrmvn_1xn_kernelILj128ELj2ELj64E21rocsparse_complex_numIfEEEvi20rocsparse_direction_NS_24const_host_device_scalarIT2_EEPKiS8_PKS5_SA_S6_PS5_21rocsparse_index_base_b,"axG",@progbits,_ZN9rocsparseL19gebsrmvn_1xn_kernelILj128ELj2ELj64E21rocsparse_complex_numIfEEEvi20rocsparse_direction_NS_24const_host_device_scalarIT2_EEPKiS8_PKS5_SA_S6_PS5_21rocsparse_index_base_b,comdat
	.globl	_ZN9rocsparseL19gebsrmvn_1xn_kernelILj128ELj2ELj64E21rocsparse_complex_numIfEEEvi20rocsparse_direction_NS_24const_host_device_scalarIT2_EEPKiS8_PKS5_SA_S6_PS5_21rocsparse_index_base_b ; -- Begin function _ZN9rocsparseL19gebsrmvn_1xn_kernelILj128ELj2ELj64E21rocsparse_complex_numIfEEEvi20rocsparse_direction_NS_24const_host_device_scalarIT2_EEPKiS8_PKS5_SA_S6_PS5_21rocsparse_index_base_b
	.p2align	8
	.type	_ZN9rocsparseL19gebsrmvn_1xn_kernelILj128ELj2ELj64E21rocsparse_complex_numIfEEEvi20rocsparse_direction_NS_24const_host_device_scalarIT2_EEPKiS8_PKS5_SA_S6_PS5_21rocsparse_index_base_b,@function
_ZN9rocsparseL19gebsrmvn_1xn_kernelILj128ELj2ELj64E21rocsparse_complex_numIfEEEvi20rocsparse_direction_NS_24const_host_device_scalarIT2_EEPKiS8_PKS5_SA_S6_PS5_21rocsparse_index_base_b: ; @_ZN9rocsparseL19gebsrmvn_1xn_kernelILj128ELj2ELj64E21rocsparse_complex_numIfEEEvi20rocsparse_direction_NS_24const_host_device_scalarIT2_EEPKiS8_PKS5_SA_S6_PS5_21rocsparse_index_base_b
; %bb.0:
	s_clause 0x2
	s_load_dwordx2 s[8:9], s[4:5], 0x40
	s_load_dwordx2 s[0:1], s[4:5], 0x8
	s_load_dwordx2 s[2:3], s[4:5], 0x30
	s_add_u32 s7, s4, 8
	s_addc_u32 s10, s5, 0
	s_add_u32 s11, s4, 48
	s_addc_u32 s12, s5, 0
	s_waitcnt lgkmcnt(0)
	s_bitcmp1_b32 s9, 0
	s_cselect_b32 s0, s7, s0
	s_cselect_b32 s1, s10, s1
	v_mov_b32_e32 v1, s0
	v_mov_b32_e32 v2, s1
	s_cselect_b32 s0, s11, s2
	s_cselect_b32 s1, s12, s3
	flat_load_dwordx2 v[3:4], v[1:2]
	v_mov_b32_e32 v1, s0
	v_mov_b32_e32 v2, s1
	flat_load_dwordx2 v[1:2], v[1:2]
	s_waitcnt vmcnt(1) lgkmcnt(1)
	v_cmp_eq_f32_e32 vcc_lo, 0, v3
	v_cmp_eq_f32_e64 s0, 0, v4
	s_and_b32 s2, vcc_lo, s0
	s_mov_b32 s0, -1
	s_and_saveexec_b32 s1, s2
	s_cbranch_execz .LBB156_2
; %bb.1:
	s_waitcnt vmcnt(0) lgkmcnt(0)
	v_cmp_neq_f32_e32 vcc_lo, 1.0, v1
	v_cmp_neq_f32_e64 s0, 0, v2
	s_or_b32 s0, vcc_lo, s0
	s_orn2_b32 s0, s0, exec_lo
.LBB156_2:
	s_or_b32 exec_lo, exec_lo, s1
	s_and_saveexec_b32 s1, s0
	s_cbranch_execz .LBB156_13
; %bb.3:
	s_load_dword s0, s[4:5], 0x0
	v_lshrrev_b32_e32 v5, 6, v0
	v_lshl_or_b32 v5, s6, 1, v5
	s_waitcnt lgkmcnt(0)
	v_cmp_gt_i32_e32 vcc_lo, s0, v5
	s_and_b32 exec_lo, exec_lo, vcc_lo
	s_cbranch_execz .LBB156_13
; %bb.4:
	s_clause 0x1
	s_load_dwordx2 s[0:1], s[4:5], 0x10
	s_load_dwordx2 s[6:7], s[4:5], 0x38
	v_ashrrev_i32_e32 v6, 31, v5
	v_and_b32_e32 v0, 63, v0
	v_mov_b32_e32 v11, 0
	v_mov_b32_e32 v12, 0
	s_mov_b32 s9, exec_lo
	v_lshlrev_b64 v[7:8], 2, v[5:6]
	v_subrev_nc_u32_e32 v9, s8, v0
	s_waitcnt lgkmcnt(0)
	v_add_co_u32 v7, vcc_lo, s0, v7
	v_add_co_ci_u32_e64 v8, null, s1, v8, vcc_lo
	global_load_dwordx2 v[7:8], v[7:8], off
	s_waitcnt vmcnt(0)
	v_subrev_nc_u32_e32 v13, s8, v8
	v_add_nc_u32_e32 v7, v7, v9
	v_cmpx_lt_i32_e64 v7, v13
	s_cbranch_execz .LBB156_8
; %bb.5:
	s_clause 0x1
	s_load_dwordx4 s[0:3], s[4:5], 0x18
	s_load_dwordx2 s[4:5], s[4:5], 0x28
	v_mov_b32_e32 v10, 0
	v_lshlrev_b32_e32 v9, 1, v7
	s_mov_b32 s10, 0
	v_mov_b32_e32 v11, v10
	v_mov_b32_e32 v12, v10
	s_inst_prefetch 0x1
	.p2align	6
.LBB156_6:                              ; =>This Inner Loop Header: Depth=1
	v_ashrrev_i32_e32 v8, 31, v7
	v_mov_b32_e32 v17, v10
	v_lshlrev_b64 v[14:15], 2, v[7:8]
	v_add_nc_u32_e32 v7, 64, v7
	s_waitcnt lgkmcnt(0)
	v_add_co_u32 v14, vcc_lo, s0, v14
	v_add_co_ci_u32_e64 v15, null, s1, v15, vcc_lo
	global_load_dword v8, v[14:15], off
	v_lshlrev_b64 v[14:15], 3, v[9:10]
	v_add_nc_u32_e32 v9, 0x80, v9
	v_add_co_u32 v14, vcc_lo, s2, v14
	v_add_co_ci_u32_e64 v15, null, s3, v15, vcc_lo
	s_waitcnt vmcnt(0)
	v_subrev_nc_u32_e32 v8, s8, v8
	v_lshlrev_b32_e32 v16, 1, v8
	v_lshlrev_b64 v[16:17], 3, v[16:17]
	v_add_co_u32 v18, vcc_lo, s4, v16
	v_add_co_ci_u32_e64 v19, null, s5, v17, vcc_lo
	v_cmp_ge_i32_e32 vcc_lo, v7, v13
	global_load_dwordx4 v[14:17], v[14:15], off
	global_load_dwordx4 v[18:21], v[18:19], off
	s_or_b32 s10, vcc_lo, s10
	s_waitcnt vmcnt(0)
	v_fmac_f32_e32 v12, v14, v18
	v_fmac_f32_e32 v11, v15, v18
	v_fma_f32 v8, -v15, v19, v12
	v_fmac_f32_e32 v11, v14, v19
	v_fmac_f32_e32 v8, v16, v20
	;; [unrolled: 1-line block ×3, first 2 shown]
	v_fma_f32 v12, -v17, v21, v8
	v_fmac_f32_e32 v11, v16, v21
	s_andn2_b32 exec_lo, exec_lo, s10
	s_cbranch_execnz .LBB156_6
; %bb.7:
	s_inst_prefetch 0x2
	s_or_b32 exec_lo, exec_lo, s10
.LBB156_8:
	s_or_b32 exec_lo, exec_lo, s9
	v_mbcnt_lo_u32_b32 v7, -1, 0
	v_or_b32_e32 v8, 32, v7
	v_xor_b32_e32 v10, 16, v7
	v_cmp_gt_i32_e32 vcc_lo, 32, v8
	v_cndmask_b32_e32 v8, v7, v8, vcc_lo
	v_cmp_gt_i32_e32 vcc_lo, 32, v10
	v_lshlrev_b32_e32 v8, 2, v8
	v_cndmask_b32_e32 v10, v7, v10, vcc_lo
	ds_bpermute_b32 v9, v8, v12
	ds_bpermute_b32 v8, v8, v11
	v_lshlrev_b32_e32 v10, 2, v10
	s_waitcnt lgkmcnt(1)
	v_add_f32_e32 v9, v12, v9
	s_waitcnt lgkmcnt(0)
	v_add_f32_e32 v8, v11, v8
	v_xor_b32_e32 v12, 8, v7
	ds_bpermute_b32 v11, v10, v9
	ds_bpermute_b32 v10, v10, v8
	v_cmp_gt_i32_e32 vcc_lo, 32, v12
	v_cndmask_b32_e32 v12, v7, v12, vcc_lo
	v_lshlrev_b32_e32 v12, 2, v12
	s_waitcnt lgkmcnt(1)
	v_add_f32_e32 v9, v9, v11
	s_waitcnt lgkmcnt(0)
	v_add_f32_e32 v8, v8, v10
	ds_bpermute_b32 v10, v12, v9
	ds_bpermute_b32 v11, v12, v8
	v_xor_b32_e32 v12, 4, v7
	v_cmp_gt_i32_e32 vcc_lo, 32, v12
	v_cndmask_b32_e32 v12, v7, v12, vcc_lo
	v_lshlrev_b32_e32 v12, 2, v12
	s_waitcnt lgkmcnt(1)
	v_add_f32_e32 v9, v9, v10
	s_waitcnt lgkmcnt(0)
	v_add_f32_e32 v8, v8, v11
	ds_bpermute_b32 v10, v12, v9
	ds_bpermute_b32 v11, v12, v8
	v_xor_b32_e32 v12, 2, v7
	;; [unrolled: 10-line block ×3, first 2 shown]
	v_cmp_gt_i32_e32 vcc_lo, 32, v12
	v_cndmask_b32_e32 v7, v7, v12, vcc_lo
	v_cmp_eq_u32_e32 vcc_lo, 63, v0
	v_lshlrev_b32_e32 v12, 2, v7
	s_waitcnt lgkmcnt(1)
	v_add_f32_e32 v7, v9, v10
	s_waitcnt lgkmcnt(0)
	v_add_f32_e32 v9, v8, v11
	ds_bpermute_b32 v8, v12, v7
	ds_bpermute_b32 v10, v12, v9
	s_and_b32 exec_lo, exec_lo, vcc_lo
	s_cbranch_execz .LBB156_13
; %bb.9:
	s_waitcnt lgkmcnt(0)
	v_add_f32_e32 v0, v9, v10
	v_add_f32_e32 v9, v7, v8
	v_cmp_eq_f32_e32 vcc_lo, 0, v1
	v_cmp_eq_f32_e64 s0, 0, v2
	v_lshlrev_b64 v[5:6], 3, v[5:6]
	v_mul_f32_e64 v7, v0, -v4
	v_mul_f32_e32 v8, v3, v0
	s_and_b32 s0, vcc_lo, s0
	v_fmac_f32_e32 v7, v3, v9
	v_fmac_f32_e32 v8, v4, v9
	s_and_saveexec_b32 s1, s0
	s_xor_b32 s0, exec_lo, s1
	s_cbranch_execz .LBB156_11
; %bb.10:
	v_add_co_u32 v0, vcc_lo, s6, v5
	v_add_co_ci_u32_e64 v1, null, s7, v6, vcc_lo
                                        ; implicit-def: $vgpr5_vgpr6
	global_store_dwordx2 v[0:1], v[7:8], off
                                        ; implicit-def: $vgpr1_vgpr2
                                        ; implicit-def: $vgpr7
.LBB156_11:
	s_andn2_saveexec_b32 s0, s0
	s_cbranch_execz .LBB156_13
; %bb.12:
	v_add_co_u32 v3, vcc_lo, s6, v5
	v_add_co_ci_u32_e64 v4, null, s7, v6, vcc_lo
	global_load_dwordx2 v[5:6], v[3:4], off
	s_waitcnt vmcnt(0)
	v_fmac_f32_e32 v7, v1, v5
	v_fmac_f32_e32 v8, v2, v5
	v_fma_f32 v7, -v2, v6, v7
	v_fmac_f32_e32 v8, v1, v6
	global_store_dwordx2 v[3:4], v[7:8], off
.LBB156_13:
	s_endpgm
	.section	.rodata,"a",@progbits
	.p2align	6, 0x0
	.amdhsa_kernel _ZN9rocsparseL19gebsrmvn_1xn_kernelILj128ELj2ELj64E21rocsparse_complex_numIfEEEvi20rocsparse_direction_NS_24const_host_device_scalarIT2_EEPKiS8_PKS5_SA_S6_PS5_21rocsparse_index_base_b
		.amdhsa_group_segment_fixed_size 0
		.amdhsa_private_segment_fixed_size 0
		.amdhsa_kernarg_size 72
		.amdhsa_user_sgpr_count 6
		.amdhsa_user_sgpr_private_segment_buffer 1
		.amdhsa_user_sgpr_dispatch_ptr 0
		.amdhsa_user_sgpr_queue_ptr 0
		.amdhsa_user_sgpr_kernarg_segment_ptr 1
		.amdhsa_user_sgpr_dispatch_id 0
		.amdhsa_user_sgpr_flat_scratch_init 0
		.amdhsa_user_sgpr_private_segment_size 0
		.amdhsa_wavefront_size32 1
		.amdhsa_uses_dynamic_stack 0
		.amdhsa_system_sgpr_private_segment_wavefront_offset 0
		.amdhsa_system_sgpr_workgroup_id_x 1
		.amdhsa_system_sgpr_workgroup_id_y 0
		.amdhsa_system_sgpr_workgroup_id_z 0
		.amdhsa_system_sgpr_workgroup_info 0
		.amdhsa_system_vgpr_workitem_id 0
		.amdhsa_next_free_vgpr 22
		.amdhsa_next_free_sgpr 13
		.amdhsa_reserve_vcc 1
		.amdhsa_reserve_flat_scratch 0
		.amdhsa_float_round_mode_32 0
		.amdhsa_float_round_mode_16_64 0
		.amdhsa_float_denorm_mode_32 3
		.amdhsa_float_denorm_mode_16_64 3
		.amdhsa_dx10_clamp 1
		.amdhsa_ieee_mode 1
		.amdhsa_fp16_overflow 0
		.amdhsa_workgroup_processor_mode 1
		.amdhsa_memory_ordered 1
		.amdhsa_forward_progress 1
		.amdhsa_shared_vgpr_count 0
		.amdhsa_exception_fp_ieee_invalid_op 0
		.amdhsa_exception_fp_denorm_src 0
		.amdhsa_exception_fp_ieee_div_zero 0
		.amdhsa_exception_fp_ieee_overflow 0
		.amdhsa_exception_fp_ieee_underflow 0
		.amdhsa_exception_fp_ieee_inexact 0
		.amdhsa_exception_int_div_zero 0
	.end_amdhsa_kernel
	.section	.text._ZN9rocsparseL19gebsrmvn_1xn_kernelILj128ELj2ELj64E21rocsparse_complex_numIfEEEvi20rocsparse_direction_NS_24const_host_device_scalarIT2_EEPKiS8_PKS5_SA_S6_PS5_21rocsparse_index_base_b,"axG",@progbits,_ZN9rocsparseL19gebsrmvn_1xn_kernelILj128ELj2ELj64E21rocsparse_complex_numIfEEEvi20rocsparse_direction_NS_24const_host_device_scalarIT2_EEPKiS8_PKS5_SA_S6_PS5_21rocsparse_index_base_b,comdat
.Lfunc_end156:
	.size	_ZN9rocsparseL19gebsrmvn_1xn_kernelILj128ELj2ELj64E21rocsparse_complex_numIfEEEvi20rocsparse_direction_NS_24const_host_device_scalarIT2_EEPKiS8_PKS5_SA_S6_PS5_21rocsparse_index_base_b, .Lfunc_end156-_ZN9rocsparseL19gebsrmvn_1xn_kernelILj128ELj2ELj64E21rocsparse_complex_numIfEEEvi20rocsparse_direction_NS_24const_host_device_scalarIT2_EEPKiS8_PKS5_SA_S6_PS5_21rocsparse_index_base_b
                                        ; -- End function
	.set _ZN9rocsparseL19gebsrmvn_1xn_kernelILj128ELj2ELj64E21rocsparse_complex_numIfEEEvi20rocsparse_direction_NS_24const_host_device_scalarIT2_EEPKiS8_PKS5_SA_S6_PS5_21rocsparse_index_base_b.num_vgpr, 22
	.set _ZN9rocsparseL19gebsrmvn_1xn_kernelILj128ELj2ELj64E21rocsparse_complex_numIfEEEvi20rocsparse_direction_NS_24const_host_device_scalarIT2_EEPKiS8_PKS5_SA_S6_PS5_21rocsparse_index_base_b.num_agpr, 0
	.set _ZN9rocsparseL19gebsrmvn_1xn_kernelILj128ELj2ELj64E21rocsparse_complex_numIfEEEvi20rocsparse_direction_NS_24const_host_device_scalarIT2_EEPKiS8_PKS5_SA_S6_PS5_21rocsparse_index_base_b.numbered_sgpr, 13
	.set _ZN9rocsparseL19gebsrmvn_1xn_kernelILj128ELj2ELj64E21rocsparse_complex_numIfEEEvi20rocsparse_direction_NS_24const_host_device_scalarIT2_EEPKiS8_PKS5_SA_S6_PS5_21rocsparse_index_base_b.num_named_barrier, 0
	.set _ZN9rocsparseL19gebsrmvn_1xn_kernelILj128ELj2ELj64E21rocsparse_complex_numIfEEEvi20rocsparse_direction_NS_24const_host_device_scalarIT2_EEPKiS8_PKS5_SA_S6_PS5_21rocsparse_index_base_b.private_seg_size, 0
	.set _ZN9rocsparseL19gebsrmvn_1xn_kernelILj128ELj2ELj64E21rocsparse_complex_numIfEEEvi20rocsparse_direction_NS_24const_host_device_scalarIT2_EEPKiS8_PKS5_SA_S6_PS5_21rocsparse_index_base_b.uses_vcc, 1
	.set _ZN9rocsparseL19gebsrmvn_1xn_kernelILj128ELj2ELj64E21rocsparse_complex_numIfEEEvi20rocsparse_direction_NS_24const_host_device_scalarIT2_EEPKiS8_PKS5_SA_S6_PS5_21rocsparse_index_base_b.uses_flat_scratch, 0
	.set _ZN9rocsparseL19gebsrmvn_1xn_kernelILj128ELj2ELj64E21rocsparse_complex_numIfEEEvi20rocsparse_direction_NS_24const_host_device_scalarIT2_EEPKiS8_PKS5_SA_S6_PS5_21rocsparse_index_base_b.has_dyn_sized_stack, 0
	.set _ZN9rocsparseL19gebsrmvn_1xn_kernelILj128ELj2ELj64E21rocsparse_complex_numIfEEEvi20rocsparse_direction_NS_24const_host_device_scalarIT2_EEPKiS8_PKS5_SA_S6_PS5_21rocsparse_index_base_b.has_recursion, 0
	.set _ZN9rocsparseL19gebsrmvn_1xn_kernelILj128ELj2ELj64E21rocsparse_complex_numIfEEEvi20rocsparse_direction_NS_24const_host_device_scalarIT2_EEPKiS8_PKS5_SA_S6_PS5_21rocsparse_index_base_b.has_indirect_call, 0
	.section	.AMDGPU.csdata,"",@progbits
; Kernel info:
; codeLenInByte = 1040
; TotalNumSgprs: 15
; NumVgprs: 22
; ScratchSize: 0
; MemoryBound: 0
; FloatMode: 240
; IeeeMode: 1
; LDSByteSize: 0 bytes/workgroup (compile time only)
; SGPRBlocks: 0
; VGPRBlocks: 2
; NumSGPRsForWavesPerEU: 15
; NumVGPRsForWavesPerEU: 22
; Occupancy: 16
; WaveLimiterHint : 1
; COMPUTE_PGM_RSRC2:SCRATCH_EN: 0
; COMPUTE_PGM_RSRC2:USER_SGPR: 6
; COMPUTE_PGM_RSRC2:TRAP_HANDLER: 0
; COMPUTE_PGM_RSRC2:TGID_X_EN: 1
; COMPUTE_PGM_RSRC2:TGID_Y_EN: 0
; COMPUTE_PGM_RSRC2:TGID_Z_EN: 0
; COMPUTE_PGM_RSRC2:TIDIG_COMP_CNT: 0
	.section	.text._ZN9rocsparseL19gebsrmvn_1xn_kernelILj128ELj3ELj4E21rocsparse_complex_numIfEEEvi20rocsparse_direction_NS_24const_host_device_scalarIT2_EEPKiS8_PKS5_SA_S6_PS5_21rocsparse_index_base_b,"axG",@progbits,_ZN9rocsparseL19gebsrmvn_1xn_kernelILj128ELj3ELj4E21rocsparse_complex_numIfEEEvi20rocsparse_direction_NS_24const_host_device_scalarIT2_EEPKiS8_PKS5_SA_S6_PS5_21rocsparse_index_base_b,comdat
	.globl	_ZN9rocsparseL19gebsrmvn_1xn_kernelILj128ELj3ELj4E21rocsparse_complex_numIfEEEvi20rocsparse_direction_NS_24const_host_device_scalarIT2_EEPKiS8_PKS5_SA_S6_PS5_21rocsparse_index_base_b ; -- Begin function _ZN9rocsparseL19gebsrmvn_1xn_kernelILj128ELj3ELj4E21rocsparse_complex_numIfEEEvi20rocsparse_direction_NS_24const_host_device_scalarIT2_EEPKiS8_PKS5_SA_S6_PS5_21rocsparse_index_base_b
	.p2align	8
	.type	_ZN9rocsparseL19gebsrmvn_1xn_kernelILj128ELj3ELj4E21rocsparse_complex_numIfEEEvi20rocsparse_direction_NS_24const_host_device_scalarIT2_EEPKiS8_PKS5_SA_S6_PS5_21rocsparse_index_base_b,@function
_ZN9rocsparseL19gebsrmvn_1xn_kernelILj128ELj3ELj4E21rocsparse_complex_numIfEEEvi20rocsparse_direction_NS_24const_host_device_scalarIT2_EEPKiS8_PKS5_SA_S6_PS5_21rocsparse_index_base_b: ; @_ZN9rocsparseL19gebsrmvn_1xn_kernelILj128ELj3ELj4E21rocsparse_complex_numIfEEEvi20rocsparse_direction_NS_24const_host_device_scalarIT2_EEPKiS8_PKS5_SA_S6_PS5_21rocsparse_index_base_b
; %bb.0:
	s_clause 0x2
	s_load_dwordx2 s[8:9], s[4:5], 0x40
	s_load_dwordx2 s[0:1], s[4:5], 0x8
	;; [unrolled: 1-line block ×3, first 2 shown]
	s_add_u32 s7, s4, 8
	s_addc_u32 s10, s5, 0
	s_add_u32 s11, s4, 48
	s_addc_u32 s12, s5, 0
	s_waitcnt lgkmcnt(0)
	s_bitcmp1_b32 s9, 0
	s_cselect_b32 s0, s7, s0
	s_cselect_b32 s1, s10, s1
	v_mov_b32_e32 v1, s0
	v_mov_b32_e32 v2, s1
	s_cselect_b32 s0, s11, s2
	s_cselect_b32 s1, s12, s3
	flat_load_dwordx2 v[3:4], v[1:2]
	v_mov_b32_e32 v1, s0
	v_mov_b32_e32 v2, s1
	flat_load_dwordx2 v[1:2], v[1:2]
	s_waitcnt vmcnt(1) lgkmcnt(1)
	v_cmp_eq_f32_e32 vcc_lo, 0, v3
	v_cmp_eq_f32_e64 s0, 0, v4
	s_and_b32 s2, vcc_lo, s0
	s_mov_b32 s0, -1
	s_and_saveexec_b32 s1, s2
	s_cbranch_execz .LBB157_2
; %bb.1:
	s_waitcnt vmcnt(0) lgkmcnt(0)
	v_cmp_neq_f32_e32 vcc_lo, 1.0, v1
	v_cmp_neq_f32_e64 s0, 0, v2
	s_or_b32 s0, vcc_lo, s0
	s_orn2_b32 s0, s0, exec_lo
.LBB157_2:
	s_or_b32 exec_lo, exec_lo, s1
	s_and_saveexec_b32 s1, s0
	s_cbranch_execz .LBB157_13
; %bb.3:
	s_load_dword s0, s[4:5], 0x0
	v_lshrrev_b32_e32 v5, 2, v0
	v_lshl_or_b32 v5, s6, 5, v5
	s_waitcnt lgkmcnt(0)
	v_cmp_gt_i32_e32 vcc_lo, s0, v5
	s_and_b32 exec_lo, exec_lo, vcc_lo
	s_cbranch_execz .LBB157_13
; %bb.4:
	s_clause 0x1
	s_load_dwordx2 s[0:1], s[4:5], 0x10
	s_load_dwordx2 s[6:7], s[4:5], 0x38
	v_ashrrev_i32_e32 v6, 31, v5
	v_and_b32_e32 v0, 3, v0
	v_mov_b32_e32 v11, 0
	v_mov_b32_e32 v13, 0
	s_mov_b32 s9, exec_lo
	v_lshlrev_b64 v[7:8], 2, v[5:6]
	v_subrev_nc_u32_e32 v9, s8, v0
	s_waitcnt lgkmcnt(0)
	v_add_co_u32 v7, vcc_lo, s0, v7
	v_add_co_ci_u32_e64 v8, null, s1, v8, vcc_lo
	global_load_dwordx2 v[7:8], v[7:8], off
	s_waitcnt vmcnt(0)
	v_subrev_nc_u32_e32 v12, s8, v8
	v_add_nc_u32_e32 v7, v7, v9
	v_cmpx_lt_i32_e64 v7, v12
	s_cbranch_execz .LBB157_8
; %bb.5:
	s_clause 0x1
	s_load_dwordx4 s[0:3], s[4:5], 0x18
	s_load_dwordx2 s[4:5], s[4:5], 0x28
	v_mov_b32_e32 v10, 0
	v_lshl_add_u32 v9, v7, 1, v7
	s_mov_b32 s10, 0
	v_mov_b32_e32 v11, v10
	v_mov_b32_e32 v13, v10
.LBB157_6:                              ; =>This Inner Loop Header: Depth=1
	v_ashrrev_i32_e32 v8, 31, v7
	v_add_nc_u32_e32 v16, 1, v9
	v_mov_b32_e32 v17, v10
	v_add_nc_u32_e32 v18, 2, v9
	v_mov_b32_e32 v19, v10
	v_lshlrev_b64 v[14:15], 2, v[7:8]
	v_mov_b32_e32 v20, v10
	v_lshlrev_b64 v[16:17], 3, v[16:17]
	;; [unrolled: 2-line block ×3, first 2 shown]
	v_mov_b32_e32 v23, v10
	s_waitcnt lgkmcnt(0)
	v_add_co_u32 v14, vcc_lo, s0, v14
	v_add_co_ci_u32_e64 v15, null, s1, v15, vcc_lo
	v_add_nc_u32_e32 v7, 4, v7
	global_load_dword v8, v[14:15], off
	v_lshlrev_b64 v[14:15], 3, v[9:10]
	v_add_nc_u32_e32 v9, 12, v9
	v_add_co_u32 v14, vcc_lo, s2, v14
	v_add_co_ci_u32_e64 v15, null, s3, v15, vcc_lo
	v_add_co_u32 v16, vcc_lo, s2, v16
	v_add_co_ci_u32_e64 v17, null, s3, v17, vcc_lo
	;; [unrolled: 2-line block ×3, first 2 shown]
	s_clause 0x1
	global_load_dwordx2 v[14:15], v[14:15], off
	global_load_dwordx2 v[16:17], v[16:17], off
	s_waitcnt vmcnt(2)
	v_subrev_nc_u32_e32 v8, s8, v8
	v_lshl_add_u32 v19, v8, 1, v8
	v_lshlrev_b64 v[26:27], 3, v[19:20]
	v_add_nc_u32_e32 v20, 1, v19
	v_add_nc_u32_e32 v22, 2, v19
	v_lshlrev_b64 v[20:21], 3, v[20:21]
	v_add_co_u32 v18, vcc_lo, s4, v26
	v_add_co_ci_u32_e64 v19, null, s5, v27, vcc_lo
	v_lshlrev_b64 v[22:23], 3, v[22:23]
	v_add_co_u32 v20, vcc_lo, s4, v20
	global_load_dwordx2 v[18:19], v[18:19], off
	v_add_co_ci_u32_e64 v21, null, s5, v21, vcc_lo
	v_add_co_u32 v22, vcc_lo, s4, v22
	v_add_co_ci_u32_e64 v23, null, s5, v23, vcc_lo
	global_load_dwordx2 v[20:21], v[20:21], off
	global_load_dwordx2 v[24:25], v[24:25], off
	;; [unrolled: 1-line block ×3, first 2 shown]
	v_cmp_ge_i32_e32 vcc_lo, v7, v12
	s_or_b32 s10, vcc_lo, s10
	s_waitcnt vmcnt(3)
	v_fmac_f32_e32 v13, v14, v18
	v_fmac_f32_e32 v11, v15, v18
	v_fma_f32 v8, -v15, v19, v13
	v_fmac_f32_e32 v11, v14, v19
	s_waitcnt vmcnt(2)
	v_fmac_f32_e32 v8, v16, v20
	v_fmac_f32_e32 v11, v17, v20
	v_fma_f32 v8, -v17, v21, v8
	v_fmac_f32_e32 v11, v16, v21
	;; [unrolled: 5-line block ×3, first 2 shown]
	s_andn2_b32 exec_lo, exec_lo, s10
	s_cbranch_execnz .LBB157_6
; %bb.7:
	s_or_b32 exec_lo, exec_lo, s10
.LBB157_8:
	s_or_b32 exec_lo, exec_lo, s9
	v_mbcnt_lo_u32_b32 v7, -1, 0
	v_xor_b32_e32 v8, 2, v7
	v_xor_b32_e32 v10, 1, v7
	v_cmp_gt_i32_e32 vcc_lo, 32, v8
	v_cndmask_b32_e32 v8, v7, v8, vcc_lo
	v_cmp_gt_i32_e32 vcc_lo, 32, v10
	v_lshlrev_b32_e32 v8, 2, v8
	v_cndmask_b32_e32 v7, v7, v10, vcc_lo
	v_cmp_eq_u32_e32 vcc_lo, 3, v0
	ds_bpermute_b32 v9, v8, v13
	ds_bpermute_b32 v8, v8, v11
	v_lshlrev_b32_e32 v10, 2, v7
	s_waitcnt lgkmcnt(1)
	v_add_f32_e32 v7, v13, v9
	s_waitcnt lgkmcnt(0)
	v_add_f32_e32 v9, v11, v8
	ds_bpermute_b32 v8, v10, v7
	ds_bpermute_b32 v10, v10, v9
	s_and_b32 exec_lo, exec_lo, vcc_lo
	s_cbranch_execz .LBB157_13
; %bb.9:
	s_waitcnt lgkmcnt(0)
	v_add_f32_e32 v0, v9, v10
	v_add_f32_e32 v9, v7, v8
	v_cmp_eq_f32_e32 vcc_lo, 0, v1
	v_cmp_eq_f32_e64 s0, 0, v2
	v_lshlrev_b64 v[5:6], 3, v[5:6]
	v_mul_f32_e64 v7, v0, -v4
	v_mul_f32_e32 v8, v3, v0
	s_and_b32 s0, vcc_lo, s0
	v_fmac_f32_e32 v7, v3, v9
	v_fmac_f32_e32 v8, v4, v9
	s_and_saveexec_b32 s1, s0
	s_xor_b32 s0, exec_lo, s1
	s_cbranch_execz .LBB157_11
; %bb.10:
	v_add_co_u32 v0, vcc_lo, s6, v5
	v_add_co_ci_u32_e64 v1, null, s7, v6, vcc_lo
                                        ; implicit-def: $vgpr5_vgpr6
	global_store_dwordx2 v[0:1], v[7:8], off
                                        ; implicit-def: $vgpr1_vgpr2
                                        ; implicit-def: $vgpr7
.LBB157_11:
	s_andn2_saveexec_b32 s0, s0
	s_cbranch_execz .LBB157_13
; %bb.12:
	v_add_co_u32 v3, vcc_lo, s6, v5
	v_add_co_ci_u32_e64 v4, null, s7, v6, vcc_lo
	global_load_dwordx2 v[5:6], v[3:4], off
	s_waitcnt vmcnt(0)
	v_fmac_f32_e32 v7, v1, v5
	v_fmac_f32_e32 v8, v2, v5
	v_fma_f32 v7, -v2, v6, v7
	v_fmac_f32_e32 v8, v1, v6
	global_store_dwordx2 v[3:4], v[7:8], off
.LBB157_13:
	s_endpgm
	.section	.rodata,"a",@progbits
	.p2align	6, 0x0
	.amdhsa_kernel _ZN9rocsparseL19gebsrmvn_1xn_kernelILj128ELj3ELj4E21rocsparse_complex_numIfEEEvi20rocsparse_direction_NS_24const_host_device_scalarIT2_EEPKiS8_PKS5_SA_S6_PS5_21rocsparse_index_base_b
		.amdhsa_group_segment_fixed_size 0
		.amdhsa_private_segment_fixed_size 0
		.amdhsa_kernarg_size 72
		.amdhsa_user_sgpr_count 6
		.amdhsa_user_sgpr_private_segment_buffer 1
		.amdhsa_user_sgpr_dispatch_ptr 0
		.amdhsa_user_sgpr_queue_ptr 0
		.amdhsa_user_sgpr_kernarg_segment_ptr 1
		.amdhsa_user_sgpr_dispatch_id 0
		.amdhsa_user_sgpr_flat_scratch_init 0
		.amdhsa_user_sgpr_private_segment_size 0
		.amdhsa_wavefront_size32 1
		.amdhsa_uses_dynamic_stack 0
		.amdhsa_system_sgpr_private_segment_wavefront_offset 0
		.amdhsa_system_sgpr_workgroup_id_x 1
		.amdhsa_system_sgpr_workgroup_id_y 0
		.amdhsa_system_sgpr_workgroup_id_z 0
		.amdhsa_system_sgpr_workgroup_info 0
		.amdhsa_system_vgpr_workitem_id 0
		.amdhsa_next_free_vgpr 28
		.amdhsa_next_free_sgpr 13
		.amdhsa_reserve_vcc 1
		.amdhsa_reserve_flat_scratch 0
		.amdhsa_float_round_mode_32 0
		.amdhsa_float_round_mode_16_64 0
		.amdhsa_float_denorm_mode_32 3
		.amdhsa_float_denorm_mode_16_64 3
		.amdhsa_dx10_clamp 1
		.amdhsa_ieee_mode 1
		.amdhsa_fp16_overflow 0
		.amdhsa_workgroup_processor_mode 1
		.amdhsa_memory_ordered 1
		.amdhsa_forward_progress 1
		.amdhsa_shared_vgpr_count 0
		.amdhsa_exception_fp_ieee_invalid_op 0
		.amdhsa_exception_fp_denorm_src 0
		.amdhsa_exception_fp_ieee_div_zero 0
		.amdhsa_exception_fp_ieee_overflow 0
		.amdhsa_exception_fp_ieee_underflow 0
		.amdhsa_exception_fp_ieee_inexact 0
		.amdhsa_exception_int_div_zero 0
	.end_amdhsa_kernel
	.section	.text._ZN9rocsparseL19gebsrmvn_1xn_kernelILj128ELj3ELj4E21rocsparse_complex_numIfEEEvi20rocsparse_direction_NS_24const_host_device_scalarIT2_EEPKiS8_PKS5_SA_S6_PS5_21rocsparse_index_base_b,"axG",@progbits,_ZN9rocsparseL19gebsrmvn_1xn_kernelILj128ELj3ELj4E21rocsparse_complex_numIfEEEvi20rocsparse_direction_NS_24const_host_device_scalarIT2_EEPKiS8_PKS5_SA_S6_PS5_21rocsparse_index_base_b,comdat
.Lfunc_end157:
	.size	_ZN9rocsparseL19gebsrmvn_1xn_kernelILj128ELj3ELj4E21rocsparse_complex_numIfEEEvi20rocsparse_direction_NS_24const_host_device_scalarIT2_EEPKiS8_PKS5_SA_S6_PS5_21rocsparse_index_base_b, .Lfunc_end157-_ZN9rocsparseL19gebsrmvn_1xn_kernelILj128ELj3ELj4E21rocsparse_complex_numIfEEEvi20rocsparse_direction_NS_24const_host_device_scalarIT2_EEPKiS8_PKS5_SA_S6_PS5_21rocsparse_index_base_b
                                        ; -- End function
	.set _ZN9rocsparseL19gebsrmvn_1xn_kernelILj128ELj3ELj4E21rocsparse_complex_numIfEEEvi20rocsparse_direction_NS_24const_host_device_scalarIT2_EEPKiS8_PKS5_SA_S6_PS5_21rocsparse_index_base_b.num_vgpr, 28
	.set _ZN9rocsparseL19gebsrmvn_1xn_kernelILj128ELj3ELj4E21rocsparse_complex_numIfEEEvi20rocsparse_direction_NS_24const_host_device_scalarIT2_EEPKiS8_PKS5_SA_S6_PS5_21rocsparse_index_base_b.num_agpr, 0
	.set _ZN9rocsparseL19gebsrmvn_1xn_kernelILj128ELj3ELj4E21rocsparse_complex_numIfEEEvi20rocsparse_direction_NS_24const_host_device_scalarIT2_EEPKiS8_PKS5_SA_S6_PS5_21rocsparse_index_base_b.numbered_sgpr, 13
	.set _ZN9rocsparseL19gebsrmvn_1xn_kernelILj128ELj3ELj4E21rocsparse_complex_numIfEEEvi20rocsparse_direction_NS_24const_host_device_scalarIT2_EEPKiS8_PKS5_SA_S6_PS5_21rocsparse_index_base_b.num_named_barrier, 0
	.set _ZN9rocsparseL19gebsrmvn_1xn_kernelILj128ELj3ELj4E21rocsparse_complex_numIfEEEvi20rocsparse_direction_NS_24const_host_device_scalarIT2_EEPKiS8_PKS5_SA_S6_PS5_21rocsparse_index_base_b.private_seg_size, 0
	.set _ZN9rocsparseL19gebsrmvn_1xn_kernelILj128ELj3ELj4E21rocsparse_complex_numIfEEEvi20rocsparse_direction_NS_24const_host_device_scalarIT2_EEPKiS8_PKS5_SA_S6_PS5_21rocsparse_index_base_b.uses_vcc, 1
	.set _ZN9rocsparseL19gebsrmvn_1xn_kernelILj128ELj3ELj4E21rocsparse_complex_numIfEEEvi20rocsparse_direction_NS_24const_host_device_scalarIT2_EEPKiS8_PKS5_SA_S6_PS5_21rocsparse_index_base_b.uses_flat_scratch, 0
	.set _ZN9rocsparseL19gebsrmvn_1xn_kernelILj128ELj3ELj4E21rocsparse_complex_numIfEEEvi20rocsparse_direction_NS_24const_host_device_scalarIT2_EEPKiS8_PKS5_SA_S6_PS5_21rocsparse_index_base_b.has_dyn_sized_stack, 0
	.set _ZN9rocsparseL19gebsrmvn_1xn_kernelILj128ELj3ELj4E21rocsparse_complex_numIfEEEvi20rocsparse_direction_NS_24const_host_device_scalarIT2_EEPKiS8_PKS5_SA_S6_PS5_21rocsparse_index_base_b.has_recursion, 0
	.set _ZN9rocsparseL19gebsrmvn_1xn_kernelILj128ELj3ELj4E21rocsparse_complex_numIfEEEvi20rocsparse_direction_NS_24const_host_device_scalarIT2_EEPKiS8_PKS5_SA_S6_PS5_21rocsparse_index_base_b.has_indirect_call, 0
	.section	.AMDGPU.csdata,"",@progbits
; Kernel info:
; codeLenInByte = 1004
; TotalNumSgprs: 15
; NumVgprs: 28
; ScratchSize: 0
; MemoryBound: 0
; FloatMode: 240
; IeeeMode: 1
; LDSByteSize: 0 bytes/workgroup (compile time only)
; SGPRBlocks: 0
; VGPRBlocks: 3
; NumSGPRsForWavesPerEU: 15
; NumVGPRsForWavesPerEU: 28
; Occupancy: 16
; WaveLimiterHint : 1
; COMPUTE_PGM_RSRC2:SCRATCH_EN: 0
; COMPUTE_PGM_RSRC2:USER_SGPR: 6
; COMPUTE_PGM_RSRC2:TRAP_HANDLER: 0
; COMPUTE_PGM_RSRC2:TGID_X_EN: 1
; COMPUTE_PGM_RSRC2:TGID_Y_EN: 0
; COMPUTE_PGM_RSRC2:TGID_Z_EN: 0
; COMPUTE_PGM_RSRC2:TIDIG_COMP_CNT: 0
	.section	.text._ZN9rocsparseL19gebsrmvn_1xn_kernelILj128ELj3ELj8E21rocsparse_complex_numIfEEEvi20rocsparse_direction_NS_24const_host_device_scalarIT2_EEPKiS8_PKS5_SA_S6_PS5_21rocsparse_index_base_b,"axG",@progbits,_ZN9rocsparseL19gebsrmvn_1xn_kernelILj128ELj3ELj8E21rocsparse_complex_numIfEEEvi20rocsparse_direction_NS_24const_host_device_scalarIT2_EEPKiS8_PKS5_SA_S6_PS5_21rocsparse_index_base_b,comdat
	.globl	_ZN9rocsparseL19gebsrmvn_1xn_kernelILj128ELj3ELj8E21rocsparse_complex_numIfEEEvi20rocsparse_direction_NS_24const_host_device_scalarIT2_EEPKiS8_PKS5_SA_S6_PS5_21rocsparse_index_base_b ; -- Begin function _ZN9rocsparseL19gebsrmvn_1xn_kernelILj128ELj3ELj8E21rocsparse_complex_numIfEEEvi20rocsparse_direction_NS_24const_host_device_scalarIT2_EEPKiS8_PKS5_SA_S6_PS5_21rocsparse_index_base_b
	.p2align	8
	.type	_ZN9rocsparseL19gebsrmvn_1xn_kernelILj128ELj3ELj8E21rocsparse_complex_numIfEEEvi20rocsparse_direction_NS_24const_host_device_scalarIT2_EEPKiS8_PKS5_SA_S6_PS5_21rocsparse_index_base_b,@function
_ZN9rocsparseL19gebsrmvn_1xn_kernelILj128ELj3ELj8E21rocsparse_complex_numIfEEEvi20rocsparse_direction_NS_24const_host_device_scalarIT2_EEPKiS8_PKS5_SA_S6_PS5_21rocsparse_index_base_b: ; @_ZN9rocsparseL19gebsrmvn_1xn_kernelILj128ELj3ELj8E21rocsparse_complex_numIfEEEvi20rocsparse_direction_NS_24const_host_device_scalarIT2_EEPKiS8_PKS5_SA_S6_PS5_21rocsparse_index_base_b
; %bb.0:
	s_clause 0x2
	s_load_dwordx2 s[8:9], s[4:5], 0x40
	s_load_dwordx2 s[0:1], s[4:5], 0x8
	;; [unrolled: 1-line block ×3, first 2 shown]
	s_add_u32 s7, s4, 8
	s_addc_u32 s10, s5, 0
	s_add_u32 s11, s4, 48
	s_addc_u32 s12, s5, 0
	s_waitcnt lgkmcnt(0)
	s_bitcmp1_b32 s9, 0
	s_cselect_b32 s0, s7, s0
	s_cselect_b32 s1, s10, s1
	v_mov_b32_e32 v1, s0
	v_mov_b32_e32 v2, s1
	s_cselect_b32 s0, s11, s2
	s_cselect_b32 s1, s12, s3
	flat_load_dwordx2 v[3:4], v[1:2]
	v_mov_b32_e32 v1, s0
	v_mov_b32_e32 v2, s1
	flat_load_dwordx2 v[1:2], v[1:2]
	s_waitcnt vmcnt(1) lgkmcnt(1)
	v_cmp_eq_f32_e32 vcc_lo, 0, v3
	v_cmp_eq_f32_e64 s0, 0, v4
	s_and_b32 s2, vcc_lo, s0
	s_mov_b32 s0, -1
	s_and_saveexec_b32 s1, s2
	s_cbranch_execz .LBB158_2
; %bb.1:
	s_waitcnt vmcnt(0) lgkmcnt(0)
	v_cmp_neq_f32_e32 vcc_lo, 1.0, v1
	v_cmp_neq_f32_e64 s0, 0, v2
	s_or_b32 s0, vcc_lo, s0
	s_orn2_b32 s0, s0, exec_lo
.LBB158_2:
	s_or_b32 exec_lo, exec_lo, s1
	s_and_saveexec_b32 s1, s0
	s_cbranch_execz .LBB158_13
; %bb.3:
	s_load_dword s0, s[4:5], 0x0
	v_lshrrev_b32_e32 v5, 3, v0
	v_lshl_or_b32 v5, s6, 4, v5
	s_waitcnt lgkmcnt(0)
	v_cmp_gt_i32_e32 vcc_lo, s0, v5
	s_and_b32 exec_lo, exec_lo, vcc_lo
	s_cbranch_execz .LBB158_13
; %bb.4:
	s_clause 0x1
	s_load_dwordx2 s[0:1], s[4:5], 0x10
	s_load_dwordx2 s[6:7], s[4:5], 0x38
	v_ashrrev_i32_e32 v6, 31, v5
	v_and_b32_e32 v0, 7, v0
	v_mov_b32_e32 v11, 0
	v_mov_b32_e32 v13, 0
	s_mov_b32 s9, exec_lo
	v_lshlrev_b64 v[7:8], 2, v[5:6]
	v_subrev_nc_u32_e32 v9, s8, v0
	s_waitcnt lgkmcnt(0)
	v_add_co_u32 v7, vcc_lo, s0, v7
	v_add_co_ci_u32_e64 v8, null, s1, v8, vcc_lo
	global_load_dwordx2 v[7:8], v[7:8], off
	s_waitcnt vmcnt(0)
	v_subrev_nc_u32_e32 v12, s8, v8
	v_add_nc_u32_e32 v7, v7, v9
	v_cmpx_lt_i32_e64 v7, v12
	s_cbranch_execz .LBB158_8
; %bb.5:
	s_clause 0x1
	s_load_dwordx4 s[0:3], s[4:5], 0x18
	s_load_dwordx2 s[4:5], s[4:5], 0x28
	v_mov_b32_e32 v10, 0
	v_lshl_add_u32 v9, v7, 1, v7
	s_mov_b32 s10, 0
	v_mov_b32_e32 v11, v10
	v_mov_b32_e32 v13, v10
.LBB158_6:                              ; =>This Inner Loop Header: Depth=1
	v_ashrrev_i32_e32 v8, 31, v7
	v_add_nc_u32_e32 v16, 1, v9
	v_mov_b32_e32 v17, v10
	v_add_nc_u32_e32 v18, 2, v9
	v_mov_b32_e32 v19, v10
	v_lshlrev_b64 v[14:15], 2, v[7:8]
	v_mov_b32_e32 v20, v10
	v_lshlrev_b64 v[16:17], 3, v[16:17]
	;; [unrolled: 2-line block ×3, first 2 shown]
	v_mov_b32_e32 v23, v10
	s_waitcnt lgkmcnt(0)
	v_add_co_u32 v14, vcc_lo, s0, v14
	v_add_co_ci_u32_e64 v15, null, s1, v15, vcc_lo
	v_add_nc_u32_e32 v7, 8, v7
	global_load_dword v8, v[14:15], off
	v_lshlrev_b64 v[14:15], 3, v[9:10]
	v_add_nc_u32_e32 v9, 24, v9
	v_add_co_u32 v14, vcc_lo, s2, v14
	v_add_co_ci_u32_e64 v15, null, s3, v15, vcc_lo
	v_add_co_u32 v16, vcc_lo, s2, v16
	v_add_co_ci_u32_e64 v17, null, s3, v17, vcc_lo
	;; [unrolled: 2-line block ×3, first 2 shown]
	s_clause 0x1
	global_load_dwordx2 v[14:15], v[14:15], off
	global_load_dwordx2 v[16:17], v[16:17], off
	s_waitcnt vmcnt(2)
	v_subrev_nc_u32_e32 v8, s8, v8
	v_lshl_add_u32 v19, v8, 1, v8
	v_lshlrev_b64 v[26:27], 3, v[19:20]
	v_add_nc_u32_e32 v20, 1, v19
	v_add_nc_u32_e32 v22, 2, v19
	v_lshlrev_b64 v[20:21], 3, v[20:21]
	v_add_co_u32 v18, vcc_lo, s4, v26
	v_add_co_ci_u32_e64 v19, null, s5, v27, vcc_lo
	v_lshlrev_b64 v[22:23], 3, v[22:23]
	v_add_co_u32 v20, vcc_lo, s4, v20
	global_load_dwordx2 v[18:19], v[18:19], off
	v_add_co_ci_u32_e64 v21, null, s5, v21, vcc_lo
	v_add_co_u32 v22, vcc_lo, s4, v22
	v_add_co_ci_u32_e64 v23, null, s5, v23, vcc_lo
	global_load_dwordx2 v[20:21], v[20:21], off
	global_load_dwordx2 v[24:25], v[24:25], off
	;; [unrolled: 1-line block ×3, first 2 shown]
	v_cmp_ge_i32_e32 vcc_lo, v7, v12
	s_or_b32 s10, vcc_lo, s10
	s_waitcnt vmcnt(3)
	v_fmac_f32_e32 v13, v14, v18
	v_fmac_f32_e32 v11, v15, v18
	v_fma_f32 v8, -v15, v19, v13
	v_fmac_f32_e32 v11, v14, v19
	s_waitcnt vmcnt(2)
	v_fmac_f32_e32 v8, v16, v20
	v_fmac_f32_e32 v11, v17, v20
	v_fma_f32 v8, -v17, v21, v8
	v_fmac_f32_e32 v11, v16, v21
	s_waitcnt vmcnt(0)
	v_fmac_f32_e32 v8, v24, v22
	v_fmac_f32_e32 v11, v25, v22
	v_fma_f32 v13, -v25, v23, v8
	v_fmac_f32_e32 v11, v24, v23
	s_andn2_b32 exec_lo, exec_lo, s10
	s_cbranch_execnz .LBB158_6
; %bb.7:
	s_or_b32 exec_lo, exec_lo, s10
.LBB158_8:
	s_or_b32 exec_lo, exec_lo, s9
	v_mbcnt_lo_u32_b32 v7, -1, 0
	v_xor_b32_e32 v8, 4, v7
	v_xor_b32_e32 v10, 2, v7
	;; [unrolled: 1-line block ×3, first 2 shown]
	v_cmp_gt_i32_e32 vcc_lo, 32, v8
	v_cndmask_b32_e32 v8, v7, v8, vcc_lo
	v_cmp_gt_i32_e32 vcc_lo, 32, v10
	v_lshlrev_b32_e32 v8, 2, v8
	v_cndmask_b32_e32 v10, v7, v10, vcc_lo
	v_cmp_gt_i32_e32 vcc_lo, 32, v12
	ds_bpermute_b32 v9, v8, v13
	ds_bpermute_b32 v8, v8, v11
	v_lshlrev_b32_e32 v10, 2, v10
	v_cndmask_b32_e32 v7, v7, v12, vcc_lo
	v_cmp_eq_u32_e32 vcc_lo, 7, v0
	v_lshlrev_b32_e32 v12, 2, v7
	s_waitcnt lgkmcnt(1)
	v_add_f32_e32 v9, v13, v9
	s_waitcnt lgkmcnt(0)
	v_add_f32_e32 v8, v11, v8
	ds_bpermute_b32 v11, v10, v9
	ds_bpermute_b32 v10, v10, v8
	s_waitcnt lgkmcnt(1)
	v_add_f32_e32 v7, v9, v11
	s_waitcnt lgkmcnt(0)
	v_add_f32_e32 v9, v8, v10
	ds_bpermute_b32 v8, v12, v7
	ds_bpermute_b32 v10, v12, v9
	s_and_b32 exec_lo, exec_lo, vcc_lo
	s_cbranch_execz .LBB158_13
; %bb.9:
	s_waitcnt lgkmcnt(0)
	v_add_f32_e32 v0, v9, v10
	v_add_f32_e32 v9, v7, v8
	v_cmp_eq_f32_e32 vcc_lo, 0, v1
	v_cmp_eq_f32_e64 s0, 0, v2
	v_lshlrev_b64 v[5:6], 3, v[5:6]
	v_mul_f32_e64 v7, v0, -v4
	v_mul_f32_e32 v8, v3, v0
	s_and_b32 s0, vcc_lo, s0
	v_fmac_f32_e32 v7, v3, v9
	v_fmac_f32_e32 v8, v4, v9
	s_and_saveexec_b32 s1, s0
	s_xor_b32 s0, exec_lo, s1
	s_cbranch_execz .LBB158_11
; %bb.10:
	v_add_co_u32 v0, vcc_lo, s6, v5
	v_add_co_ci_u32_e64 v1, null, s7, v6, vcc_lo
                                        ; implicit-def: $vgpr5_vgpr6
	global_store_dwordx2 v[0:1], v[7:8], off
                                        ; implicit-def: $vgpr1_vgpr2
                                        ; implicit-def: $vgpr7
.LBB158_11:
	s_andn2_saveexec_b32 s0, s0
	s_cbranch_execz .LBB158_13
; %bb.12:
	v_add_co_u32 v3, vcc_lo, s6, v5
	v_add_co_ci_u32_e64 v4, null, s7, v6, vcc_lo
	global_load_dwordx2 v[5:6], v[3:4], off
	s_waitcnt vmcnt(0)
	v_fmac_f32_e32 v7, v1, v5
	v_fmac_f32_e32 v8, v2, v5
	v_fma_f32 v7, -v2, v6, v7
	v_fmac_f32_e32 v8, v1, v6
	global_store_dwordx2 v[3:4], v[7:8], off
.LBB158_13:
	s_endpgm
	.section	.rodata,"a",@progbits
	.p2align	6, 0x0
	.amdhsa_kernel _ZN9rocsparseL19gebsrmvn_1xn_kernelILj128ELj3ELj8E21rocsparse_complex_numIfEEEvi20rocsparse_direction_NS_24const_host_device_scalarIT2_EEPKiS8_PKS5_SA_S6_PS5_21rocsparse_index_base_b
		.amdhsa_group_segment_fixed_size 0
		.amdhsa_private_segment_fixed_size 0
		.amdhsa_kernarg_size 72
		.amdhsa_user_sgpr_count 6
		.amdhsa_user_sgpr_private_segment_buffer 1
		.amdhsa_user_sgpr_dispatch_ptr 0
		.amdhsa_user_sgpr_queue_ptr 0
		.amdhsa_user_sgpr_kernarg_segment_ptr 1
		.amdhsa_user_sgpr_dispatch_id 0
		.amdhsa_user_sgpr_flat_scratch_init 0
		.amdhsa_user_sgpr_private_segment_size 0
		.amdhsa_wavefront_size32 1
		.amdhsa_uses_dynamic_stack 0
		.amdhsa_system_sgpr_private_segment_wavefront_offset 0
		.amdhsa_system_sgpr_workgroup_id_x 1
		.amdhsa_system_sgpr_workgroup_id_y 0
		.amdhsa_system_sgpr_workgroup_id_z 0
		.amdhsa_system_sgpr_workgroup_info 0
		.amdhsa_system_vgpr_workitem_id 0
		.amdhsa_next_free_vgpr 28
		.amdhsa_next_free_sgpr 13
		.amdhsa_reserve_vcc 1
		.amdhsa_reserve_flat_scratch 0
		.amdhsa_float_round_mode_32 0
		.amdhsa_float_round_mode_16_64 0
		.amdhsa_float_denorm_mode_32 3
		.amdhsa_float_denorm_mode_16_64 3
		.amdhsa_dx10_clamp 1
		.amdhsa_ieee_mode 1
		.amdhsa_fp16_overflow 0
		.amdhsa_workgroup_processor_mode 1
		.amdhsa_memory_ordered 1
		.amdhsa_forward_progress 1
		.amdhsa_shared_vgpr_count 0
		.amdhsa_exception_fp_ieee_invalid_op 0
		.amdhsa_exception_fp_denorm_src 0
		.amdhsa_exception_fp_ieee_div_zero 0
		.amdhsa_exception_fp_ieee_overflow 0
		.amdhsa_exception_fp_ieee_underflow 0
		.amdhsa_exception_fp_ieee_inexact 0
		.amdhsa_exception_int_div_zero 0
	.end_amdhsa_kernel
	.section	.text._ZN9rocsparseL19gebsrmvn_1xn_kernelILj128ELj3ELj8E21rocsparse_complex_numIfEEEvi20rocsparse_direction_NS_24const_host_device_scalarIT2_EEPKiS8_PKS5_SA_S6_PS5_21rocsparse_index_base_b,"axG",@progbits,_ZN9rocsparseL19gebsrmvn_1xn_kernelILj128ELj3ELj8E21rocsparse_complex_numIfEEEvi20rocsparse_direction_NS_24const_host_device_scalarIT2_EEPKiS8_PKS5_SA_S6_PS5_21rocsparse_index_base_b,comdat
.Lfunc_end158:
	.size	_ZN9rocsparseL19gebsrmvn_1xn_kernelILj128ELj3ELj8E21rocsparse_complex_numIfEEEvi20rocsparse_direction_NS_24const_host_device_scalarIT2_EEPKiS8_PKS5_SA_S6_PS5_21rocsparse_index_base_b, .Lfunc_end158-_ZN9rocsparseL19gebsrmvn_1xn_kernelILj128ELj3ELj8E21rocsparse_complex_numIfEEEvi20rocsparse_direction_NS_24const_host_device_scalarIT2_EEPKiS8_PKS5_SA_S6_PS5_21rocsparse_index_base_b
                                        ; -- End function
	.set _ZN9rocsparseL19gebsrmvn_1xn_kernelILj128ELj3ELj8E21rocsparse_complex_numIfEEEvi20rocsparse_direction_NS_24const_host_device_scalarIT2_EEPKiS8_PKS5_SA_S6_PS5_21rocsparse_index_base_b.num_vgpr, 28
	.set _ZN9rocsparseL19gebsrmvn_1xn_kernelILj128ELj3ELj8E21rocsparse_complex_numIfEEEvi20rocsparse_direction_NS_24const_host_device_scalarIT2_EEPKiS8_PKS5_SA_S6_PS5_21rocsparse_index_base_b.num_agpr, 0
	.set _ZN9rocsparseL19gebsrmvn_1xn_kernelILj128ELj3ELj8E21rocsparse_complex_numIfEEEvi20rocsparse_direction_NS_24const_host_device_scalarIT2_EEPKiS8_PKS5_SA_S6_PS5_21rocsparse_index_base_b.numbered_sgpr, 13
	.set _ZN9rocsparseL19gebsrmvn_1xn_kernelILj128ELj3ELj8E21rocsparse_complex_numIfEEEvi20rocsparse_direction_NS_24const_host_device_scalarIT2_EEPKiS8_PKS5_SA_S6_PS5_21rocsparse_index_base_b.num_named_barrier, 0
	.set _ZN9rocsparseL19gebsrmvn_1xn_kernelILj128ELj3ELj8E21rocsparse_complex_numIfEEEvi20rocsparse_direction_NS_24const_host_device_scalarIT2_EEPKiS8_PKS5_SA_S6_PS5_21rocsparse_index_base_b.private_seg_size, 0
	.set _ZN9rocsparseL19gebsrmvn_1xn_kernelILj128ELj3ELj8E21rocsparse_complex_numIfEEEvi20rocsparse_direction_NS_24const_host_device_scalarIT2_EEPKiS8_PKS5_SA_S6_PS5_21rocsparse_index_base_b.uses_vcc, 1
	.set _ZN9rocsparseL19gebsrmvn_1xn_kernelILj128ELj3ELj8E21rocsparse_complex_numIfEEEvi20rocsparse_direction_NS_24const_host_device_scalarIT2_EEPKiS8_PKS5_SA_S6_PS5_21rocsparse_index_base_b.uses_flat_scratch, 0
	.set _ZN9rocsparseL19gebsrmvn_1xn_kernelILj128ELj3ELj8E21rocsparse_complex_numIfEEEvi20rocsparse_direction_NS_24const_host_device_scalarIT2_EEPKiS8_PKS5_SA_S6_PS5_21rocsparse_index_base_b.has_dyn_sized_stack, 0
	.set _ZN9rocsparseL19gebsrmvn_1xn_kernelILj128ELj3ELj8E21rocsparse_complex_numIfEEEvi20rocsparse_direction_NS_24const_host_device_scalarIT2_EEPKiS8_PKS5_SA_S6_PS5_21rocsparse_index_base_b.has_recursion, 0
	.set _ZN9rocsparseL19gebsrmvn_1xn_kernelILj128ELj3ELj8E21rocsparse_complex_numIfEEEvi20rocsparse_direction_NS_24const_host_device_scalarIT2_EEPKiS8_PKS5_SA_S6_PS5_21rocsparse_index_base_b.has_indirect_call, 0
	.section	.AMDGPU.csdata,"",@progbits
; Kernel info:
; codeLenInByte = 1052
; TotalNumSgprs: 15
; NumVgprs: 28
; ScratchSize: 0
; MemoryBound: 0
; FloatMode: 240
; IeeeMode: 1
; LDSByteSize: 0 bytes/workgroup (compile time only)
; SGPRBlocks: 0
; VGPRBlocks: 3
; NumSGPRsForWavesPerEU: 15
; NumVGPRsForWavesPerEU: 28
; Occupancy: 16
; WaveLimiterHint : 1
; COMPUTE_PGM_RSRC2:SCRATCH_EN: 0
; COMPUTE_PGM_RSRC2:USER_SGPR: 6
; COMPUTE_PGM_RSRC2:TRAP_HANDLER: 0
; COMPUTE_PGM_RSRC2:TGID_X_EN: 1
; COMPUTE_PGM_RSRC2:TGID_Y_EN: 0
; COMPUTE_PGM_RSRC2:TGID_Z_EN: 0
; COMPUTE_PGM_RSRC2:TIDIG_COMP_CNT: 0
	.section	.text._ZN9rocsparseL19gebsrmvn_1xn_kernelILj128ELj3ELj16E21rocsparse_complex_numIfEEEvi20rocsparse_direction_NS_24const_host_device_scalarIT2_EEPKiS8_PKS5_SA_S6_PS5_21rocsparse_index_base_b,"axG",@progbits,_ZN9rocsparseL19gebsrmvn_1xn_kernelILj128ELj3ELj16E21rocsparse_complex_numIfEEEvi20rocsparse_direction_NS_24const_host_device_scalarIT2_EEPKiS8_PKS5_SA_S6_PS5_21rocsparse_index_base_b,comdat
	.globl	_ZN9rocsparseL19gebsrmvn_1xn_kernelILj128ELj3ELj16E21rocsparse_complex_numIfEEEvi20rocsparse_direction_NS_24const_host_device_scalarIT2_EEPKiS8_PKS5_SA_S6_PS5_21rocsparse_index_base_b ; -- Begin function _ZN9rocsparseL19gebsrmvn_1xn_kernelILj128ELj3ELj16E21rocsparse_complex_numIfEEEvi20rocsparse_direction_NS_24const_host_device_scalarIT2_EEPKiS8_PKS5_SA_S6_PS5_21rocsparse_index_base_b
	.p2align	8
	.type	_ZN9rocsparseL19gebsrmvn_1xn_kernelILj128ELj3ELj16E21rocsparse_complex_numIfEEEvi20rocsparse_direction_NS_24const_host_device_scalarIT2_EEPKiS8_PKS5_SA_S6_PS5_21rocsparse_index_base_b,@function
_ZN9rocsparseL19gebsrmvn_1xn_kernelILj128ELj3ELj16E21rocsparse_complex_numIfEEEvi20rocsparse_direction_NS_24const_host_device_scalarIT2_EEPKiS8_PKS5_SA_S6_PS5_21rocsparse_index_base_b: ; @_ZN9rocsparseL19gebsrmvn_1xn_kernelILj128ELj3ELj16E21rocsparse_complex_numIfEEEvi20rocsparse_direction_NS_24const_host_device_scalarIT2_EEPKiS8_PKS5_SA_S6_PS5_21rocsparse_index_base_b
; %bb.0:
	s_clause 0x2
	s_load_dwordx2 s[8:9], s[4:5], 0x40
	s_load_dwordx2 s[0:1], s[4:5], 0x8
	;; [unrolled: 1-line block ×3, first 2 shown]
	s_add_u32 s7, s4, 8
	s_addc_u32 s10, s5, 0
	s_add_u32 s11, s4, 48
	s_addc_u32 s12, s5, 0
	s_waitcnt lgkmcnt(0)
	s_bitcmp1_b32 s9, 0
	s_cselect_b32 s0, s7, s0
	s_cselect_b32 s1, s10, s1
	v_mov_b32_e32 v1, s0
	v_mov_b32_e32 v2, s1
	s_cselect_b32 s0, s11, s2
	s_cselect_b32 s1, s12, s3
	flat_load_dwordx2 v[3:4], v[1:2]
	v_mov_b32_e32 v1, s0
	v_mov_b32_e32 v2, s1
	flat_load_dwordx2 v[1:2], v[1:2]
	s_waitcnt vmcnt(1) lgkmcnt(1)
	v_cmp_eq_f32_e32 vcc_lo, 0, v3
	v_cmp_eq_f32_e64 s0, 0, v4
	s_and_b32 s2, vcc_lo, s0
	s_mov_b32 s0, -1
	s_and_saveexec_b32 s1, s2
	s_cbranch_execz .LBB159_2
; %bb.1:
	s_waitcnt vmcnt(0) lgkmcnt(0)
	v_cmp_neq_f32_e32 vcc_lo, 1.0, v1
	v_cmp_neq_f32_e64 s0, 0, v2
	s_or_b32 s0, vcc_lo, s0
	s_orn2_b32 s0, s0, exec_lo
.LBB159_2:
	s_or_b32 exec_lo, exec_lo, s1
	s_and_saveexec_b32 s1, s0
	s_cbranch_execz .LBB159_13
; %bb.3:
	s_load_dword s0, s[4:5], 0x0
	v_lshrrev_b32_e32 v5, 4, v0
	v_lshl_or_b32 v5, s6, 3, v5
	s_waitcnt lgkmcnt(0)
	v_cmp_gt_i32_e32 vcc_lo, s0, v5
	s_and_b32 exec_lo, exec_lo, vcc_lo
	s_cbranch_execz .LBB159_13
; %bb.4:
	s_clause 0x1
	s_load_dwordx2 s[0:1], s[4:5], 0x10
	s_load_dwordx2 s[6:7], s[4:5], 0x38
	v_ashrrev_i32_e32 v6, 31, v5
	v_and_b32_e32 v0, 15, v0
	v_mov_b32_e32 v11, 0
	v_mov_b32_e32 v12, 0
	s_mov_b32 s9, exec_lo
	v_lshlrev_b64 v[7:8], 2, v[5:6]
	v_subrev_nc_u32_e32 v9, s8, v0
	s_waitcnt lgkmcnt(0)
	v_add_co_u32 v7, vcc_lo, s0, v7
	v_add_co_ci_u32_e64 v8, null, s1, v8, vcc_lo
	global_load_dwordx2 v[7:8], v[7:8], off
	s_waitcnt vmcnt(0)
	v_subrev_nc_u32_e32 v13, s8, v8
	v_add_nc_u32_e32 v7, v7, v9
	v_cmpx_lt_i32_e64 v7, v13
	s_cbranch_execz .LBB159_8
; %bb.5:
	s_clause 0x1
	s_load_dwordx4 s[0:3], s[4:5], 0x18
	s_load_dwordx2 s[4:5], s[4:5], 0x28
	v_mov_b32_e32 v10, 0
	v_lshl_add_u32 v9, v7, 1, v7
	s_mov_b32 s10, 0
	v_mov_b32_e32 v11, v10
	v_mov_b32_e32 v12, v10
.LBB159_6:                              ; =>This Inner Loop Header: Depth=1
	v_ashrrev_i32_e32 v8, 31, v7
	v_add_nc_u32_e32 v16, 1, v9
	v_mov_b32_e32 v17, v10
	v_add_nc_u32_e32 v18, 2, v9
	v_mov_b32_e32 v19, v10
	v_lshlrev_b64 v[14:15], 2, v[7:8]
	v_mov_b32_e32 v20, v10
	v_lshlrev_b64 v[16:17], 3, v[16:17]
	;; [unrolled: 2-line block ×3, first 2 shown]
	v_mov_b32_e32 v23, v10
	s_waitcnt lgkmcnt(0)
	v_add_co_u32 v14, vcc_lo, s0, v14
	v_add_co_ci_u32_e64 v15, null, s1, v15, vcc_lo
	v_add_nc_u32_e32 v7, 16, v7
	global_load_dword v8, v[14:15], off
	v_lshlrev_b64 v[14:15], 3, v[9:10]
	v_add_nc_u32_e32 v9, 48, v9
	v_add_co_u32 v14, vcc_lo, s2, v14
	v_add_co_ci_u32_e64 v15, null, s3, v15, vcc_lo
	v_add_co_u32 v16, vcc_lo, s2, v16
	v_add_co_ci_u32_e64 v17, null, s3, v17, vcc_lo
	;; [unrolled: 2-line block ×3, first 2 shown]
	s_clause 0x1
	global_load_dwordx2 v[14:15], v[14:15], off
	global_load_dwordx2 v[16:17], v[16:17], off
	s_waitcnt vmcnt(2)
	v_subrev_nc_u32_e32 v8, s8, v8
	v_lshl_add_u32 v19, v8, 1, v8
	v_lshlrev_b64 v[26:27], 3, v[19:20]
	v_add_nc_u32_e32 v20, 1, v19
	v_add_nc_u32_e32 v22, 2, v19
	v_lshlrev_b64 v[20:21], 3, v[20:21]
	v_add_co_u32 v18, vcc_lo, s4, v26
	v_add_co_ci_u32_e64 v19, null, s5, v27, vcc_lo
	v_lshlrev_b64 v[22:23], 3, v[22:23]
	v_add_co_u32 v20, vcc_lo, s4, v20
	global_load_dwordx2 v[18:19], v[18:19], off
	v_add_co_ci_u32_e64 v21, null, s5, v21, vcc_lo
	v_add_co_u32 v22, vcc_lo, s4, v22
	v_add_co_ci_u32_e64 v23, null, s5, v23, vcc_lo
	global_load_dwordx2 v[20:21], v[20:21], off
	global_load_dwordx2 v[24:25], v[24:25], off
	;; [unrolled: 1-line block ×3, first 2 shown]
	v_cmp_ge_i32_e32 vcc_lo, v7, v13
	s_or_b32 s10, vcc_lo, s10
	s_waitcnt vmcnt(3)
	v_fmac_f32_e32 v12, v14, v18
	v_fmac_f32_e32 v11, v15, v18
	v_fma_f32 v8, -v15, v19, v12
	v_fmac_f32_e32 v11, v14, v19
	s_waitcnt vmcnt(2)
	v_fmac_f32_e32 v8, v16, v20
	v_fmac_f32_e32 v11, v17, v20
	v_fma_f32 v8, -v17, v21, v8
	v_fmac_f32_e32 v11, v16, v21
	;; [unrolled: 5-line block ×3, first 2 shown]
	s_andn2_b32 exec_lo, exec_lo, s10
	s_cbranch_execnz .LBB159_6
; %bb.7:
	s_or_b32 exec_lo, exec_lo, s10
.LBB159_8:
	s_or_b32 exec_lo, exec_lo, s9
	v_mbcnt_lo_u32_b32 v7, -1, 0
	v_xor_b32_e32 v8, 8, v7
	v_xor_b32_e32 v10, 4, v7
	v_cmp_gt_i32_e32 vcc_lo, 32, v8
	v_cndmask_b32_e32 v8, v7, v8, vcc_lo
	v_cmp_gt_i32_e32 vcc_lo, 32, v10
	v_lshlrev_b32_e32 v8, 2, v8
	v_cndmask_b32_e32 v10, v7, v10, vcc_lo
	ds_bpermute_b32 v9, v8, v12
	ds_bpermute_b32 v8, v8, v11
	v_lshlrev_b32_e32 v10, 2, v10
	s_waitcnt lgkmcnt(1)
	v_add_f32_e32 v9, v12, v9
	s_waitcnt lgkmcnt(0)
	v_add_f32_e32 v8, v11, v8
	v_xor_b32_e32 v12, 2, v7
	ds_bpermute_b32 v11, v10, v9
	ds_bpermute_b32 v10, v10, v8
	v_cmp_gt_i32_e32 vcc_lo, 32, v12
	v_cndmask_b32_e32 v12, v7, v12, vcc_lo
	v_lshlrev_b32_e32 v12, 2, v12
	s_waitcnt lgkmcnt(1)
	v_add_f32_e32 v9, v9, v11
	s_waitcnt lgkmcnt(0)
	v_add_f32_e32 v8, v8, v10
	ds_bpermute_b32 v10, v12, v9
	ds_bpermute_b32 v11, v12, v8
	v_xor_b32_e32 v12, 1, v7
	v_cmp_gt_i32_e32 vcc_lo, 32, v12
	v_cndmask_b32_e32 v7, v7, v12, vcc_lo
	v_cmp_eq_u32_e32 vcc_lo, 15, v0
	v_lshlrev_b32_e32 v12, 2, v7
	s_waitcnt lgkmcnt(1)
	v_add_f32_e32 v7, v9, v10
	s_waitcnt lgkmcnt(0)
	v_add_f32_e32 v9, v8, v11
	ds_bpermute_b32 v8, v12, v7
	ds_bpermute_b32 v10, v12, v9
	s_and_b32 exec_lo, exec_lo, vcc_lo
	s_cbranch_execz .LBB159_13
; %bb.9:
	s_waitcnt lgkmcnt(0)
	v_add_f32_e32 v0, v9, v10
	v_add_f32_e32 v9, v7, v8
	v_cmp_eq_f32_e32 vcc_lo, 0, v1
	v_cmp_eq_f32_e64 s0, 0, v2
	v_lshlrev_b64 v[5:6], 3, v[5:6]
	v_mul_f32_e64 v7, v0, -v4
	v_mul_f32_e32 v8, v3, v0
	s_and_b32 s0, vcc_lo, s0
	v_fmac_f32_e32 v7, v3, v9
	v_fmac_f32_e32 v8, v4, v9
	s_and_saveexec_b32 s1, s0
	s_xor_b32 s0, exec_lo, s1
	s_cbranch_execz .LBB159_11
; %bb.10:
	v_add_co_u32 v0, vcc_lo, s6, v5
	v_add_co_ci_u32_e64 v1, null, s7, v6, vcc_lo
                                        ; implicit-def: $vgpr5_vgpr6
	global_store_dwordx2 v[0:1], v[7:8], off
                                        ; implicit-def: $vgpr1_vgpr2
                                        ; implicit-def: $vgpr7
.LBB159_11:
	s_andn2_saveexec_b32 s0, s0
	s_cbranch_execz .LBB159_13
; %bb.12:
	v_add_co_u32 v3, vcc_lo, s6, v5
	v_add_co_ci_u32_e64 v4, null, s7, v6, vcc_lo
	global_load_dwordx2 v[5:6], v[3:4], off
	s_waitcnt vmcnt(0)
	v_fmac_f32_e32 v7, v1, v5
	v_fmac_f32_e32 v8, v2, v5
	v_fma_f32 v7, -v2, v6, v7
	v_fmac_f32_e32 v8, v1, v6
	global_store_dwordx2 v[3:4], v[7:8], off
.LBB159_13:
	s_endpgm
	.section	.rodata,"a",@progbits
	.p2align	6, 0x0
	.amdhsa_kernel _ZN9rocsparseL19gebsrmvn_1xn_kernelILj128ELj3ELj16E21rocsparse_complex_numIfEEEvi20rocsparse_direction_NS_24const_host_device_scalarIT2_EEPKiS8_PKS5_SA_S6_PS5_21rocsparse_index_base_b
		.amdhsa_group_segment_fixed_size 0
		.amdhsa_private_segment_fixed_size 0
		.amdhsa_kernarg_size 72
		.amdhsa_user_sgpr_count 6
		.amdhsa_user_sgpr_private_segment_buffer 1
		.amdhsa_user_sgpr_dispatch_ptr 0
		.amdhsa_user_sgpr_queue_ptr 0
		.amdhsa_user_sgpr_kernarg_segment_ptr 1
		.amdhsa_user_sgpr_dispatch_id 0
		.amdhsa_user_sgpr_flat_scratch_init 0
		.amdhsa_user_sgpr_private_segment_size 0
		.amdhsa_wavefront_size32 1
		.amdhsa_uses_dynamic_stack 0
		.amdhsa_system_sgpr_private_segment_wavefront_offset 0
		.amdhsa_system_sgpr_workgroup_id_x 1
		.amdhsa_system_sgpr_workgroup_id_y 0
		.amdhsa_system_sgpr_workgroup_id_z 0
		.amdhsa_system_sgpr_workgroup_info 0
		.amdhsa_system_vgpr_workitem_id 0
		.amdhsa_next_free_vgpr 28
		.amdhsa_next_free_sgpr 13
		.amdhsa_reserve_vcc 1
		.amdhsa_reserve_flat_scratch 0
		.amdhsa_float_round_mode_32 0
		.amdhsa_float_round_mode_16_64 0
		.amdhsa_float_denorm_mode_32 3
		.amdhsa_float_denorm_mode_16_64 3
		.amdhsa_dx10_clamp 1
		.amdhsa_ieee_mode 1
		.amdhsa_fp16_overflow 0
		.amdhsa_workgroup_processor_mode 1
		.amdhsa_memory_ordered 1
		.amdhsa_forward_progress 1
		.amdhsa_shared_vgpr_count 0
		.amdhsa_exception_fp_ieee_invalid_op 0
		.amdhsa_exception_fp_denorm_src 0
		.amdhsa_exception_fp_ieee_div_zero 0
		.amdhsa_exception_fp_ieee_overflow 0
		.amdhsa_exception_fp_ieee_underflow 0
		.amdhsa_exception_fp_ieee_inexact 0
		.amdhsa_exception_int_div_zero 0
	.end_amdhsa_kernel
	.section	.text._ZN9rocsparseL19gebsrmvn_1xn_kernelILj128ELj3ELj16E21rocsparse_complex_numIfEEEvi20rocsparse_direction_NS_24const_host_device_scalarIT2_EEPKiS8_PKS5_SA_S6_PS5_21rocsparse_index_base_b,"axG",@progbits,_ZN9rocsparseL19gebsrmvn_1xn_kernelILj128ELj3ELj16E21rocsparse_complex_numIfEEEvi20rocsparse_direction_NS_24const_host_device_scalarIT2_EEPKiS8_PKS5_SA_S6_PS5_21rocsparse_index_base_b,comdat
.Lfunc_end159:
	.size	_ZN9rocsparseL19gebsrmvn_1xn_kernelILj128ELj3ELj16E21rocsparse_complex_numIfEEEvi20rocsparse_direction_NS_24const_host_device_scalarIT2_EEPKiS8_PKS5_SA_S6_PS5_21rocsparse_index_base_b, .Lfunc_end159-_ZN9rocsparseL19gebsrmvn_1xn_kernelILj128ELj3ELj16E21rocsparse_complex_numIfEEEvi20rocsparse_direction_NS_24const_host_device_scalarIT2_EEPKiS8_PKS5_SA_S6_PS5_21rocsparse_index_base_b
                                        ; -- End function
	.set _ZN9rocsparseL19gebsrmvn_1xn_kernelILj128ELj3ELj16E21rocsparse_complex_numIfEEEvi20rocsparse_direction_NS_24const_host_device_scalarIT2_EEPKiS8_PKS5_SA_S6_PS5_21rocsparse_index_base_b.num_vgpr, 28
	.set _ZN9rocsparseL19gebsrmvn_1xn_kernelILj128ELj3ELj16E21rocsparse_complex_numIfEEEvi20rocsparse_direction_NS_24const_host_device_scalarIT2_EEPKiS8_PKS5_SA_S6_PS5_21rocsparse_index_base_b.num_agpr, 0
	.set _ZN9rocsparseL19gebsrmvn_1xn_kernelILj128ELj3ELj16E21rocsparse_complex_numIfEEEvi20rocsparse_direction_NS_24const_host_device_scalarIT2_EEPKiS8_PKS5_SA_S6_PS5_21rocsparse_index_base_b.numbered_sgpr, 13
	.set _ZN9rocsparseL19gebsrmvn_1xn_kernelILj128ELj3ELj16E21rocsparse_complex_numIfEEEvi20rocsparse_direction_NS_24const_host_device_scalarIT2_EEPKiS8_PKS5_SA_S6_PS5_21rocsparse_index_base_b.num_named_barrier, 0
	.set _ZN9rocsparseL19gebsrmvn_1xn_kernelILj128ELj3ELj16E21rocsparse_complex_numIfEEEvi20rocsparse_direction_NS_24const_host_device_scalarIT2_EEPKiS8_PKS5_SA_S6_PS5_21rocsparse_index_base_b.private_seg_size, 0
	.set _ZN9rocsparseL19gebsrmvn_1xn_kernelILj128ELj3ELj16E21rocsparse_complex_numIfEEEvi20rocsparse_direction_NS_24const_host_device_scalarIT2_EEPKiS8_PKS5_SA_S6_PS5_21rocsparse_index_base_b.uses_vcc, 1
	.set _ZN9rocsparseL19gebsrmvn_1xn_kernelILj128ELj3ELj16E21rocsparse_complex_numIfEEEvi20rocsparse_direction_NS_24const_host_device_scalarIT2_EEPKiS8_PKS5_SA_S6_PS5_21rocsparse_index_base_b.uses_flat_scratch, 0
	.set _ZN9rocsparseL19gebsrmvn_1xn_kernelILj128ELj3ELj16E21rocsparse_complex_numIfEEEvi20rocsparse_direction_NS_24const_host_device_scalarIT2_EEPKiS8_PKS5_SA_S6_PS5_21rocsparse_index_base_b.has_dyn_sized_stack, 0
	.set _ZN9rocsparseL19gebsrmvn_1xn_kernelILj128ELj3ELj16E21rocsparse_complex_numIfEEEvi20rocsparse_direction_NS_24const_host_device_scalarIT2_EEPKiS8_PKS5_SA_S6_PS5_21rocsparse_index_base_b.has_recursion, 0
	.set _ZN9rocsparseL19gebsrmvn_1xn_kernelILj128ELj3ELj16E21rocsparse_complex_numIfEEEvi20rocsparse_direction_NS_24const_host_device_scalarIT2_EEPKiS8_PKS5_SA_S6_PS5_21rocsparse_index_base_b.has_indirect_call, 0
	.section	.AMDGPU.csdata,"",@progbits
; Kernel info:
; codeLenInByte = 1100
; TotalNumSgprs: 15
; NumVgprs: 28
; ScratchSize: 0
; MemoryBound: 0
; FloatMode: 240
; IeeeMode: 1
; LDSByteSize: 0 bytes/workgroup (compile time only)
; SGPRBlocks: 0
; VGPRBlocks: 3
; NumSGPRsForWavesPerEU: 15
; NumVGPRsForWavesPerEU: 28
; Occupancy: 16
; WaveLimiterHint : 1
; COMPUTE_PGM_RSRC2:SCRATCH_EN: 0
; COMPUTE_PGM_RSRC2:USER_SGPR: 6
; COMPUTE_PGM_RSRC2:TRAP_HANDLER: 0
; COMPUTE_PGM_RSRC2:TGID_X_EN: 1
; COMPUTE_PGM_RSRC2:TGID_Y_EN: 0
; COMPUTE_PGM_RSRC2:TGID_Z_EN: 0
; COMPUTE_PGM_RSRC2:TIDIG_COMP_CNT: 0
	.section	.text._ZN9rocsparseL19gebsrmvn_1xn_kernelILj128ELj3ELj32E21rocsparse_complex_numIfEEEvi20rocsparse_direction_NS_24const_host_device_scalarIT2_EEPKiS8_PKS5_SA_S6_PS5_21rocsparse_index_base_b,"axG",@progbits,_ZN9rocsparseL19gebsrmvn_1xn_kernelILj128ELj3ELj32E21rocsparse_complex_numIfEEEvi20rocsparse_direction_NS_24const_host_device_scalarIT2_EEPKiS8_PKS5_SA_S6_PS5_21rocsparse_index_base_b,comdat
	.globl	_ZN9rocsparseL19gebsrmvn_1xn_kernelILj128ELj3ELj32E21rocsparse_complex_numIfEEEvi20rocsparse_direction_NS_24const_host_device_scalarIT2_EEPKiS8_PKS5_SA_S6_PS5_21rocsparse_index_base_b ; -- Begin function _ZN9rocsparseL19gebsrmvn_1xn_kernelILj128ELj3ELj32E21rocsparse_complex_numIfEEEvi20rocsparse_direction_NS_24const_host_device_scalarIT2_EEPKiS8_PKS5_SA_S6_PS5_21rocsparse_index_base_b
	.p2align	8
	.type	_ZN9rocsparseL19gebsrmvn_1xn_kernelILj128ELj3ELj32E21rocsparse_complex_numIfEEEvi20rocsparse_direction_NS_24const_host_device_scalarIT2_EEPKiS8_PKS5_SA_S6_PS5_21rocsparse_index_base_b,@function
_ZN9rocsparseL19gebsrmvn_1xn_kernelILj128ELj3ELj32E21rocsparse_complex_numIfEEEvi20rocsparse_direction_NS_24const_host_device_scalarIT2_EEPKiS8_PKS5_SA_S6_PS5_21rocsparse_index_base_b: ; @_ZN9rocsparseL19gebsrmvn_1xn_kernelILj128ELj3ELj32E21rocsparse_complex_numIfEEEvi20rocsparse_direction_NS_24const_host_device_scalarIT2_EEPKiS8_PKS5_SA_S6_PS5_21rocsparse_index_base_b
; %bb.0:
	s_clause 0x2
	s_load_dwordx2 s[8:9], s[4:5], 0x40
	s_load_dwordx2 s[0:1], s[4:5], 0x8
	;; [unrolled: 1-line block ×3, first 2 shown]
	s_add_u32 s7, s4, 8
	s_addc_u32 s10, s5, 0
	s_add_u32 s11, s4, 48
	s_addc_u32 s12, s5, 0
	s_waitcnt lgkmcnt(0)
	s_bitcmp1_b32 s9, 0
	s_cselect_b32 s0, s7, s0
	s_cselect_b32 s1, s10, s1
	v_mov_b32_e32 v1, s0
	v_mov_b32_e32 v2, s1
	s_cselect_b32 s0, s11, s2
	s_cselect_b32 s1, s12, s3
	flat_load_dwordx2 v[3:4], v[1:2]
	v_mov_b32_e32 v1, s0
	v_mov_b32_e32 v2, s1
	flat_load_dwordx2 v[1:2], v[1:2]
	s_waitcnt vmcnt(1) lgkmcnt(1)
	v_cmp_eq_f32_e32 vcc_lo, 0, v3
	v_cmp_eq_f32_e64 s0, 0, v4
	s_and_b32 s2, vcc_lo, s0
	s_mov_b32 s0, -1
	s_and_saveexec_b32 s1, s2
	s_cbranch_execz .LBB160_2
; %bb.1:
	s_waitcnt vmcnt(0) lgkmcnt(0)
	v_cmp_neq_f32_e32 vcc_lo, 1.0, v1
	v_cmp_neq_f32_e64 s0, 0, v2
	s_or_b32 s0, vcc_lo, s0
	s_orn2_b32 s0, s0, exec_lo
.LBB160_2:
	s_or_b32 exec_lo, exec_lo, s1
	s_and_saveexec_b32 s1, s0
	s_cbranch_execz .LBB160_13
; %bb.3:
	s_load_dword s0, s[4:5], 0x0
	v_lshrrev_b32_e32 v5, 5, v0
	v_lshl_or_b32 v5, s6, 2, v5
	s_waitcnt lgkmcnt(0)
	v_cmp_gt_i32_e32 vcc_lo, s0, v5
	s_and_b32 exec_lo, exec_lo, vcc_lo
	s_cbranch_execz .LBB160_13
; %bb.4:
	s_clause 0x1
	s_load_dwordx2 s[0:1], s[4:5], 0x10
	s_load_dwordx2 s[6:7], s[4:5], 0x38
	v_ashrrev_i32_e32 v6, 31, v5
	v_and_b32_e32 v0, 31, v0
	v_mov_b32_e32 v11, 0
	v_mov_b32_e32 v12, 0
	s_mov_b32 s9, exec_lo
	v_lshlrev_b64 v[7:8], 2, v[5:6]
	v_subrev_nc_u32_e32 v9, s8, v0
	s_waitcnt lgkmcnt(0)
	v_add_co_u32 v7, vcc_lo, s0, v7
	v_add_co_ci_u32_e64 v8, null, s1, v8, vcc_lo
	global_load_dwordx2 v[7:8], v[7:8], off
	s_waitcnt vmcnt(0)
	v_subrev_nc_u32_e32 v13, s8, v8
	v_add_nc_u32_e32 v7, v7, v9
	v_cmpx_lt_i32_e64 v7, v13
	s_cbranch_execz .LBB160_8
; %bb.5:
	s_clause 0x1
	s_load_dwordx4 s[0:3], s[4:5], 0x18
	s_load_dwordx2 s[4:5], s[4:5], 0x28
	v_mov_b32_e32 v10, 0
	v_lshl_add_u32 v9, v7, 1, v7
	s_mov_b32 s10, 0
	v_mov_b32_e32 v11, v10
	v_mov_b32_e32 v12, v10
.LBB160_6:                              ; =>This Inner Loop Header: Depth=1
	v_ashrrev_i32_e32 v8, 31, v7
	v_add_nc_u32_e32 v16, 1, v9
	v_mov_b32_e32 v17, v10
	v_add_nc_u32_e32 v18, 2, v9
	v_mov_b32_e32 v19, v10
	v_lshlrev_b64 v[14:15], 2, v[7:8]
	v_mov_b32_e32 v20, v10
	v_lshlrev_b64 v[16:17], 3, v[16:17]
	;; [unrolled: 2-line block ×3, first 2 shown]
	v_mov_b32_e32 v23, v10
	s_waitcnt lgkmcnt(0)
	v_add_co_u32 v14, vcc_lo, s0, v14
	v_add_co_ci_u32_e64 v15, null, s1, v15, vcc_lo
	v_add_nc_u32_e32 v7, 32, v7
	global_load_dword v8, v[14:15], off
	v_lshlrev_b64 v[14:15], 3, v[9:10]
	v_add_nc_u32_e32 v9, 0x60, v9
	v_add_co_u32 v14, vcc_lo, s2, v14
	v_add_co_ci_u32_e64 v15, null, s3, v15, vcc_lo
	v_add_co_u32 v16, vcc_lo, s2, v16
	v_add_co_ci_u32_e64 v17, null, s3, v17, vcc_lo
	v_add_co_u32 v24, vcc_lo, s2, v18
	v_add_co_ci_u32_e64 v25, null, s3, v19, vcc_lo
	s_clause 0x1
	global_load_dwordx2 v[14:15], v[14:15], off
	global_load_dwordx2 v[16:17], v[16:17], off
	s_waitcnt vmcnt(2)
	v_subrev_nc_u32_e32 v8, s8, v8
	v_lshl_add_u32 v19, v8, 1, v8
	v_lshlrev_b64 v[26:27], 3, v[19:20]
	v_add_nc_u32_e32 v20, 1, v19
	v_add_nc_u32_e32 v22, 2, v19
	v_lshlrev_b64 v[20:21], 3, v[20:21]
	v_add_co_u32 v18, vcc_lo, s4, v26
	v_add_co_ci_u32_e64 v19, null, s5, v27, vcc_lo
	v_lshlrev_b64 v[22:23], 3, v[22:23]
	v_add_co_u32 v20, vcc_lo, s4, v20
	global_load_dwordx2 v[18:19], v[18:19], off
	v_add_co_ci_u32_e64 v21, null, s5, v21, vcc_lo
	v_add_co_u32 v22, vcc_lo, s4, v22
	v_add_co_ci_u32_e64 v23, null, s5, v23, vcc_lo
	global_load_dwordx2 v[20:21], v[20:21], off
	global_load_dwordx2 v[24:25], v[24:25], off
	;; [unrolled: 1-line block ×3, first 2 shown]
	v_cmp_ge_i32_e32 vcc_lo, v7, v13
	s_or_b32 s10, vcc_lo, s10
	s_waitcnt vmcnt(3)
	v_fmac_f32_e32 v12, v14, v18
	v_fmac_f32_e32 v11, v15, v18
	v_fma_f32 v8, -v15, v19, v12
	v_fmac_f32_e32 v11, v14, v19
	s_waitcnt vmcnt(2)
	v_fmac_f32_e32 v8, v16, v20
	v_fmac_f32_e32 v11, v17, v20
	v_fma_f32 v8, -v17, v21, v8
	v_fmac_f32_e32 v11, v16, v21
	s_waitcnt vmcnt(0)
	v_fmac_f32_e32 v8, v24, v22
	v_fmac_f32_e32 v11, v25, v22
	v_fma_f32 v12, -v25, v23, v8
	v_fmac_f32_e32 v11, v24, v23
	s_andn2_b32 exec_lo, exec_lo, s10
	s_cbranch_execnz .LBB160_6
; %bb.7:
	s_or_b32 exec_lo, exec_lo, s10
.LBB160_8:
	s_or_b32 exec_lo, exec_lo, s9
	v_mbcnt_lo_u32_b32 v7, -1, 0
	v_xor_b32_e32 v8, 16, v7
	v_xor_b32_e32 v10, 8, v7
	v_cmp_gt_i32_e32 vcc_lo, 32, v8
	v_cndmask_b32_e32 v8, v7, v8, vcc_lo
	v_cmp_gt_i32_e32 vcc_lo, 32, v10
	v_lshlrev_b32_e32 v8, 2, v8
	v_cndmask_b32_e32 v10, v7, v10, vcc_lo
	ds_bpermute_b32 v9, v8, v12
	ds_bpermute_b32 v8, v8, v11
	v_lshlrev_b32_e32 v10, 2, v10
	s_waitcnt lgkmcnt(1)
	v_add_f32_e32 v9, v12, v9
	s_waitcnt lgkmcnt(0)
	v_add_f32_e32 v8, v11, v8
	v_xor_b32_e32 v12, 4, v7
	ds_bpermute_b32 v11, v10, v9
	ds_bpermute_b32 v10, v10, v8
	v_cmp_gt_i32_e32 vcc_lo, 32, v12
	v_cndmask_b32_e32 v12, v7, v12, vcc_lo
	v_lshlrev_b32_e32 v12, 2, v12
	s_waitcnt lgkmcnt(1)
	v_add_f32_e32 v9, v9, v11
	s_waitcnt lgkmcnt(0)
	v_add_f32_e32 v8, v8, v10
	ds_bpermute_b32 v10, v12, v9
	ds_bpermute_b32 v11, v12, v8
	v_xor_b32_e32 v12, 2, v7
	v_cmp_gt_i32_e32 vcc_lo, 32, v12
	v_cndmask_b32_e32 v12, v7, v12, vcc_lo
	v_lshlrev_b32_e32 v12, 2, v12
	s_waitcnt lgkmcnt(1)
	v_add_f32_e32 v9, v9, v10
	s_waitcnt lgkmcnt(0)
	v_add_f32_e32 v8, v8, v11
	ds_bpermute_b32 v10, v12, v9
	ds_bpermute_b32 v11, v12, v8
	v_xor_b32_e32 v12, 1, v7
	v_cmp_gt_i32_e32 vcc_lo, 32, v12
	v_cndmask_b32_e32 v7, v7, v12, vcc_lo
	v_cmp_eq_u32_e32 vcc_lo, 31, v0
	v_lshlrev_b32_e32 v12, 2, v7
	s_waitcnt lgkmcnt(1)
	v_add_f32_e32 v7, v9, v10
	s_waitcnt lgkmcnt(0)
	v_add_f32_e32 v9, v8, v11
	ds_bpermute_b32 v8, v12, v7
	ds_bpermute_b32 v10, v12, v9
	s_and_b32 exec_lo, exec_lo, vcc_lo
	s_cbranch_execz .LBB160_13
; %bb.9:
	s_waitcnt lgkmcnt(0)
	v_add_f32_e32 v0, v9, v10
	v_add_f32_e32 v9, v7, v8
	v_cmp_eq_f32_e32 vcc_lo, 0, v1
	v_cmp_eq_f32_e64 s0, 0, v2
	v_lshlrev_b64 v[5:6], 3, v[5:6]
	v_mul_f32_e64 v7, v0, -v4
	v_mul_f32_e32 v8, v3, v0
	s_and_b32 s0, vcc_lo, s0
	v_fmac_f32_e32 v7, v3, v9
	v_fmac_f32_e32 v8, v4, v9
	s_and_saveexec_b32 s1, s0
	s_xor_b32 s0, exec_lo, s1
	s_cbranch_execz .LBB160_11
; %bb.10:
	v_add_co_u32 v0, vcc_lo, s6, v5
	v_add_co_ci_u32_e64 v1, null, s7, v6, vcc_lo
                                        ; implicit-def: $vgpr5_vgpr6
	global_store_dwordx2 v[0:1], v[7:8], off
                                        ; implicit-def: $vgpr1_vgpr2
                                        ; implicit-def: $vgpr7
.LBB160_11:
	s_andn2_saveexec_b32 s0, s0
	s_cbranch_execz .LBB160_13
; %bb.12:
	v_add_co_u32 v3, vcc_lo, s6, v5
	v_add_co_ci_u32_e64 v4, null, s7, v6, vcc_lo
	global_load_dwordx2 v[5:6], v[3:4], off
	s_waitcnt vmcnt(0)
	v_fmac_f32_e32 v7, v1, v5
	v_fmac_f32_e32 v8, v2, v5
	v_fma_f32 v7, -v2, v6, v7
	v_fmac_f32_e32 v8, v1, v6
	global_store_dwordx2 v[3:4], v[7:8], off
.LBB160_13:
	s_endpgm
	.section	.rodata,"a",@progbits
	.p2align	6, 0x0
	.amdhsa_kernel _ZN9rocsparseL19gebsrmvn_1xn_kernelILj128ELj3ELj32E21rocsparse_complex_numIfEEEvi20rocsparse_direction_NS_24const_host_device_scalarIT2_EEPKiS8_PKS5_SA_S6_PS5_21rocsparse_index_base_b
		.amdhsa_group_segment_fixed_size 0
		.amdhsa_private_segment_fixed_size 0
		.amdhsa_kernarg_size 72
		.amdhsa_user_sgpr_count 6
		.amdhsa_user_sgpr_private_segment_buffer 1
		.amdhsa_user_sgpr_dispatch_ptr 0
		.amdhsa_user_sgpr_queue_ptr 0
		.amdhsa_user_sgpr_kernarg_segment_ptr 1
		.amdhsa_user_sgpr_dispatch_id 0
		.amdhsa_user_sgpr_flat_scratch_init 0
		.amdhsa_user_sgpr_private_segment_size 0
		.amdhsa_wavefront_size32 1
		.amdhsa_uses_dynamic_stack 0
		.amdhsa_system_sgpr_private_segment_wavefront_offset 0
		.amdhsa_system_sgpr_workgroup_id_x 1
		.amdhsa_system_sgpr_workgroup_id_y 0
		.amdhsa_system_sgpr_workgroup_id_z 0
		.amdhsa_system_sgpr_workgroup_info 0
		.amdhsa_system_vgpr_workitem_id 0
		.amdhsa_next_free_vgpr 28
		.amdhsa_next_free_sgpr 13
		.amdhsa_reserve_vcc 1
		.amdhsa_reserve_flat_scratch 0
		.amdhsa_float_round_mode_32 0
		.amdhsa_float_round_mode_16_64 0
		.amdhsa_float_denorm_mode_32 3
		.amdhsa_float_denorm_mode_16_64 3
		.amdhsa_dx10_clamp 1
		.amdhsa_ieee_mode 1
		.amdhsa_fp16_overflow 0
		.amdhsa_workgroup_processor_mode 1
		.amdhsa_memory_ordered 1
		.amdhsa_forward_progress 1
		.amdhsa_shared_vgpr_count 0
		.amdhsa_exception_fp_ieee_invalid_op 0
		.amdhsa_exception_fp_denorm_src 0
		.amdhsa_exception_fp_ieee_div_zero 0
		.amdhsa_exception_fp_ieee_overflow 0
		.amdhsa_exception_fp_ieee_underflow 0
		.amdhsa_exception_fp_ieee_inexact 0
		.amdhsa_exception_int_div_zero 0
	.end_amdhsa_kernel
	.section	.text._ZN9rocsparseL19gebsrmvn_1xn_kernelILj128ELj3ELj32E21rocsparse_complex_numIfEEEvi20rocsparse_direction_NS_24const_host_device_scalarIT2_EEPKiS8_PKS5_SA_S6_PS5_21rocsparse_index_base_b,"axG",@progbits,_ZN9rocsparseL19gebsrmvn_1xn_kernelILj128ELj3ELj32E21rocsparse_complex_numIfEEEvi20rocsparse_direction_NS_24const_host_device_scalarIT2_EEPKiS8_PKS5_SA_S6_PS5_21rocsparse_index_base_b,comdat
.Lfunc_end160:
	.size	_ZN9rocsparseL19gebsrmvn_1xn_kernelILj128ELj3ELj32E21rocsparse_complex_numIfEEEvi20rocsparse_direction_NS_24const_host_device_scalarIT2_EEPKiS8_PKS5_SA_S6_PS5_21rocsparse_index_base_b, .Lfunc_end160-_ZN9rocsparseL19gebsrmvn_1xn_kernelILj128ELj3ELj32E21rocsparse_complex_numIfEEEvi20rocsparse_direction_NS_24const_host_device_scalarIT2_EEPKiS8_PKS5_SA_S6_PS5_21rocsparse_index_base_b
                                        ; -- End function
	.set _ZN9rocsparseL19gebsrmvn_1xn_kernelILj128ELj3ELj32E21rocsparse_complex_numIfEEEvi20rocsparse_direction_NS_24const_host_device_scalarIT2_EEPKiS8_PKS5_SA_S6_PS5_21rocsparse_index_base_b.num_vgpr, 28
	.set _ZN9rocsparseL19gebsrmvn_1xn_kernelILj128ELj3ELj32E21rocsparse_complex_numIfEEEvi20rocsparse_direction_NS_24const_host_device_scalarIT2_EEPKiS8_PKS5_SA_S6_PS5_21rocsparse_index_base_b.num_agpr, 0
	.set _ZN9rocsparseL19gebsrmvn_1xn_kernelILj128ELj3ELj32E21rocsparse_complex_numIfEEEvi20rocsparse_direction_NS_24const_host_device_scalarIT2_EEPKiS8_PKS5_SA_S6_PS5_21rocsparse_index_base_b.numbered_sgpr, 13
	.set _ZN9rocsparseL19gebsrmvn_1xn_kernelILj128ELj3ELj32E21rocsparse_complex_numIfEEEvi20rocsparse_direction_NS_24const_host_device_scalarIT2_EEPKiS8_PKS5_SA_S6_PS5_21rocsparse_index_base_b.num_named_barrier, 0
	.set _ZN9rocsparseL19gebsrmvn_1xn_kernelILj128ELj3ELj32E21rocsparse_complex_numIfEEEvi20rocsparse_direction_NS_24const_host_device_scalarIT2_EEPKiS8_PKS5_SA_S6_PS5_21rocsparse_index_base_b.private_seg_size, 0
	.set _ZN9rocsparseL19gebsrmvn_1xn_kernelILj128ELj3ELj32E21rocsparse_complex_numIfEEEvi20rocsparse_direction_NS_24const_host_device_scalarIT2_EEPKiS8_PKS5_SA_S6_PS5_21rocsparse_index_base_b.uses_vcc, 1
	.set _ZN9rocsparseL19gebsrmvn_1xn_kernelILj128ELj3ELj32E21rocsparse_complex_numIfEEEvi20rocsparse_direction_NS_24const_host_device_scalarIT2_EEPKiS8_PKS5_SA_S6_PS5_21rocsparse_index_base_b.uses_flat_scratch, 0
	.set _ZN9rocsparseL19gebsrmvn_1xn_kernelILj128ELj3ELj32E21rocsparse_complex_numIfEEEvi20rocsparse_direction_NS_24const_host_device_scalarIT2_EEPKiS8_PKS5_SA_S6_PS5_21rocsparse_index_base_b.has_dyn_sized_stack, 0
	.set _ZN9rocsparseL19gebsrmvn_1xn_kernelILj128ELj3ELj32E21rocsparse_complex_numIfEEEvi20rocsparse_direction_NS_24const_host_device_scalarIT2_EEPKiS8_PKS5_SA_S6_PS5_21rocsparse_index_base_b.has_recursion, 0
	.set _ZN9rocsparseL19gebsrmvn_1xn_kernelILj128ELj3ELj32E21rocsparse_complex_numIfEEEvi20rocsparse_direction_NS_24const_host_device_scalarIT2_EEPKiS8_PKS5_SA_S6_PS5_21rocsparse_index_base_b.has_indirect_call, 0
	.section	.AMDGPU.csdata,"",@progbits
; Kernel info:
; codeLenInByte = 1152
; TotalNumSgprs: 15
; NumVgprs: 28
; ScratchSize: 0
; MemoryBound: 0
; FloatMode: 240
; IeeeMode: 1
; LDSByteSize: 0 bytes/workgroup (compile time only)
; SGPRBlocks: 0
; VGPRBlocks: 3
; NumSGPRsForWavesPerEU: 15
; NumVGPRsForWavesPerEU: 28
; Occupancy: 16
; WaveLimiterHint : 1
; COMPUTE_PGM_RSRC2:SCRATCH_EN: 0
; COMPUTE_PGM_RSRC2:USER_SGPR: 6
; COMPUTE_PGM_RSRC2:TRAP_HANDLER: 0
; COMPUTE_PGM_RSRC2:TGID_X_EN: 1
; COMPUTE_PGM_RSRC2:TGID_Y_EN: 0
; COMPUTE_PGM_RSRC2:TGID_Z_EN: 0
; COMPUTE_PGM_RSRC2:TIDIG_COMP_CNT: 0
	.section	.text._ZN9rocsparseL19gebsrmvn_1xn_kernelILj128ELj3ELj64E21rocsparse_complex_numIfEEEvi20rocsparse_direction_NS_24const_host_device_scalarIT2_EEPKiS8_PKS5_SA_S6_PS5_21rocsparse_index_base_b,"axG",@progbits,_ZN9rocsparseL19gebsrmvn_1xn_kernelILj128ELj3ELj64E21rocsparse_complex_numIfEEEvi20rocsparse_direction_NS_24const_host_device_scalarIT2_EEPKiS8_PKS5_SA_S6_PS5_21rocsparse_index_base_b,comdat
	.globl	_ZN9rocsparseL19gebsrmvn_1xn_kernelILj128ELj3ELj64E21rocsparse_complex_numIfEEEvi20rocsparse_direction_NS_24const_host_device_scalarIT2_EEPKiS8_PKS5_SA_S6_PS5_21rocsparse_index_base_b ; -- Begin function _ZN9rocsparseL19gebsrmvn_1xn_kernelILj128ELj3ELj64E21rocsparse_complex_numIfEEEvi20rocsparse_direction_NS_24const_host_device_scalarIT2_EEPKiS8_PKS5_SA_S6_PS5_21rocsparse_index_base_b
	.p2align	8
	.type	_ZN9rocsparseL19gebsrmvn_1xn_kernelILj128ELj3ELj64E21rocsparse_complex_numIfEEEvi20rocsparse_direction_NS_24const_host_device_scalarIT2_EEPKiS8_PKS5_SA_S6_PS5_21rocsparse_index_base_b,@function
_ZN9rocsparseL19gebsrmvn_1xn_kernelILj128ELj3ELj64E21rocsparse_complex_numIfEEEvi20rocsparse_direction_NS_24const_host_device_scalarIT2_EEPKiS8_PKS5_SA_S6_PS5_21rocsparse_index_base_b: ; @_ZN9rocsparseL19gebsrmvn_1xn_kernelILj128ELj3ELj64E21rocsparse_complex_numIfEEEvi20rocsparse_direction_NS_24const_host_device_scalarIT2_EEPKiS8_PKS5_SA_S6_PS5_21rocsparse_index_base_b
; %bb.0:
	s_clause 0x2
	s_load_dwordx2 s[8:9], s[4:5], 0x40
	s_load_dwordx2 s[0:1], s[4:5], 0x8
	;; [unrolled: 1-line block ×3, first 2 shown]
	s_add_u32 s7, s4, 8
	s_addc_u32 s10, s5, 0
	s_add_u32 s11, s4, 48
	s_addc_u32 s12, s5, 0
	s_waitcnt lgkmcnt(0)
	s_bitcmp1_b32 s9, 0
	s_cselect_b32 s0, s7, s0
	s_cselect_b32 s1, s10, s1
	v_mov_b32_e32 v1, s0
	v_mov_b32_e32 v2, s1
	s_cselect_b32 s0, s11, s2
	s_cselect_b32 s1, s12, s3
	flat_load_dwordx2 v[3:4], v[1:2]
	v_mov_b32_e32 v1, s0
	v_mov_b32_e32 v2, s1
	flat_load_dwordx2 v[1:2], v[1:2]
	s_waitcnt vmcnt(1) lgkmcnt(1)
	v_cmp_eq_f32_e32 vcc_lo, 0, v3
	v_cmp_eq_f32_e64 s0, 0, v4
	s_and_b32 s2, vcc_lo, s0
	s_mov_b32 s0, -1
	s_and_saveexec_b32 s1, s2
	s_cbranch_execz .LBB161_2
; %bb.1:
	s_waitcnt vmcnt(0) lgkmcnt(0)
	v_cmp_neq_f32_e32 vcc_lo, 1.0, v1
	v_cmp_neq_f32_e64 s0, 0, v2
	s_or_b32 s0, vcc_lo, s0
	s_orn2_b32 s0, s0, exec_lo
.LBB161_2:
	s_or_b32 exec_lo, exec_lo, s1
	s_and_saveexec_b32 s1, s0
	s_cbranch_execz .LBB161_13
; %bb.3:
	s_load_dword s0, s[4:5], 0x0
	v_lshrrev_b32_e32 v5, 6, v0
	v_lshl_or_b32 v5, s6, 1, v5
	s_waitcnt lgkmcnt(0)
	v_cmp_gt_i32_e32 vcc_lo, s0, v5
	s_and_b32 exec_lo, exec_lo, vcc_lo
	s_cbranch_execz .LBB161_13
; %bb.4:
	s_clause 0x1
	s_load_dwordx2 s[0:1], s[4:5], 0x10
	s_load_dwordx2 s[6:7], s[4:5], 0x38
	v_ashrrev_i32_e32 v6, 31, v5
	v_and_b32_e32 v0, 63, v0
	v_mov_b32_e32 v11, 0
	v_mov_b32_e32 v12, 0
	s_mov_b32 s9, exec_lo
	v_lshlrev_b64 v[7:8], 2, v[5:6]
	v_subrev_nc_u32_e32 v9, s8, v0
	s_waitcnt lgkmcnt(0)
	v_add_co_u32 v7, vcc_lo, s0, v7
	v_add_co_ci_u32_e64 v8, null, s1, v8, vcc_lo
	global_load_dwordx2 v[7:8], v[7:8], off
	s_waitcnt vmcnt(0)
	v_subrev_nc_u32_e32 v13, s8, v8
	v_add_nc_u32_e32 v7, v7, v9
	v_cmpx_lt_i32_e64 v7, v13
	s_cbranch_execz .LBB161_8
; %bb.5:
	s_clause 0x1
	s_load_dwordx4 s[0:3], s[4:5], 0x18
	s_load_dwordx2 s[4:5], s[4:5], 0x28
	v_mov_b32_e32 v10, 0
	v_lshl_add_u32 v9, v7, 1, v7
	s_mov_b32 s10, 0
	v_mov_b32_e32 v11, v10
	v_mov_b32_e32 v12, v10
.LBB161_6:                              ; =>This Inner Loop Header: Depth=1
	v_ashrrev_i32_e32 v8, 31, v7
	v_add_nc_u32_e32 v16, 1, v9
	v_mov_b32_e32 v17, v10
	v_add_nc_u32_e32 v18, 2, v9
	v_mov_b32_e32 v19, v10
	v_lshlrev_b64 v[14:15], 2, v[7:8]
	v_mov_b32_e32 v20, v10
	v_lshlrev_b64 v[16:17], 3, v[16:17]
	;; [unrolled: 2-line block ×3, first 2 shown]
	v_mov_b32_e32 v23, v10
	s_waitcnt lgkmcnt(0)
	v_add_co_u32 v14, vcc_lo, s0, v14
	v_add_co_ci_u32_e64 v15, null, s1, v15, vcc_lo
	v_add_nc_u32_e32 v7, 64, v7
	global_load_dword v8, v[14:15], off
	v_lshlrev_b64 v[14:15], 3, v[9:10]
	v_add_nc_u32_e32 v9, 0xc0, v9
	v_add_co_u32 v14, vcc_lo, s2, v14
	v_add_co_ci_u32_e64 v15, null, s3, v15, vcc_lo
	v_add_co_u32 v16, vcc_lo, s2, v16
	v_add_co_ci_u32_e64 v17, null, s3, v17, vcc_lo
	;; [unrolled: 2-line block ×3, first 2 shown]
	s_clause 0x1
	global_load_dwordx2 v[14:15], v[14:15], off
	global_load_dwordx2 v[16:17], v[16:17], off
	s_waitcnt vmcnt(2)
	v_subrev_nc_u32_e32 v8, s8, v8
	v_lshl_add_u32 v19, v8, 1, v8
	v_lshlrev_b64 v[26:27], 3, v[19:20]
	v_add_nc_u32_e32 v20, 1, v19
	v_add_nc_u32_e32 v22, 2, v19
	v_lshlrev_b64 v[20:21], 3, v[20:21]
	v_add_co_u32 v18, vcc_lo, s4, v26
	v_add_co_ci_u32_e64 v19, null, s5, v27, vcc_lo
	v_lshlrev_b64 v[22:23], 3, v[22:23]
	v_add_co_u32 v20, vcc_lo, s4, v20
	global_load_dwordx2 v[18:19], v[18:19], off
	v_add_co_ci_u32_e64 v21, null, s5, v21, vcc_lo
	v_add_co_u32 v22, vcc_lo, s4, v22
	v_add_co_ci_u32_e64 v23, null, s5, v23, vcc_lo
	global_load_dwordx2 v[20:21], v[20:21], off
	global_load_dwordx2 v[24:25], v[24:25], off
	;; [unrolled: 1-line block ×3, first 2 shown]
	v_cmp_ge_i32_e32 vcc_lo, v7, v13
	s_or_b32 s10, vcc_lo, s10
	s_waitcnt vmcnt(3)
	v_fmac_f32_e32 v12, v14, v18
	v_fmac_f32_e32 v11, v15, v18
	v_fma_f32 v8, -v15, v19, v12
	v_fmac_f32_e32 v11, v14, v19
	s_waitcnt vmcnt(2)
	v_fmac_f32_e32 v8, v16, v20
	v_fmac_f32_e32 v11, v17, v20
	v_fma_f32 v8, -v17, v21, v8
	v_fmac_f32_e32 v11, v16, v21
	;; [unrolled: 5-line block ×3, first 2 shown]
	s_andn2_b32 exec_lo, exec_lo, s10
	s_cbranch_execnz .LBB161_6
; %bb.7:
	s_or_b32 exec_lo, exec_lo, s10
.LBB161_8:
	s_or_b32 exec_lo, exec_lo, s9
	v_mbcnt_lo_u32_b32 v7, -1, 0
	v_or_b32_e32 v8, 32, v7
	v_xor_b32_e32 v10, 16, v7
	v_cmp_gt_i32_e32 vcc_lo, 32, v8
	v_cndmask_b32_e32 v8, v7, v8, vcc_lo
	v_cmp_gt_i32_e32 vcc_lo, 32, v10
	v_lshlrev_b32_e32 v8, 2, v8
	v_cndmask_b32_e32 v10, v7, v10, vcc_lo
	ds_bpermute_b32 v9, v8, v12
	ds_bpermute_b32 v8, v8, v11
	v_lshlrev_b32_e32 v10, 2, v10
	s_waitcnt lgkmcnt(1)
	v_add_f32_e32 v9, v12, v9
	s_waitcnt lgkmcnt(0)
	v_add_f32_e32 v8, v11, v8
	v_xor_b32_e32 v12, 8, v7
	ds_bpermute_b32 v11, v10, v9
	ds_bpermute_b32 v10, v10, v8
	v_cmp_gt_i32_e32 vcc_lo, 32, v12
	v_cndmask_b32_e32 v12, v7, v12, vcc_lo
	v_lshlrev_b32_e32 v12, 2, v12
	s_waitcnt lgkmcnt(1)
	v_add_f32_e32 v9, v9, v11
	s_waitcnt lgkmcnt(0)
	v_add_f32_e32 v8, v8, v10
	ds_bpermute_b32 v10, v12, v9
	ds_bpermute_b32 v11, v12, v8
	v_xor_b32_e32 v12, 4, v7
	v_cmp_gt_i32_e32 vcc_lo, 32, v12
	v_cndmask_b32_e32 v12, v7, v12, vcc_lo
	v_lshlrev_b32_e32 v12, 2, v12
	s_waitcnt lgkmcnt(1)
	v_add_f32_e32 v9, v9, v10
	s_waitcnt lgkmcnt(0)
	v_add_f32_e32 v8, v8, v11
	ds_bpermute_b32 v10, v12, v9
	ds_bpermute_b32 v11, v12, v8
	v_xor_b32_e32 v12, 2, v7
	;; [unrolled: 10-line block ×3, first 2 shown]
	v_cmp_gt_i32_e32 vcc_lo, 32, v12
	v_cndmask_b32_e32 v7, v7, v12, vcc_lo
	v_cmp_eq_u32_e32 vcc_lo, 63, v0
	v_lshlrev_b32_e32 v12, 2, v7
	s_waitcnt lgkmcnt(1)
	v_add_f32_e32 v7, v9, v10
	s_waitcnt lgkmcnt(0)
	v_add_f32_e32 v9, v8, v11
	ds_bpermute_b32 v8, v12, v7
	ds_bpermute_b32 v10, v12, v9
	s_and_b32 exec_lo, exec_lo, vcc_lo
	s_cbranch_execz .LBB161_13
; %bb.9:
	s_waitcnt lgkmcnt(0)
	v_add_f32_e32 v0, v9, v10
	v_add_f32_e32 v9, v7, v8
	v_cmp_eq_f32_e32 vcc_lo, 0, v1
	v_cmp_eq_f32_e64 s0, 0, v2
	v_lshlrev_b64 v[5:6], 3, v[5:6]
	v_mul_f32_e64 v7, v0, -v4
	v_mul_f32_e32 v8, v3, v0
	s_and_b32 s0, vcc_lo, s0
	v_fmac_f32_e32 v7, v3, v9
	v_fmac_f32_e32 v8, v4, v9
	s_and_saveexec_b32 s1, s0
	s_xor_b32 s0, exec_lo, s1
	s_cbranch_execz .LBB161_11
; %bb.10:
	v_add_co_u32 v0, vcc_lo, s6, v5
	v_add_co_ci_u32_e64 v1, null, s7, v6, vcc_lo
                                        ; implicit-def: $vgpr5_vgpr6
	global_store_dwordx2 v[0:1], v[7:8], off
                                        ; implicit-def: $vgpr1_vgpr2
                                        ; implicit-def: $vgpr7
.LBB161_11:
	s_andn2_saveexec_b32 s0, s0
	s_cbranch_execz .LBB161_13
; %bb.12:
	v_add_co_u32 v3, vcc_lo, s6, v5
	v_add_co_ci_u32_e64 v4, null, s7, v6, vcc_lo
	global_load_dwordx2 v[5:6], v[3:4], off
	s_waitcnt vmcnt(0)
	v_fmac_f32_e32 v7, v1, v5
	v_fmac_f32_e32 v8, v2, v5
	v_fma_f32 v7, -v2, v6, v7
	v_fmac_f32_e32 v8, v1, v6
	global_store_dwordx2 v[3:4], v[7:8], off
.LBB161_13:
	s_endpgm
	.section	.rodata,"a",@progbits
	.p2align	6, 0x0
	.amdhsa_kernel _ZN9rocsparseL19gebsrmvn_1xn_kernelILj128ELj3ELj64E21rocsparse_complex_numIfEEEvi20rocsparse_direction_NS_24const_host_device_scalarIT2_EEPKiS8_PKS5_SA_S6_PS5_21rocsparse_index_base_b
		.amdhsa_group_segment_fixed_size 0
		.amdhsa_private_segment_fixed_size 0
		.amdhsa_kernarg_size 72
		.amdhsa_user_sgpr_count 6
		.amdhsa_user_sgpr_private_segment_buffer 1
		.amdhsa_user_sgpr_dispatch_ptr 0
		.amdhsa_user_sgpr_queue_ptr 0
		.amdhsa_user_sgpr_kernarg_segment_ptr 1
		.amdhsa_user_sgpr_dispatch_id 0
		.amdhsa_user_sgpr_flat_scratch_init 0
		.amdhsa_user_sgpr_private_segment_size 0
		.amdhsa_wavefront_size32 1
		.amdhsa_uses_dynamic_stack 0
		.amdhsa_system_sgpr_private_segment_wavefront_offset 0
		.amdhsa_system_sgpr_workgroup_id_x 1
		.amdhsa_system_sgpr_workgroup_id_y 0
		.amdhsa_system_sgpr_workgroup_id_z 0
		.amdhsa_system_sgpr_workgroup_info 0
		.amdhsa_system_vgpr_workitem_id 0
		.amdhsa_next_free_vgpr 28
		.amdhsa_next_free_sgpr 13
		.amdhsa_reserve_vcc 1
		.amdhsa_reserve_flat_scratch 0
		.amdhsa_float_round_mode_32 0
		.amdhsa_float_round_mode_16_64 0
		.amdhsa_float_denorm_mode_32 3
		.amdhsa_float_denorm_mode_16_64 3
		.amdhsa_dx10_clamp 1
		.amdhsa_ieee_mode 1
		.amdhsa_fp16_overflow 0
		.amdhsa_workgroup_processor_mode 1
		.amdhsa_memory_ordered 1
		.amdhsa_forward_progress 1
		.amdhsa_shared_vgpr_count 0
		.amdhsa_exception_fp_ieee_invalid_op 0
		.amdhsa_exception_fp_denorm_src 0
		.amdhsa_exception_fp_ieee_div_zero 0
		.amdhsa_exception_fp_ieee_overflow 0
		.amdhsa_exception_fp_ieee_underflow 0
		.amdhsa_exception_fp_ieee_inexact 0
		.amdhsa_exception_int_div_zero 0
	.end_amdhsa_kernel
	.section	.text._ZN9rocsparseL19gebsrmvn_1xn_kernelILj128ELj3ELj64E21rocsparse_complex_numIfEEEvi20rocsparse_direction_NS_24const_host_device_scalarIT2_EEPKiS8_PKS5_SA_S6_PS5_21rocsparse_index_base_b,"axG",@progbits,_ZN9rocsparseL19gebsrmvn_1xn_kernelILj128ELj3ELj64E21rocsparse_complex_numIfEEEvi20rocsparse_direction_NS_24const_host_device_scalarIT2_EEPKiS8_PKS5_SA_S6_PS5_21rocsparse_index_base_b,comdat
.Lfunc_end161:
	.size	_ZN9rocsparseL19gebsrmvn_1xn_kernelILj128ELj3ELj64E21rocsparse_complex_numIfEEEvi20rocsparse_direction_NS_24const_host_device_scalarIT2_EEPKiS8_PKS5_SA_S6_PS5_21rocsparse_index_base_b, .Lfunc_end161-_ZN9rocsparseL19gebsrmvn_1xn_kernelILj128ELj3ELj64E21rocsparse_complex_numIfEEEvi20rocsparse_direction_NS_24const_host_device_scalarIT2_EEPKiS8_PKS5_SA_S6_PS5_21rocsparse_index_base_b
                                        ; -- End function
	.set _ZN9rocsparseL19gebsrmvn_1xn_kernelILj128ELj3ELj64E21rocsparse_complex_numIfEEEvi20rocsparse_direction_NS_24const_host_device_scalarIT2_EEPKiS8_PKS5_SA_S6_PS5_21rocsparse_index_base_b.num_vgpr, 28
	.set _ZN9rocsparseL19gebsrmvn_1xn_kernelILj128ELj3ELj64E21rocsparse_complex_numIfEEEvi20rocsparse_direction_NS_24const_host_device_scalarIT2_EEPKiS8_PKS5_SA_S6_PS5_21rocsparse_index_base_b.num_agpr, 0
	.set _ZN9rocsparseL19gebsrmvn_1xn_kernelILj128ELj3ELj64E21rocsparse_complex_numIfEEEvi20rocsparse_direction_NS_24const_host_device_scalarIT2_EEPKiS8_PKS5_SA_S6_PS5_21rocsparse_index_base_b.numbered_sgpr, 13
	.set _ZN9rocsparseL19gebsrmvn_1xn_kernelILj128ELj3ELj64E21rocsparse_complex_numIfEEEvi20rocsparse_direction_NS_24const_host_device_scalarIT2_EEPKiS8_PKS5_SA_S6_PS5_21rocsparse_index_base_b.num_named_barrier, 0
	.set _ZN9rocsparseL19gebsrmvn_1xn_kernelILj128ELj3ELj64E21rocsparse_complex_numIfEEEvi20rocsparse_direction_NS_24const_host_device_scalarIT2_EEPKiS8_PKS5_SA_S6_PS5_21rocsparse_index_base_b.private_seg_size, 0
	.set _ZN9rocsparseL19gebsrmvn_1xn_kernelILj128ELj3ELj64E21rocsparse_complex_numIfEEEvi20rocsparse_direction_NS_24const_host_device_scalarIT2_EEPKiS8_PKS5_SA_S6_PS5_21rocsparse_index_base_b.uses_vcc, 1
	.set _ZN9rocsparseL19gebsrmvn_1xn_kernelILj128ELj3ELj64E21rocsparse_complex_numIfEEEvi20rocsparse_direction_NS_24const_host_device_scalarIT2_EEPKiS8_PKS5_SA_S6_PS5_21rocsparse_index_base_b.uses_flat_scratch, 0
	.set _ZN9rocsparseL19gebsrmvn_1xn_kernelILj128ELj3ELj64E21rocsparse_complex_numIfEEEvi20rocsparse_direction_NS_24const_host_device_scalarIT2_EEPKiS8_PKS5_SA_S6_PS5_21rocsparse_index_base_b.has_dyn_sized_stack, 0
	.set _ZN9rocsparseL19gebsrmvn_1xn_kernelILj128ELj3ELj64E21rocsparse_complex_numIfEEEvi20rocsparse_direction_NS_24const_host_device_scalarIT2_EEPKiS8_PKS5_SA_S6_PS5_21rocsparse_index_base_b.has_recursion, 0
	.set _ZN9rocsparseL19gebsrmvn_1xn_kernelILj128ELj3ELj64E21rocsparse_complex_numIfEEEvi20rocsparse_direction_NS_24const_host_device_scalarIT2_EEPKiS8_PKS5_SA_S6_PS5_21rocsparse_index_base_b.has_indirect_call, 0
	.section	.AMDGPU.csdata,"",@progbits
; Kernel info:
; codeLenInByte = 1200
; TotalNumSgprs: 15
; NumVgprs: 28
; ScratchSize: 0
; MemoryBound: 0
; FloatMode: 240
; IeeeMode: 1
; LDSByteSize: 0 bytes/workgroup (compile time only)
; SGPRBlocks: 0
; VGPRBlocks: 3
; NumSGPRsForWavesPerEU: 15
; NumVGPRsForWavesPerEU: 28
; Occupancy: 16
; WaveLimiterHint : 1
; COMPUTE_PGM_RSRC2:SCRATCH_EN: 0
; COMPUTE_PGM_RSRC2:USER_SGPR: 6
; COMPUTE_PGM_RSRC2:TRAP_HANDLER: 0
; COMPUTE_PGM_RSRC2:TGID_X_EN: 1
; COMPUTE_PGM_RSRC2:TGID_Y_EN: 0
; COMPUTE_PGM_RSRC2:TGID_Z_EN: 0
; COMPUTE_PGM_RSRC2:TIDIG_COMP_CNT: 0
	.section	.text._ZN9rocsparseL19gebsrmvn_1xn_kernelILj128ELj4ELj4E21rocsparse_complex_numIfEEEvi20rocsparse_direction_NS_24const_host_device_scalarIT2_EEPKiS8_PKS5_SA_S6_PS5_21rocsparse_index_base_b,"axG",@progbits,_ZN9rocsparseL19gebsrmvn_1xn_kernelILj128ELj4ELj4E21rocsparse_complex_numIfEEEvi20rocsparse_direction_NS_24const_host_device_scalarIT2_EEPKiS8_PKS5_SA_S6_PS5_21rocsparse_index_base_b,comdat
	.globl	_ZN9rocsparseL19gebsrmvn_1xn_kernelILj128ELj4ELj4E21rocsparse_complex_numIfEEEvi20rocsparse_direction_NS_24const_host_device_scalarIT2_EEPKiS8_PKS5_SA_S6_PS5_21rocsparse_index_base_b ; -- Begin function _ZN9rocsparseL19gebsrmvn_1xn_kernelILj128ELj4ELj4E21rocsparse_complex_numIfEEEvi20rocsparse_direction_NS_24const_host_device_scalarIT2_EEPKiS8_PKS5_SA_S6_PS5_21rocsparse_index_base_b
	.p2align	8
	.type	_ZN9rocsparseL19gebsrmvn_1xn_kernelILj128ELj4ELj4E21rocsparse_complex_numIfEEEvi20rocsparse_direction_NS_24const_host_device_scalarIT2_EEPKiS8_PKS5_SA_S6_PS5_21rocsparse_index_base_b,@function
_ZN9rocsparseL19gebsrmvn_1xn_kernelILj128ELj4ELj4E21rocsparse_complex_numIfEEEvi20rocsparse_direction_NS_24const_host_device_scalarIT2_EEPKiS8_PKS5_SA_S6_PS5_21rocsparse_index_base_b: ; @_ZN9rocsparseL19gebsrmvn_1xn_kernelILj128ELj4ELj4E21rocsparse_complex_numIfEEEvi20rocsparse_direction_NS_24const_host_device_scalarIT2_EEPKiS8_PKS5_SA_S6_PS5_21rocsparse_index_base_b
; %bb.0:
	s_clause 0x2
	s_load_dwordx2 s[8:9], s[4:5], 0x40
	s_load_dwordx2 s[0:1], s[4:5], 0x8
	;; [unrolled: 1-line block ×3, first 2 shown]
	s_add_u32 s7, s4, 8
	s_addc_u32 s10, s5, 0
	s_add_u32 s11, s4, 48
	s_addc_u32 s12, s5, 0
	s_waitcnt lgkmcnt(0)
	s_bitcmp1_b32 s9, 0
	s_cselect_b32 s0, s7, s0
	s_cselect_b32 s1, s10, s1
	v_mov_b32_e32 v1, s0
	v_mov_b32_e32 v2, s1
	s_cselect_b32 s0, s11, s2
	s_cselect_b32 s1, s12, s3
	flat_load_dwordx2 v[3:4], v[1:2]
	v_mov_b32_e32 v1, s0
	v_mov_b32_e32 v2, s1
	flat_load_dwordx2 v[1:2], v[1:2]
	s_waitcnt vmcnt(1) lgkmcnt(1)
	v_cmp_eq_f32_e32 vcc_lo, 0, v3
	v_cmp_eq_f32_e64 s0, 0, v4
	s_and_b32 s2, vcc_lo, s0
	s_mov_b32 s0, -1
	s_and_saveexec_b32 s1, s2
	s_cbranch_execz .LBB162_2
; %bb.1:
	s_waitcnt vmcnt(0) lgkmcnt(0)
	v_cmp_neq_f32_e32 vcc_lo, 1.0, v1
	v_cmp_neq_f32_e64 s0, 0, v2
	s_or_b32 s0, vcc_lo, s0
	s_orn2_b32 s0, s0, exec_lo
.LBB162_2:
	s_or_b32 exec_lo, exec_lo, s1
	s_and_saveexec_b32 s1, s0
	s_cbranch_execz .LBB162_13
; %bb.3:
	s_load_dword s0, s[4:5], 0x0
	v_lshrrev_b32_e32 v5, 2, v0
	v_lshl_or_b32 v5, s6, 5, v5
	s_waitcnt lgkmcnt(0)
	v_cmp_gt_i32_e32 vcc_lo, s0, v5
	s_and_b32 exec_lo, exec_lo, vcc_lo
	s_cbranch_execz .LBB162_13
; %bb.4:
	s_clause 0x1
	s_load_dwordx2 s[0:1], s[4:5], 0x10
	s_load_dwordx2 s[6:7], s[4:5], 0x38
	v_ashrrev_i32_e32 v6, 31, v5
	v_and_b32_e32 v0, 3, v0
	v_mov_b32_e32 v11, 0
	v_mov_b32_e32 v13, 0
	s_mov_b32 s9, exec_lo
	v_lshlrev_b64 v[7:8], 2, v[5:6]
	v_subrev_nc_u32_e32 v9, s8, v0
	s_waitcnt lgkmcnt(0)
	v_add_co_u32 v7, vcc_lo, s0, v7
	v_add_co_ci_u32_e64 v8, null, s1, v8, vcc_lo
	global_load_dwordx2 v[7:8], v[7:8], off
	s_waitcnt vmcnt(0)
	v_subrev_nc_u32_e32 v12, s8, v8
	v_add_nc_u32_e32 v7, v7, v9
	v_cmpx_lt_i32_e64 v7, v12
	s_cbranch_execz .LBB162_8
; %bb.5:
	s_clause 0x1
	s_load_dwordx4 s[0:3], s[4:5], 0x18
	s_load_dwordx2 s[4:5], s[4:5], 0x28
	v_mov_b32_e32 v10, 0
	v_lshlrev_b32_e32 v9, 2, v7
	s_mov_b32 s10, 0
	v_mov_b32_e32 v11, v10
	v_mov_b32_e32 v13, v10
.LBB162_6:                              ; =>This Inner Loop Header: Depth=1
	v_ashrrev_i32_e32 v8, 31, v7
	v_mov_b32_e32 v17, v10
	v_lshlrev_b64 v[14:15], 2, v[7:8]
	v_add_nc_u32_e32 v7, 4, v7
	s_waitcnt lgkmcnt(0)
	v_add_co_u32 v14, vcc_lo, s0, v14
	v_add_co_ci_u32_e64 v15, null, s1, v15, vcc_lo
	global_load_dword v8, v[14:15], off
	v_lshlrev_b64 v[14:15], 3, v[9:10]
	v_add_nc_u32_e32 v9, 16, v9
	v_add_co_u32 v18, vcc_lo, s2, v14
	v_add_co_ci_u32_e64 v19, null, s3, v15, vcc_lo
	s_waitcnt vmcnt(0)
	v_subrev_nc_u32_e32 v8, s8, v8
	v_lshlrev_b32_e32 v16, 2, v8
	v_lshlrev_b64 v[16:17], 3, v[16:17]
	v_add_co_u32 v26, vcc_lo, s4, v16
	v_add_co_ci_u32_e64 v27, null, s5, v17, vcc_lo
	v_cmp_ge_i32_e32 vcc_lo, v7, v12
	s_clause 0x1
	global_load_dwordx4 v[14:17], v[18:19], off offset:16
	global_load_dwordx4 v[18:21], v[18:19], off
	s_clause 0x1
	global_load_dwordx4 v[22:25], v[26:27], off
	global_load_dwordx4 v[26:29], v[26:27], off offset:16
	s_or_b32 s10, vcc_lo, s10
	s_waitcnt vmcnt(1)
	v_fmac_f32_e32 v13, v18, v22
	v_fmac_f32_e32 v11, v19, v22
	v_fma_f32 v8, -v19, v23, v13
	v_fmac_f32_e32 v11, v18, v23
	v_fmac_f32_e32 v8, v20, v24
	;; [unrolled: 1-line block ×3, first 2 shown]
	v_fma_f32 v8, -v21, v25, v8
	v_fmac_f32_e32 v11, v20, v25
	s_waitcnt vmcnt(0)
	v_fmac_f32_e32 v8, v14, v26
	v_fmac_f32_e32 v11, v15, v26
	v_fma_f32 v8, -v15, v27, v8
	v_fmac_f32_e32 v11, v14, v27
	v_fmac_f32_e32 v8, v16, v28
	;; [unrolled: 1-line block ×3, first 2 shown]
	v_fma_f32 v13, -v17, v29, v8
	v_fmac_f32_e32 v11, v16, v29
	s_andn2_b32 exec_lo, exec_lo, s10
	s_cbranch_execnz .LBB162_6
; %bb.7:
	s_or_b32 exec_lo, exec_lo, s10
.LBB162_8:
	s_or_b32 exec_lo, exec_lo, s9
	v_mbcnt_lo_u32_b32 v7, -1, 0
	v_xor_b32_e32 v8, 2, v7
	v_xor_b32_e32 v10, 1, v7
	v_cmp_gt_i32_e32 vcc_lo, 32, v8
	v_cndmask_b32_e32 v8, v7, v8, vcc_lo
	v_cmp_gt_i32_e32 vcc_lo, 32, v10
	v_lshlrev_b32_e32 v8, 2, v8
	v_cndmask_b32_e32 v7, v7, v10, vcc_lo
	v_cmp_eq_u32_e32 vcc_lo, 3, v0
	ds_bpermute_b32 v9, v8, v13
	ds_bpermute_b32 v8, v8, v11
	v_lshlrev_b32_e32 v10, 2, v7
	s_waitcnt lgkmcnt(1)
	v_add_f32_e32 v7, v13, v9
	s_waitcnt lgkmcnt(0)
	v_add_f32_e32 v9, v11, v8
	ds_bpermute_b32 v8, v10, v7
	ds_bpermute_b32 v10, v10, v9
	s_and_b32 exec_lo, exec_lo, vcc_lo
	s_cbranch_execz .LBB162_13
; %bb.9:
	s_waitcnt lgkmcnt(0)
	v_add_f32_e32 v0, v9, v10
	v_add_f32_e32 v9, v7, v8
	v_cmp_eq_f32_e32 vcc_lo, 0, v1
	v_cmp_eq_f32_e64 s0, 0, v2
	v_lshlrev_b64 v[5:6], 3, v[5:6]
	v_mul_f32_e64 v7, v0, -v4
	v_mul_f32_e32 v8, v3, v0
	s_and_b32 s0, vcc_lo, s0
	v_fmac_f32_e32 v7, v3, v9
	v_fmac_f32_e32 v8, v4, v9
	s_and_saveexec_b32 s1, s0
	s_xor_b32 s0, exec_lo, s1
	s_cbranch_execz .LBB162_11
; %bb.10:
	v_add_co_u32 v0, vcc_lo, s6, v5
	v_add_co_ci_u32_e64 v1, null, s7, v6, vcc_lo
                                        ; implicit-def: $vgpr5_vgpr6
	global_store_dwordx2 v[0:1], v[7:8], off
                                        ; implicit-def: $vgpr1_vgpr2
                                        ; implicit-def: $vgpr7
.LBB162_11:
	s_andn2_saveexec_b32 s0, s0
	s_cbranch_execz .LBB162_13
; %bb.12:
	v_add_co_u32 v3, vcc_lo, s6, v5
	v_add_co_ci_u32_e64 v4, null, s7, v6, vcc_lo
	global_load_dwordx2 v[5:6], v[3:4], off
	s_waitcnt vmcnt(0)
	v_fmac_f32_e32 v7, v1, v5
	v_fmac_f32_e32 v8, v2, v5
	v_fma_f32 v7, -v2, v6, v7
	v_fmac_f32_e32 v8, v1, v6
	global_store_dwordx2 v[3:4], v[7:8], off
.LBB162_13:
	s_endpgm
	.section	.rodata,"a",@progbits
	.p2align	6, 0x0
	.amdhsa_kernel _ZN9rocsparseL19gebsrmvn_1xn_kernelILj128ELj4ELj4E21rocsparse_complex_numIfEEEvi20rocsparse_direction_NS_24const_host_device_scalarIT2_EEPKiS8_PKS5_SA_S6_PS5_21rocsparse_index_base_b
		.amdhsa_group_segment_fixed_size 0
		.amdhsa_private_segment_fixed_size 0
		.amdhsa_kernarg_size 72
		.amdhsa_user_sgpr_count 6
		.amdhsa_user_sgpr_private_segment_buffer 1
		.amdhsa_user_sgpr_dispatch_ptr 0
		.amdhsa_user_sgpr_queue_ptr 0
		.amdhsa_user_sgpr_kernarg_segment_ptr 1
		.amdhsa_user_sgpr_dispatch_id 0
		.amdhsa_user_sgpr_flat_scratch_init 0
		.amdhsa_user_sgpr_private_segment_size 0
		.amdhsa_wavefront_size32 1
		.amdhsa_uses_dynamic_stack 0
		.amdhsa_system_sgpr_private_segment_wavefront_offset 0
		.amdhsa_system_sgpr_workgroup_id_x 1
		.amdhsa_system_sgpr_workgroup_id_y 0
		.amdhsa_system_sgpr_workgroup_id_z 0
		.amdhsa_system_sgpr_workgroup_info 0
		.amdhsa_system_vgpr_workitem_id 0
		.amdhsa_next_free_vgpr 30
		.amdhsa_next_free_sgpr 13
		.amdhsa_reserve_vcc 1
		.amdhsa_reserve_flat_scratch 0
		.amdhsa_float_round_mode_32 0
		.amdhsa_float_round_mode_16_64 0
		.amdhsa_float_denorm_mode_32 3
		.amdhsa_float_denorm_mode_16_64 3
		.amdhsa_dx10_clamp 1
		.amdhsa_ieee_mode 1
		.amdhsa_fp16_overflow 0
		.amdhsa_workgroup_processor_mode 1
		.amdhsa_memory_ordered 1
		.amdhsa_forward_progress 1
		.amdhsa_shared_vgpr_count 0
		.amdhsa_exception_fp_ieee_invalid_op 0
		.amdhsa_exception_fp_denorm_src 0
		.amdhsa_exception_fp_ieee_div_zero 0
		.amdhsa_exception_fp_ieee_overflow 0
		.amdhsa_exception_fp_ieee_underflow 0
		.amdhsa_exception_fp_ieee_inexact 0
		.amdhsa_exception_int_div_zero 0
	.end_amdhsa_kernel
	.section	.text._ZN9rocsparseL19gebsrmvn_1xn_kernelILj128ELj4ELj4E21rocsparse_complex_numIfEEEvi20rocsparse_direction_NS_24const_host_device_scalarIT2_EEPKiS8_PKS5_SA_S6_PS5_21rocsparse_index_base_b,"axG",@progbits,_ZN9rocsparseL19gebsrmvn_1xn_kernelILj128ELj4ELj4E21rocsparse_complex_numIfEEEvi20rocsparse_direction_NS_24const_host_device_scalarIT2_EEPKiS8_PKS5_SA_S6_PS5_21rocsparse_index_base_b,comdat
.Lfunc_end162:
	.size	_ZN9rocsparseL19gebsrmvn_1xn_kernelILj128ELj4ELj4E21rocsparse_complex_numIfEEEvi20rocsparse_direction_NS_24const_host_device_scalarIT2_EEPKiS8_PKS5_SA_S6_PS5_21rocsparse_index_base_b, .Lfunc_end162-_ZN9rocsparseL19gebsrmvn_1xn_kernelILj128ELj4ELj4E21rocsparse_complex_numIfEEEvi20rocsparse_direction_NS_24const_host_device_scalarIT2_EEPKiS8_PKS5_SA_S6_PS5_21rocsparse_index_base_b
                                        ; -- End function
	.set _ZN9rocsparseL19gebsrmvn_1xn_kernelILj128ELj4ELj4E21rocsparse_complex_numIfEEEvi20rocsparse_direction_NS_24const_host_device_scalarIT2_EEPKiS8_PKS5_SA_S6_PS5_21rocsparse_index_base_b.num_vgpr, 30
	.set _ZN9rocsparseL19gebsrmvn_1xn_kernelILj128ELj4ELj4E21rocsparse_complex_numIfEEEvi20rocsparse_direction_NS_24const_host_device_scalarIT2_EEPKiS8_PKS5_SA_S6_PS5_21rocsparse_index_base_b.num_agpr, 0
	.set _ZN9rocsparseL19gebsrmvn_1xn_kernelILj128ELj4ELj4E21rocsparse_complex_numIfEEEvi20rocsparse_direction_NS_24const_host_device_scalarIT2_EEPKiS8_PKS5_SA_S6_PS5_21rocsparse_index_base_b.numbered_sgpr, 13
	.set _ZN9rocsparseL19gebsrmvn_1xn_kernelILj128ELj4ELj4E21rocsparse_complex_numIfEEEvi20rocsparse_direction_NS_24const_host_device_scalarIT2_EEPKiS8_PKS5_SA_S6_PS5_21rocsparse_index_base_b.num_named_barrier, 0
	.set _ZN9rocsparseL19gebsrmvn_1xn_kernelILj128ELj4ELj4E21rocsparse_complex_numIfEEEvi20rocsparse_direction_NS_24const_host_device_scalarIT2_EEPKiS8_PKS5_SA_S6_PS5_21rocsparse_index_base_b.private_seg_size, 0
	.set _ZN9rocsparseL19gebsrmvn_1xn_kernelILj128ELj4ELj4E21rocsparse_complex_numIfEEEvi20rocsparse_direction_NS_24const_host_device_scalarIT2_EEPKiS8_PKS5_SA_S6_PS5_21rocsparse_index_base_b.uses_vcc, 1
	.set _ZN9rocsparseL19gebsrmvn_1xn_kernelILj128ELj4ELj4E21rocsparse_complex_numIfEEEvi20rocsparse_direction_NS_24const_host_device_scalarIT2_EEPKiS8_PKS5_SA_S6_PS5_21rocsparse_index_base_b.uses_flat_scratch, 0
	.set _ZN9rocsparseL19gebsrmvn_1xn_kernelILj128ELj4ELj4E21rocsparse_complex_numIfEEEvi20rocsparse_direction_NS_24const_host_device_scalarIT2_EEPKiS8_PKS5_SA_S6_PS5_21rocsparse_index_base_b.has_dyn_sized_stack, 0
	.set _ZN9rocsparseL19gebsrmvn_1xn_kernelILj128ELj4ELj4E21rocsparse_complex_numIfEEEvi20rocsparse_direction_NS_24const_host_device_scalarIT2_EEPKiS8_PKS5_SA_S6_PS5_21rocsparse_index_base_b.has_recursion, 0
	.set _ZN9rocsparseL19gebsrmvn_1xn_kernelILj128ELj4ELj4E21rocsparse_complex_numIfEEEvi20rocsparse_direction_NS_24const_host_device_scalarIT2_EEPKiS8_PKS5_SA_S6_PS5_21rocsparse_index_base_b.has_indirect_call, 0
	.section	.AMDGPU.csdata,"",@progbits
; Kernel info:
; codeLenInByte = 872
; TotalNumSgprs: 15
; NumVgprs: 30
; ScratchSize: 0
; MemoryBound: 0
; FloatMode: 240
; IeeeMode: 1
; LDSByteSize: 0 bytes/workgroup (compile time only)
; SGPRBlocks: 0
; VGPRBlocks: 3
; NumSGPRsForWavesPerEU: 15
; NumVGPRsForWavesPerEU: 30
; Occupancy: 16
; WaveLimiterHint : 1
; COMPUTE_PGM_RSRC2:SCRATCH_EN: 0
; COMPUTE_PGM_RSRC2:USER_SGPR: 6
; COMPUTE_PGM_RSRC2:TRAP_HANDLER: 0
; COMPUTE_PGM_RSRC2:TGID_X_EN: 1
; COMPUTE_PGM_RSRC2:TGID_Y_EN: 0
; COMPUTE_PGM_RSRC2:TGID_Z_EN: 0
; COMPUTE_PGM_RSRC2:TIDIG_COMP_CNT: 0
	.section	.text._ZN9rocsparseL19gebsrmvn_1xn_kernelILj128ELj4ELj8E21rocsparse_complex_numIfEEEvi20rocsparse_direction_NS_24const_host_device_scalarIT2_EEPKiS8_PKS5_SA_S6_PS5_21rocsparse_index_base_b,"axG",@progbits,_ZN9rocsparseL19gebsrmvn_1xn_kernelILj128ELj4ELj8E21rocsparse_complex_numIfEEEvi20rocsparse_direction_NS_24const_host_device_scalarIT2_EEPKiS8_PKS5_SA_S6_PS5_21rocsparse_index_base_b,comdat
	.globl	_ZN9rocsparseL19gebsrmvn_1xn_kernelILj128ELj4ELj8E21rocsparse_complex_numIfEEEvi20rocsparse_direction_NS_24const_host_device_scalarIT2_EEPKiS8_PKS5_SA_S6_PS5_21rocsparse_index_base_b ; -- Begin function _ZN9rocsparseL19gebsrmvn_1xn_kernelILj128ELj4ELj8E21rocsparse_complex_numIfEEEvi20rocsparse_direction_NS_24const_host_device_scalarIT2_EEPKiS8_PKS5_SA_S6_PS5_21rocsparse_index_base_b
	.p2align	8
	.type	_ZN9rocsparseL19gebsrmvn_1xn_kernelILj128ELj4ELj8E21rocsparse_complex_numIfEEEvi20rocsparse_direction_NS_24const_host_device_scalarIT2_EEPKiS8_PKS5_SA_S6_PS5_21rocsparse_index_base_b,@function
_ZN9rocsparseL19gebsrmvn_1xn_kernelILj128ELj4ELj8E21rocsparse_complex_numIfEEEvi20rocsparse_direction_NS_24const_host_device_scalarIT2_EEPKiS8_PKS5_SA_S6_PS5_21rocsparse_index_base_b: ; @_ZN9rocsparseL19gebsrmvn_1xn_kernelILj128ELj4ELj8E21rocsparse_complex_numIfEEEvi20rocsparse_direction_NS_24const_host_device_scalarIT2_EEPKiS8_PKS5_SA_S6_PS5_21rocsparse_index_base_b
; %bb.0:
	s_clause 0x2
	s_load_dwordx2 s[8:9], s[4:5], 0x40
	s_load_dwordx2 s[0:1], s[4:5], 0x8
	;; [unrolled: 1-line block ×3, first 2 shown]
	s_add_u32 s7, s4, 8
	s_addc_u32 s10, s5, 0
	s_add_u32 s11, s4, 48
	s_addc_u32 s12, s5, 0
	s_waitcnt lgkmcnt(0)
	s_bitcmp1_b32 s9, 0
	s_cselect_b32 s0, s7, s0
	s_cselect_b32 s1, s10, s1
	v_mov_b32_e32 v1, s0
	v_mov_b32_e32 v2, s1
	s_cselect_b32 s0, s11, s2
	s_cselect_b32 s1, s12, s3
	flat_load_dwordx2 v[3:4], v[1:2]
	v_mov_b32_e32 v1, s0
	v_mov_b32_e32 v2, s1
	flat_load_dwordx2 v[1:2], v[1:2]
	s_waitcnt vmcnt(1) lgkmcnt(1)
	v_cmp_eq_f32_e32 vcc_lo, 0, v3
	v_cmp_eq_f32_e64 s0, 0, v4
	s_and_b32 s2, vcc_lo, s0
	s_mov_b32 s0, -1
	s_and_saveexec_b32 s1, s2
	s_cbranch_execz .LBB163_2
; %bb.1:
	s_waitcnt vmcnt(0) lgkmcnt(0)
	v_cmp_neq_f32_e32 vcc_lo, 1.0, v1
	v_cmp_neq_f32_e64 s0, 0, v2
	s_or_b32 s0, vcc_lo, s0
	s_orn2_b32 s0, s0, exec_lo
.LBB163_2:
	s_or_b32 exec_lo, exec_lo, s1
	s_and_saveexec_b32 s1, s0
	s_cbranch_execz .LBB163_13
; %bb.3:
	s_load_dword s0, s[4:5], 0x0
	v_lshrrev_b32_e32 v5, 3, v0
	v_lshl_or_b32 v5, s6, 4, v5
	s_waitcnt lgkmcnt(0)
	v_cmp_gt_i32_e32 vcc_lo, s0, v5
	s_and_b32 exec_lo, exec_lo, vcc_lo
	s_cbranch_execz .LBB163_13
; %bb.4:
	s_clause 0x1
	s_load_dwordx2 s[0:1], s[4:5], 0x10
	s_load_dwordx2 s[6:7], s[4:5], 0x38
	v_ashrrev_i32_e32 v6, 31, v5
	v_and_b32_e32 v0, 7, v0
	v_mov_b32_e32 v11, 0
	v_mov_b32_e32 v13, 0
	s_mov_b32 s9, exec_lo
	v_lshlrev_b64 v[7:8], 2, v[5:6]
	v_subrev_nc_u32_e32 v9, s8, v0
	s_waitcnt lgkmcnt(0)
	v_add_co_u32 v7, vcc_lo, s0, v7
	v_add_co_ci_u32_e64 v8, null, s1, v8, vcc_lo
	global_load_dwordx2 v[7:8], v[7:8], off
	s_waitcnt vmcnt(0)
	v_subrev_nc_u32_e32 v12, s8, v8
	v_add_nc_u32_e32 v7, v7, v9
	v_cmpx_lt_i32_e64 v7, v12
	s_cbranch_execz .LBB163_8
; %bb.5:
	s_clause 0x1
	s_load_dwordx4 s[0:3], s[4:5], 0x18
	s_load_dwordx2 s[4:5], s[4:5], 0x28
	v_mov_b32_e32 v10, 0
	v_lshlrev_b32_e32 v9, 2, v7
	s_mov_b32 s10, 0
	v_mov_b32_e32 v11, v10
	v_mov_b32_e32 v13, v10
.LBB163_6:                              ; =>This Inner Loop Header: Depth=1
	v_ashrrev_i32_e32 v8, 31, v7
	v_mov_b32_e32 v17, v10
	v_lshlrev_b64 v[14:15], 2, v[7:8]
	v_add_nc_u32_e32 v7, 8, v7
	s_waitcnt lgkmcnt(0)
	v_add_co_u32 v14, vcc_lo, s0, v14
	v_add_co_ci_u32_e64 v15, null, s1, v15, vcc_lo
	global_load_dword v8, v[14:15], off
	v_lshlrev_b64 v[14:15], 3, v[9:10]
	v_add_nc_u32_e32 v9, 32, v9
	v_add_co_u32 v18, vcc_lo, s2, v14
	v_add_co_ci_u32_e64 v19, null, s3, v15, vcc_lo
	s_waitcnt vmcnt(0)
	v_subrev_nc_u32_e32 v8, s8, v8
	v_lshlrev_b32_e32 v16, 2, v8
	v_lshlrev_b64 v[16:17], 3, v[16:17]
	v_add_co_u32 v26, vcc_lo, s4, v16
	v_add_co_ci_u32_e64 v27, null, s5, v17, vcc_lo
	v_cmp_ge_i32_e32 vcc_lo, v7, v12
	s_clause 0x1
	global_load_dwordx4 v[14:17], v[18:19], off offset:16
	global_load_dwordx4 v[18:21], v[18:19], off
	s_clause 0x1
	global_load_dwordx4 v[22:25], v[26:27], off
	global_load_dwordx4 v[26:29], v[26:27], off offset:16
	s_or_b32 s10, vcc_lo, s10
	s_waitcnt vmcnt(1)
	v_fmac_f32_e32 v13, v18, v22
	v_fmac_f32_e32 v11, v19, v22
	v_fma_f32 v8, -v19, v23, v13
	v_fmac_f32_e32 v11, v18, v23
	v_fmac_f32_e32 v8, v20, v24
	;; [unrolled: 1-line block ×3, first 2 shown]
	v_fma_f32 v8, -v21, v25, v8
	v_fmac_f32_e32 v11, v20, v25
	s_waitcnt vmcnt(0)
	v_fmac_f32_e32 v8, v14, v26
	v_fmac_f32_e32 v11, v15, v26
	v_fma_f32 v8, -v15, v27, v8
	v_fmac_f32_e32 v11, v14, v27
	v_fmac_f32_e32 v8, v16, v28
	;; [unrolled: 1-line block ×3, first 2 shown]
	v_fma_f32 v13, -v17, v29, v8
	v_fmac_f32_e32 v11, v16, v29
	s_andn2_b32 exec_lo, exec_lo, s10
	s_cbranch_execnz .LBB163_6
; %bb.7:
	s_or_b32 exec_lo, exec_lo, s10
.LBB163_8:
	s_or_b32 exec_lo, exec_lo, s9
	v_mbcnt_lo_u32_b32 v7, -1, 0
	v_xor_b32_e32 v8, 4, v7
	v_xor_b32_e32 v10, 2, v7
	;; [unrolled: 1-line block ×3, first 2 shown]
	v_cmp_gt_i32_e32 vcc_lo, 32, v8
	v_cndmask_b32_e32 v8, v7, v8, vcc_lo
	v_cmp_gt_i32_e32 vcc_lo, 32, v10
	v_lshlrev_b32_e32 v8, 2, v8
	v_cndmask_b32_e32 v10, v7, v10, vcc_lo
	v_cmp_gt_i32_e32 vcc_lo, 32, v12
	ds_bpermute_b32 v9, v8, v13
	ds_bpermute_b32 v8, v8, v11
	v_lshlrev_b32_e32 v10, 2, v10
	v_cndmask_b32_e32 v7, v7, v12, vcc_lo
	v_cmp_eq_u32_e32 vcc_lo, 7, v0
	v_lshlrev_b32_e32 v12, 2, v7
	s_waitcnt lgkmcnt(1)
	v_add_f32_e32 v9, v13, v9
	s_waitcnt lgkmcnt(0)
	v_add_f32_e32 v8, v11, v8
	ds_bpermute_b32 v11, v10, v9
	ds_bpermute_b32 v10, v10, v8
	s_waitcnt lgkmcnt(1)
	v_add_f32_e32 v7, v9, v11
	s_waitcnt lgkmcnt(0)
	v_add_f32_e32 v9, v8, v10
	ds_bpermute_b32 v8, v12, v7
	ds_bpermute_b32 v10, v12, v9
	s_and_b32 exec_lo, exec_lo, vcc_lo
	s_cbranch_execz .LBB163_13
; %bb.9:
	s_waitcnt lgkmcnt(0)
	v_add_f32_e32 v0, v9, v10
	v_add_f32_e32 v9, v7, v8
	v_cmp_eq_f32_e32 vcc_lo, 0, v1
	v_cmp_eq_f32_e64 s0, 0, v2
	v_lshlrev_b64 v[5:6], 3, v[5:6]
	v_mul_f32_e64 v7, v0, -v4
	v_mul_f32_e32 v8, v3, v0
	s_and_b32 s0, vcc_lo, s0
	v_fmac_f32_e32 v7, v3, v9
	v_fmac_f32_e32 v8, v4, v9
	s_and_saveexec_b32 s1, s0
	s_xor_b32 s0, exec_lo, s1
	s_cbranch_execz .LBB163_11
; %bb.10:
	v_add_co_u32 v0, vcc_lo, s6, v5
	v_add_co_ci_u32_e64 v1, null, s7, v6, vcc_lo
                                        ; implicit-def: $vgpr5_vgpr6
	global_store_dwordx2 v[0:1], v[7:8], off
                                        ; implicit-def: $vgpr1_vgpr2
                                        ; implicit-def: $vgpr7
.LBB163_11:
	s_andn2_saveexec_b32 s0, s0
	s_cbranch_execz .LBB163_13
; %bb.12:
	v_add_co_u32 v3, vcc_lo, s6, v5
	v_add_co_ci_u32_e64 v4, null, s7, v6, vcc_lo
	global_load_dwordx2 v[5:6], v[3:4], off
	s_waitcnt vmcnt(0)
	v_fmac_f32_e32 v7, v1, v5
	v_fmac_f32_e32 v8, v2, v5
	v_fma_f32 v7, -v2, v6, v7
	v_fmac_f32_e32 v8, v1, v6
	global_store_dwordx2 v[3:4], v[7:8], off
.LBB163_13:
	s_endpgm
	.section	.rodata,"a",@progbits
	.p2align	6, 0x0
	.amdhsa_kernel _ZN9rocsparseL19gebsrmvn_1xn_kernelILj128ELj4ELj8E21rocsparse_complex_numIfEEEvi20rocsparse_direction_NS_24const_host_device_scalarIT2_EEPKiS8_PKS5_SA_S6_PS5_21rocsparse_index_base_b
		.amdhsa_group_segment_fixed_size 0
		.amdhsa_private_segment_fixed_size 0
		.amdhsa_kernarg_size 72
		.amdhsa_user_sgpr_count 6
		.amdhsa_user_sgpr_private_segment_buffer 1
		.amdhsa_user_sgpr_dispatch_ptr 0
		.amdhsa_user_sgpr_queue_ptr 0
		.amdhsa_user_sgpr_kernarg_segment_ptr 1
		.amdhsa_user_sgpr_dispatch_id 0
		.amdhsa_user_sgpr_flat_scratch_init 0
		.amdhsa_user_sgpr_private_segment_size 0
		.amdhsa_wavefront_size32 1
		.amdhsa_uses_dynamic_stack 0
		.amdhsa_system_sgpr_private_segment_wavefront_offset 0
		.amdhsa_system_sgpr_workgroup_id_x 1
		.amdhsa_system_sgpr_workgroup_id_y 0
		.amdhsa_system_sgpr_workgroup_id_z 0
		.amdhsa_system_sgpr_workgroup_info 0
		.amdhsa_system_vgpr_workitem_id 0
		.amdhsa_next_free_vgpr 30
		.amdhsa_next_free_sgpr 13
		.amdhsa_reserve_vcc 1
		.amdhsa_reserve_flat_scratch 0
		.amdhsa_float_round_mode_32 0
		.amdhsa_float_round_mode_16_64 0
		.amdhsa_float_denorm_mode_32 3
		.amdhsa_float_denorm_mode_16_64 3
		.amdhsa_dx10_clamp 1
		.amdhsa_ieee_mode 1
		.amdhsa_fp16_overflow 0
		.amdhsa_workgroup_processor_mode 1
		.amdhsa_memory_ordered 1
		.amdhsa_forward_progress 1
		.amdhsa_shared_vgpr_count 0
		.amdhsa_exception_fp_ieee_invalid_op 0
		.amdhsa_exception_fp_denorm_src 0
		.amdhsa_exception_fp_ieee_div_zero 0
		.amdhsa_exception_fp_ieee_overflow 0
		.amdhsa_exception_fp_ieee_underflow 0
		.amdhsa_exception_fp_ieee_inexact 0
		.amdhsa_exception_int_div_zero 0
	.end_amdhsa_kernel
	.section	.text._ZN9rocsparseL19gebsrmvn_1xn_kernelILj128ELj4ELj8E21rocsparse_complex_numIfEEEvi20rocsparse_direction_NS_24const_host_device_scalarIT2_EEPKiS8_PKS5_SA_S6_PS5_21rocsparse_index_base_b,"axG",@progbits,_ZN9rocsparseL19gebsrmvn_1xn_kernelILj128ELj4ELj8E21rocsparse_complex_numIfEEEvi20rocsparse_direction_NS_24const_host_device_scalarIT2_EEPKiS8_PKS5_SA_S6_PS5_21rocsparse_index_base_b,comdat
.Lfunc_end163:
	.size	_ZN9rocsparseL19gebsrmvn_1xn_kernelILj128ELj4ELj8E21rocsparse_complex_numIfEEEvi20rocsparse_direction_NS_24const_host_device_scalarIT2_EEPKiS8_PKS5_SA_S6_PS5_21rocsparse_index_base_b, .Lfunc_end163-_ZN9rocsparseL19gebsrmvn_1xn_kernelILj128ELj4ELj8E21rocsparse_complex_numIfEEEvi20rocsparse_direction_NS_24const_host_device_scalarIT2_EEPKiS8_PKS5_SA_S6_PS5_21rocsparse_index_base_b
                                        ; -- End function
	.set _ZN9rocsparseL19gebsrmvn_1xn_kernelILj128ELj4ELj8E21rocsparse_complex_numIfEEEvi20rocsparse_direction_NS_24const_host_device_scalarIT2_EEPKiS8_PKS5_SA_S6_PS5_21rocsparse_index_base_b.num_vgpr, 30
	.set _ZN9rocsparseL19gebsrmvn_1xn_kernelILj128ELj4ELj8E21rocsparse_complex_numIfEEEvi20rocsparse_direction_NS_24const_host_device_scalarIT2_EEPKiS8_PKS5_SA_S6_PS5_21rocsparse_index_base_b.num_agpr, 0
	.set _ZN9rocsparseL19gebsrmvn_1xn_kernelILj128ELj4ELj8E21rocsparse_complex_numIfEEEvi20rocsparse_direction_NS_24const_host_device_scalarIT2_EEPKiS8_PKS5_SA_S6_PS5_21rocsparse_index_base_b.numbered_sgpr, 13
	.set _ZN9rocsparseL19gebsrmvn_1xn_kernelILj128ELj4ELj8E21rocsparse_complex_numIfEEEvi20rocsparse_direction_NS_24const_host_device_scalarIT2_EEPKiS8_PKS5_SA_S6_PS5_21rocsparse_index_base_b.num_named_barrier, 0
	.set _ZN9rocsparseL19gebsrmvn_1xn_kernelILj128ELj4ELj8E21rocsparse_complex_numIfEEEvi20rocsparse_direction_NS_24const_host_device_scalarIT2_EEPKiS8_PKS5_SA_S6_PS5_21rocsparse_index_base_b.private_seg_size, 0
	.set _ZN9rocsparseL19gebsrmvn_1xn_kernelILj128ELj4ELj8E21rocsparse_complex_numIfEEEvi20rocsparse_direction_NS_24const_host_device_scalarIT2_EEPKiS8_PKS5_SA_S6_PS5_21rocsparse_index_base_b.uses_vcc, 1
	.set _ZN9rocsparseL19gebsrmvn_1xn_kernelILj128ELj4ELj8E21rocsparse_complex_numIfEEEvi20rocsparse_direction_NS_24const_host_device_scalarIT2_EEPKiS8_PKS5_SA_S6_PS5_21rocsparse_index_base_b.uses_flat_scratch, 0
	.set _ZN9rocsparseL19gebsrmvn_1xn_kernelILj128ELj4ELj8E21rocsparse_complex_numIfEEEvi20rocsparse_direction_NS_24const_host_device_scalarIT2_EEPKiS8_PKS5_SA_S6_PS5_21rocsparse_index_base_b.has_dyn_sized_stack, 0
	.set _ZN9rocsparseL19gebsrmvn_1xn_kernelILj128ELj4ELj8E21rocsparse_complex_numIfEEEvi20rocsparse_direction_NS_24const_host_device_scalarIT2_EEPKiS8_PKS5_SA_S6_PS5_21rocsparse_index_base_b.has_recursion, 0
	.set _ZN9rocsparseL19gebsrmvn_1xn_kernelILj128ELj4ELj8E21rocsparse_complex_numIfEEEvi20rocsparse_direction_NS_24const_host_device_scalarIT2_EEPKiS8_PKS5_SA_S6_PS5_21rocsparse_index_base_b.has_indirect_call, 0
	.section	.AMDGPU.csdata,"",@progbits
; Kernel info:
; codeLenInByte = 920
; TotalNumSgprs: 15
; NumVgprs: 30
; ScratchSize: 0
; MemoryBound: 0
; FloatMode: 240
; IeeeMode: 1
; LDSByteSize: 0 bytes/workgroup (compile time only)
; SGPRBlocks: 0
; VGPRBlocks: 3
; NumSGPRsForWavesPerEU: 15
; NumVGPRsForWavesPerEU: 30
; Occupancy: 16
; WaveLimiterHint : 1
; COMPUTE_PGM_RSRC2:SCRATCH_EN: 0
; COMPUTE_PGM_RSRC2:USER_SGPR: 6
; COMPUTE_PGM_RSRC2:TRAP_HANDLER: 0
; COMPUTE_PGM_RSRC2:TGID_X_EN: 1
; COMPUTE_PGM_RSRC2:TGID_Y_EN: 0
; COMPUTE_PGM_RSRC2:TGID_Z_EN: 0
; COMPUTE_PGM_RSRC2:TIDIG_COMP_CNT: 0
	.section	.text._ZN9rocsparseL19gebsrmvn_1xn_kernelILj128ELj4ELj16E21rocsparse_complex_numIfEEEvi20rocsparse_direction_NS_24const_host_device_scalarIT2_EEPKiS8_PKS5_SA_S6_PS5_21rocsparse_index_base_b,"axG",@progbits,_ZN9rocsparseL19gebsrmvn_1xn_kernelILj128ELj4ELj16E21rocsparse_complex_numIfEEEvi20rocsparse_direction_NS_24const_host_device_scalarIT2_EEPKiS8_PKS5_SA_S6_PS5_21rocsparse_index_base_b,comdat
	.globl	_ZN9rocsparseL19gebsrmvn_1xn_kernelILj128ELj4ELj16E21rocsparse_complex_numIfEEEvi20rocsparse_direction_NS_24const_host_device_scalarIT2_EEPKiS8_PKS5_SA_S6_PS5_21rocsparse_index_base_b ; -- Begin function _ZN9rocsparseL19gebsrmvn_1xn_kernelILj128ELj4ELj16E21rocsparse_complex_numIfEEEvi20rocsparse_direction_NS_24const_host_device_scalarIT2_EEPKiS8_PKS5_SA_S6_PS5_21rocsparse_index_base_b
	.p2align	8
	.type	_ZN9rocsparseL19gebsrmvn_1xn_kernelILj128ELj4ELj16E21rocsparse_complex_numIfEEEvi20rocsparse_direction_NS_24const_host_device_scalarIT2_EEPKiS8_PKS5_SA_S6_PS5_21rocsparse_index_base_b,@function
_ZN9rocsparseL19gebsrmvn_1xn_kernelILj128ELj4ELj16E21rocsparse_complex_numIfEEEvi20rocsparse_direction_NS_24const_host_device_scalarIT2_EEPKiS8_PKS5_SA_S6_PS5_21rocsparse_index_base_b: ; @_ZN9rocsparseL19gebsrmvn_1xn_kernelILj128ELj4ELj16E21rocsparse_complex_numIfEEEvi20rocsparse_direction_NS_24const_host_device_scalarIT2_EEPKiS8_PKS5_SA_S6_PS5_21rocsparse_index_base_b
; %bb.0:
	s_clause 0x2
	s_load_dwordx2 s[8:9], s[4:5], 0x40
	s_load_dwordx2 s[0:1], s[4:5], 0x8
	;; [unrolled: 1-line block ×3, first 2 shown]
	s_add_u32 s7, s4, 8
	s_addc_u32 s10, s5, 0
	s_add_u32 s11, s4, 48
	s_addc_u32 s12, s5, 0
	s_waitcnt lgkmcnt(0)
	s_bitcmp1_b32 s9, 0
	s_cselect_b32 s0, s7, s0
	s_cselect_b32 s1, s10, s1
	v_mov_b32_e32 v1, s0
	v_mov_b32_e32 v2, s1
	s_cselect_b32 s0, s11, s2
	s_cselect_b32 s1, s12, s3
	flat_load_dwordx2 v[3:4], v[1:2]
	v_mov_b32_e32 v1, s0
	v_mov_b32_e32 v2, s1
	flat_load_dwordx2 v[1:2], v[1:2]
	s_waitcnt vmcnt(1) lgkmcnt(1)
	v_cmp_eq_f32_e32 vcc_lo, 0, v3
	v_cmp_eq_f32_e64 s0, 0, v4
	s_and_b32 s2, vcc_lo, s0
	s_mov_b32 s0, -1
	s_and_saveexec_b32 s1, s2
	s_cbranch_execz .LBB164_2
; %bb.1:
	s_waitcnt vmcnt(0) lgkmcnt(0)
	v_cmp_neq_f32_e32 vcc_lo, 1.0, v1
	v_cmp_neq_f32_e64 s0, 0, v2
	s_or_b32 s0, vcc_lo, s0
	s_orn2_b32 s0, s0, exec_lo
.LBB164_2:
	s_or_b32 exec_lo, exec_lo, s1
	s_and_saveexec_b32 s1, s0
	s_cbranch_execz .LBB164_13
; %bb.3:
	s_load_dword s0, s[4:5], 0x0
	v_lshrrev_b32_e32 v5, 4, v0
	v_lshl_or_b32 v5, s6, 3, v5
	s_waitcnt lgkmcnt(0)
	v_cmp_gt_i32_e32 vcc_lo, s0, v5
	s_and_b32 exec_lo, exec_lo, vcc_lo
	s_cbranch_execz .LBB164_13
; %bb.4:
	s_clause 0x1
	s_load_dwordx2 s[0:1], s[4:5], 0x10
	s_load_dwordx2 s[6:7], s[4:5], 0x38
	v_ashrrev_i32_e32 v6, 31, v5
	v_and_b32_e32 v0, 15, v0
	v_mov_b32_e32 v11, 0
	v_mov_b32_e32 v13, 0
	s_mov_b32 s9, exec_lo
	v_lshlrev_b64 v[7:8], 2, v[5:6]
	v_subrev_nc_u32_e32 v9, s8, v0
	s_waitcnt lgkmcnt(0)
	v_add_co_u32 v7, vcc_lo, s0, v7
	v_add_co_ci_u32_e64 v8, null, s1, v8, vcc_lo
	global_load_dwordx2 v[7:8], v[7:8], off
	s_waitcnt vmcnt(0)
	v_subrev_nc_u32_e32 v12, s8, v8
	v_add_nc_u32_e32 v7, v7, v9
	v_cmpx_lt_i32_e64 v7, v12
	s_cbranch_execz .LBB164_8
; %bb.5:
	s_clause 0x1
	s_load_dwordx4 s[0:3], s[4:5], 0x18
	s_load_dwordx2 s[4:5], s[4:5], 0x28
	v_mov_b32_e32 v10, 0
	v_lshlrev_b32_e32 v9, 2, v7
	s_mov_b32 s10, 0
	v_mov_b32_e32 v11, v10
	v_mov_b32_e32 v13, v10
.LBB164_6:                              ; =>This Inner Loop Header: Depth=1
	v_ashrrev_i32_e32 v8, 31, v7
	v_mov_b32_e32 v17, v10
	v_lshlrev_b64 v[14:15], 2, v[7:8]
	v_add_nc_u32_e32 v7, 16, v7
	s_waitcnt lgkmcnt(0)
	v_add_co_u32 v14, vcc_lo, s0, v14
	v_add_co_ci_u32_e64 v15, null, s1, v15, vcc_lo
	global_load_dword v8, v[14:15], off
	v_lshlrev_b64 v[14:15], 3, v[9:10]
	v_add_nc_u32_e32 v9, 64, v9
	v_add_co_u32 v18, vcc_lo, s2, v14
	v_add_co_ci_u32_e64 v19, null, s3, v15, vcc_lo
	s_waitcnt vmcnt(0)
	v_subrev_nc_u32_e32 v8, s8, v8
	v_lshlrev_b32_e32 v16, 2, v8
	v_lshlrev_b64 v[16:17], 3, v[16:17]
	v_add_co_u32 v26, vcc_lo, s4, v16
	v_add_co_ci_u32_e64 v27, null, s5, v17, vcc_lo
	v_cmp_ge_i32_e32 vcc_lo, v7, v12
	s_clause 0x1
	global_load_dwordx4 v[14:17], v[18:19], off offset:16
	global_load_dwordx4 v[18:21], v[18:19], off
	s_clause 0x1
	global_load_dwordx4 v[22:25], v[26:27], off
	global_load_dwordx4 v[26:29], v[26:27], off offset:16
	s_or_b32 s10, vcc_lo, s10
	s_waitcnt vmcnt(1)
	v_fmac_f32_e32 v13, v18, v22
	v_fmac_f32_e32 v11, v19, v22
	v_fma_f32 v8, -v19, v23, v13
	v_fmac_f32_e32 v11, v18, v23
	v_fmac_f32_e32 v8, v20, v24
	;; [unrolled: 1-line block ×3, first 2 shown]
	v_fma_f32 v8, -v21, v25, v8
	v_fmac_f32_e32 v11, v20, v25
	s_waitcnt vmcnt(0)
	v_fmac_f32_e32 v8, v14, v26
	v_fmac_f32_e32 v11, v15, v26
	v_fma_f32 v8, -v15, v27, v8
	v_fmac_f32_e32 v11, v14, v27
	v_fmac_f32_e32 v8, v16, v28
	;; [unrolled: 1-line block ×3, first 2 shown]
	v_fma_f32 v13, -v17, v29, v8
	v_fmac_f32_e32 v11, v16, v29
	s_andn2_b32 exec_lo, exec_lo, s10
	s_cbranch_execnz .LBB164_6
; %bb.7:
	s_or_b32 exec_lo, exec_lo, s10
.LBB164_8:
	s_or_b32 exec_lo, exec_lo, s9
	v_mbcnt_lo_u32_b32 v7, -1, 0
	v_xor_b32_e32 v8, 8, v7
	v_xor_b32_e32 v10, 4, v7
	;; [unrolled: 1-line block ×3, first 2 shown]
	v_cmp_gt_i32_e32 vcc_lo, 32, v8
	v_cndmask_b32_e32 v8, v7, v8, vcc_lo
	v_cmp_gt_i32_e32 vcc_lo, 32, v10
	v_lshlrev_b32_e32 v8, 2, v8
	v_cndmask_b32_e32 v10, v7, v10, vcc_lo
	v_cmp_gt_i32_e32 vcc_lo, 32, v12
	ds_bpermute_b32 v9, v8, v13
	ds_bpermute_b32 v8, v8, v11
	v_lshlrev_b32_e32 v10, 2, v10
	v_cndmask_b32_e32 v12, v7, v12, vcc_lo
	v_lshlrev_b32_e32 v12, 2, v12
	s_waitcnt lgkmcnt(1)
	v_add_f32_e32 v9, v13, v9
	s_waitcnt lgkmcnt(0)
	v_add_f32_e32 v8, v11, v8
	ds_bpermute_b32 v11, v10, v9
	ds_bpermute_b32 v10, v10, v8
	s_waitcnt lgkmcnt(1)
	v_add_f32_e32 v9, v9, v11
	s_waitcnt lgkmcnt(0)
	v_add_f32_e32 v8, v8, v10
	ds_bpermute_b32 v10, v12, v9
	ds_bpermute_b32 v11, v12, v8
	v_xor_b32_e32 v12, 1, v7
	v_cmp_gt_i32_e32 vcc_lo, 32, v12
	v_cndmask_b32_e32 v7, v7, v12, vcc_lo
	v_cmp_eq_u32_e32 vcc_lo, 15, v0
	v_lshlrev_b32_e32 v12, 2, v7
	s_waitcnt lgkmcnt(1)
	v_add_f32_e32 v7, v9, v10
	s_waitcnt lgkmcnt(0)
	v_add_f32_e32 v9, v8, v11
	ds_bpermute_b32 v8, v12, v7
	ds_bpermute_b32 v10, v12, v9
	s_and_b32 exec_lo, exec_lo, vcc_lo
	s_cbranch_execz .LBB164_13
; %bb.9:
	s_waitcnt lgkmcnt(0)
	v_add_f32_e32 v0, v9, v10
	v_add_f32_e32 v9, v7, v8
	v_cmp_eq_f32_e32 vcc_lo, 0, v1
	v_cmp_eq_f32_e64 s0, 0, v2
	v_lshlrev_b64 v[5:6], 3, v[5:6]
	v_mul_f32_e64 v7, v0, -v4
	v_mul_f32_e32 v8, v3, v0
	s_and_b32 s0, vcc_lo, s0
	v_fmac_f32_e32 v7, v3, v9
	v_fmac_f32_e32 v8, v4, v9
	s_and_saveexec_b32 s1, s0
	s_xor_b32 s0, exec_lo, s1
	s_cbranch_execz .LBB164_11
; %bb.10:
	v_add_co_u32 v0, vcc_lo, s6, v5
	v_add_co_ci_u32_e64 v1, null, s7, v6, vcc_lo
                                        ; implicit-def: $vgpr5_vgpr6
	global_store_dwordx2 v[0:1], v[7:8], off
                                        ; implicit-def: $vgpr1_vgpr2
                                        ; implicit-def: $vgpr7
.LBB164_11:
	s_andn2_saveexec_b32 s0, s0
	s_cbranch_execz .LBB164_13
; %bb.12:
	v_add_co_u32 v3, vcc_lo, s6, v5
	v_add_co_ci_u32_e64 v4, null, s7, v6, vcc_lo
	global_load_dwordx2 v[5:6], v[3:4], off
	s_waitcnt vmcnt(0)
	v_fmac_f32_e32 v7, v1, v5
	v_fmac_f32_e32 v8, v2, v5
	v_fma_f32 v7, -v2, v6, v7
	v_fmac_f32_e32 v8, v1, v6
	global_store_dwordx2 v[3:4], v[7:8], off
.LBB164_13:
	s_endpgm
	.section	.rodata,"a",@progbits
	.p2align	6, 0x0
	.amdhsa_kernel _ZN9rocsparseL19gebsrmvn_1xn_kernelILj128ELj4ELj16E21rocsparse_complex_numIfEEEvi20rocsparse_direction_NS_24const_host_device_scalarIT2_EEPKiS8_PKS5_SA_S6_PS5_21rocsparse_index_base_b
		.amdhsa_group_segment_fixed_size 0
		.amdhsa_private_segment_fixed_size 0
		.amdhsa_kernarg_size 72
		.amdhsa_user_sgpr_count 6
		.amdhsa_user_sgpr_private_segment_buffer 1
		.amdhsa_user_sgpr_dispatch_ptr 0
		.amdhsa_user_sgpr_queue_ptr 0
		.amdhsa_user_sgpr_kernarg_segment_ptr 1
		.amdhsa_user_sgpr_dispatch_id 0
		.amdhsa_user_sgpr_flat_scratch_init 0
		.amdhsa_user_sgpr_private_segment_size 0
		.amdhsa_wavefront_size32 1
		.amdhsa_uses_dynamic_stack 0
		.amdhsa_system_sgpr_private_segment_wavefront_offset 0
		.amdhsa_system_sgpr_workgroup_id_x 1
		.amdhsa_system_sgpr_workgroup_id_y 0
		.amdhsa_system_sgpr_workgroup_id_z 0
		.amdhsa_system_sgpr_workgroup_info 0
		.amdhsa_system_vgpr_workitem_id 0
		.amdhsa_next_free_vgpr 30
		.amdhsa_next_free_sgpr 13
		.amdhsa_reserve_vcc 1
		.amdhsa_reserve_flat_scratch 0
		.amdhsa_float_round_mode_32 0
		.amdhsa_float_round_mode_16_64 0
		.amdhsa_float_denorm_mode_32 3
		.amdhsa_float_denorm_mode_16_64 3
		.amdhsa_dx10_clamp 1
		.amdhsa_ieee_mode 1
		.amdhsa_fp16_overflow 0
		.amdhsa_workgroup_processor_mode 1
		.amdhsa_memory_ordered 1
		.amdhsa_forward_progress 1
		.amdhsa_shared_vgpr_count 0
		.amdhsa_exception_fp_ieee_invalid_op 0
		.amdhsa_exception_fp_denorm_src 0
		.amdhsa_exception_fp_ieee_div_zero 0
		.amdhsa_exception_fp_ieee_overflow 0
		.amdhsa_exception_fp_ieee_underflow 0
		.amdhsa_exception_fp_ieee_inexact 0
		.amdhsa_exception_int_div_zero 0
	.end_amdhsa_kernel
	.section	.text._ZN9rocsparseL19gebsrmvn_1xn_kernelILj128ELj4ELj16E21rocsparse_complex_numIfEEEvi20rocsparse_direction_NS_24const_host_device_scalarIT2_EEPKiS8_PKS5_SA_S6_PS5_21rocsparse_index_base_b,"axG",@progbits,_ZN9rocsparseL19gebsrmvn_1xn_kernelILj128ELj4ELj16E21rocsparse_complex_numIfEEEvi20rocsparse_direction_NS_24const_host_device_scalarIT2_EEPKiS8_PKS5_SA_S6_PS5_21rocsparse_index_base_b,comdat
.Lfunc_end164:
	.size	_ZN9rocsparseL19gebsrmvn_1xn_kernelILj128ELj4ELj16E21rocsparse_complex_numIfEEEvi20rocsparse_direction_NS_24const_host_device_scalarIT2_EEPKiS8_PKS5_SA_S6_PS5_21rocsparse_index_base_b, .Lfunc_end164-_ZN9rocsparseL19gebsrmvn_1xn_kernelILj128ELj4ELj16E21rocsparse_complex_numIfEEEvi20rocsparse_direction_NS_24const_host_device_scalarIT2_EEPKiS8_PKS5_SA_S6_PS5_21rocsparse_index_base_b
                                        ; -- End function
	.set _ZN9rocsparseL19gebsrmvn_1xn_kernelILj128ELj4ELj16E21rocsparse_complex_numIfEEEvi20rocsparse_direction_NS_24const_host_device_scalarIT2_EEPKiS8_PKS5_SA_S6_PS5_21rocsparse_index_base_b.num_vgpr, 30
	.set _ZN9rocsparseL19gebsrmvn_1xn_kernelILj128ELj4ELj16E21rocsparse_complex_numIfEEEvi20rocsparse_direction_NS_24const_host_device_scalarIT2_EEPKiS8_PKS5_SA_S6_PS5_21rocsparse_index_base_b.num_agpr, 0
	.set _ZN9rocsparseL19gebsrmvn_1xn_kernelILj128ELj4ELj16E21rocsparse_complex_numIfEEEvi20rocsparse_direction_NS_24const_host_device_scalarIT2_EEPKiS8_PKS5_SA_S6_PS5_21rocsparse_index_base_b.numbered_sgpr, 13
	.set _ZN9rocsparseL19gebsrmvn_1xn_kernelILj128ELj4ELj16E21rocsparse_complex_numIfEEEvi20rocsparse_direction_NS_24const_host_device_scalarIT2_EEPKiS8_PKS5_SA_S6_PS5_21rocsparse_index_base_b.num_named_barrier, 0
	.set _ZN9rocsparseL19gebsrmvn_1xn_kernelILj128ELj4ELj16E21rocsparse_complex_numIfEEEvi20rocsparse_direction_NS_24const_host_device_scalarIT2_EEPKiS8_PKS5_SA_S6_PS5_21rocsparse_index_base_b.private_seg_size, 0
	.set _ZN9rocsparseL19gebsrmvn_1xn_kernelILj128ELj4ELj16E21rocsparse_complex_numIfEEEvi20rocsparse_direction_NS_24const_host_device_scalarIT2_EEPKiS8_PKS5_SA_S6_PS5_21rocsparse_index_base_b.uses_vcc, 1
	.set _ZN9rocsparseL19gebsrmvn_1xn_kernelILj128ELj4ELj16E21rocsparse_complex_numIfEEEvi20rocsparse_direction_NS_24const_host_device_scalarIT2_EEPKiS8_PKS5_SA_S6_PS5_21rocsparse_index_base_b.uses_flat_scratch, 0
	.set _ZN9rocsparseL19gebsrmvn_1xn_kernelILj128ELj4ELj16E21rocsparse_complex_numIfEEEvi20rocsparse_direction_NS_24const_host_device_scalarIT2_EEPKiS8_PKS5_SA_S6_PS5_21rocsparse_index_base_b.has_dyn_sized_stack, 0
	.set _ZN9rocsparseL19gebsrmvn_1xn_kernelILj128ELj4ELj16E21rocsparse_complex_numIfEEEvi20rocsparse_direction_NS_24const_host_device_scalarIT2_EEPKiS8_PKS5_SA_S6_PS5_21rocsparse_index_base_b.has_recursion, 0
	.set _ZN9rocsparseL19gebsrmvn_1xn_kernelILj128ELj4ELj16E21rocsparse_complex_numIfEEEvi20rocsparse_direction_NS_24const_host_device_scalarIT2_EEPKiS8_PKS5_SA_S6_PS5_21rocsparse_index_base_b.has_indirect_call, 0
	.section	.AMDGPU.csdata,"",@progbits
; Kernel info:
; codeLenInByte = 968
; TotalNumSgprs: 15
; NumVgprs: 30
; ScratchSize: 0
; MemoryBound: 0
; FloatMode: 240
; IeeeMode: 1
; LDSByteSize: 0 bytes/workgroup (compile time only)
; SGPRBlocks: 0
; VGPRBlocks: 3
; NumSGPRsForWavesPerEU: 15
; NumVGPRsForWavesPerEU: 30
; Occupancy: 16
; WaveLimiterHint : 1
; COMPUTE_PGM_RSRC2:SCRATCH_EN: 0
; COMPUTE_PGM_RSRC2:USER_SGPR: 6
; COMPUTE_PGM_RSRC2:TRAP_HANDLER: 0
; COMPUTE_PGM_RSRC2:TGID_X_EN: 1
; COMPUTE_PGM_RSRC2:TGID_Y_EN: 0
; COMPUTE_PGM_RSRC2:TGID_Z_EN: 0
; COMPUTE_PGM_RSRC2:TIDIG_COMP_CNT: 0
	.section	.text._ZN9rocsparseL19gebsrmvn_1xn_kernelILj128ELj4ELj32E21rocsparse_complex_numIfEEEvi20rocsparse_direction_NS_24const_host_device_scalarIT2_EEPKiS8_PKS5_SA_S6_PS5_21rocsparse_index_base_b,"axG",@progbits,_ZN9rocsparseL19gebsrmvn_1xn_kernelILj128ELj4ELj32E21rocsparse_complex_numIfEEEvi20rocsparse_direction_NS_24const_host_device_scalarIT2_EEPKiS8_PKS5_SA_S6_PS5_21rocsparse_index_base_b,comdat
	.globl	_ZN9rocsparseL19gebsrmvn_1xn_kernelILj128ELj4ELj32E21rocsparse_complex_numIfEEEvi20rocsparse_direction_NS_24const_host_device_scalarIT2_EEPKiS8_PKS5_SA_S6_PS5_21rocsparse_index_base_b ; -- Begin function _ZN9rocsparseL19gebsrmvn_1xn_kernelILj128ELj4ELj32E21rocsparse_complex_numIfEEEvi20rocsparse_direction_NS_24const_host_device_scalarIT2_EEPKiS8_PKS5_SA_S6_PS5_21rocsparse_index_base_b
	.p2align	8
	.type	_ZN9rocsparseL19gebsrmvn_1xn_kernelILj128ELj4ELj32E21rocsparse_complex_numIfEEEvi20rocsparse_direction_NS_24const_host_device_scalarIT2_EEPKiS8_PKS5_SA_S6_PS5_21rocsparse_index_base_b,@function
_ZN9rocsparseL19gebsrmvn_1xn_kernelILj128ELj4ELj32E21rocsparse_complex_numIfEEEvi20rocsparse_direction_NS_24const_host_device_scalarIT2_EEPKiS8_PKS5_SA_S6_PS5_21rocsparse_index_base_b: ; @_ZN9rocsparseL19gebsrmvn_1xn_kernelILj128ELj4ELj32E21rocsparse_complex_numIfEEEvi20rocsparse_direction_NS_24const_host_device_scalarIT2_EEPKiS8_PKS5_SA_S6_PS5_21rocsparse_index_base_b
; %bb.0:
	s_clause 0x2
	s_load_dwordx2 s[8:9], s[4:5], 0x40
	s_load_dwordx2 s[0:1], s[4:5], 0x8
	;; [unrolled: 1-line block ×3, first 2 shown]
	s_add_u32 s7, s4, 8
	s_addc_u32 s10, s5, 0
	s_add_u32 s11, s4, 48
	s_addc_u32 s12, s5, 0
	s_waitcnt lgkmcnt(0)
	s_bitcmp1_b32 s9, 0
	s_cselect_b32 s0, s7, s0
	s_cselect_b32 s1, s10, s1
	v_mov_b32_e32 v1, s0
	v_mov_b32_e32 v2, s1
	s_cselect_b32 s0, s11, s2
	s_cselect_b32 s1, s12, s3
	flat_load_dwordx2 v[3:4], v[1:2]
	v_mov_b32_e32 v1, s0
	v_mov_b32_e32 v2, s1
	flat_load_dwordx2 v[1:2], v[1:2]
	s_waitcnt vmcnt(1) lgkmcnt(1)
	v_cmp_eq_f32_e32 vcc_lo, 0, v3
	v_cmp_eq_f32_e64 s0, 0, v4
	s_and_b32 s2, vcc_lo, s0
	s_mov_b32 s0, -1
	s_and_saveexec_b32 s1, s2
	s_cbranch_execz .LBB165_2
; %bb.1:
	s_waitcnt vmcnt(0) lgkmcnt(0)
	v_cmp_neq_f32_e32 vcc_lo, 1.0, v1
	v_cmp_neq_f32_e64 s0, 0, v2
	s_or_b32 s0, vcc_lo, s0
	s_orn2_b32 s0, s0, exec_lo
.LBB165_2:
	s_or_b32 exec_lo, exec_lo, s1
	s_and_saveexec_b32 s1, s0
	s_cbranch_execz .LBB165_13
; %bb.3:
	s_load_dword s0, s[4:5], 0x0
	v_lshrrev_b32_e32 v5, 5, v0
	v_lshl_or_b32 v5, s6, 2, v5
	s_waitcnt lgkmcnt(0)
	v_cmp_gt_i32_e32 vcc_lo, s0, v5
	s_and_b32 exec_lo, exec_lo, vcc_lo
	s_cbranch_execz .LBB165_13
; %bb.4:
	s_clause 0x1
	s_load_dwordx2 s[0:1], s[4:5], 0x10
	s_load_dwordx2 s[6:7], s[4:5], 0x38
	v_ashrrev_i32_e32 v6, 31, v5
	v_and_b32_e32 v0, 31, v0
	v_mov_b32_e32 v11, 0
	v_mov_b32_e32 v13, 0
	s_mov_b32 s9, exec_lo
	v_lshlrev_b64 v[7:8], 2, v[5:6]
	v_subrev_nc_u32_e32 v9, s8, v0
	s_waitcnt lgkmcnt(0)
	v_add_co_u32 v7, vcc_lo, s0, v7
	v_add_co_ci_u32_e64 v8, null, s1, v8, vcc_lo
	global_load_dwordx2 v[7:8], v[7:8], off
	s_waitcnt vmcnt(0)
	v_subrev_nc_u32_e32 v12, s8, v8
	v_add_nc_u32_e32 v7, v7, v9
	v_cmpx_lt_i32_e64 v7, v12
	s_cbranch_execz .LBB165_8
; %bb.5:
	s_clause 0x1
	s_load_dwordx4 s[0:3], s[4:5], 0x18
	s_load_dwordx2 s[4:5], s[4:5], 0x28
	v_mov_b32_e32 v10, 0
	v_lshlrev_b32_e32 v9, 2, v7
	s_mov_b32 s10, 0
	v_mov_b32_e32 v11, v10
	v_mov_b32_e32 v13, v10
.LBB165_6:                              ; =>This Inner Loop Header: Depth=1
	v_ashrrev_i32_e32 v8, 31, v7
	v_mov_b32_e32 v17, v10
	v_lshlrev_b64 v[14:15], 2, v[7:8]
	v_add_nc_u32_e32 v7, 32, v7
	s_waitcnt lgkmcnt(0)
	v_add_co_u32 v14, vcc_lo, s0, v14
	v_add_co_ci_u32_e64 v15, null, s1, v15, vcc_lo
	global_load_dword v8, v[14:15], off
	v_lshlrev_b64 v[14:15], 3, v[9:10]
	v_add_nc_u32_e32 v9, 0x80, v9
	v_add_co_u32 v18, vcc_lo, s2, v14
	v_add_co_ci_u32_e64 v19, null, s3, v15, vcc_lo
	s_waitcnt vmcnt(0)
	v_subrev_nc_u32_e32 v8, s8, v8
	v_lshlrev_b32_e32 v16, 2, v8
	v_lshlrev_b64 v[16:17], 3, v[16:17]
	v_add_co_u32 v26, vcc_lo, s4, v16
	v_add_co_ci_u32_e64 v27, null, s5, v17, vcc_lo
	v_cmp_ge_i32_e32 vcc_lo, v7, v12
	s_clause 0x1
	global_load_dwordx4 v[14:17], v[18:19], off offset:16
	global_load_dwordx4 v[18:21], v[18:19], off
	s_clause 0x1
	global_load_dwordx4 v[22:25], v[26:27], off
	global_load_dwordx4 v[26:29], v[26:27], off offset:16
	s_or_b32 s10, vcc_lo, s10
	s_waitcnt vmcnt(1)
	v_fmac_f32_e32 v13, v18, v22
	v_fmac_f32_e32 v11, v19, v22
	v_fma_f32 v8, -v19, v23, v13
	v_fmac_f32_e32 v11, v18, v23
	v_fmac_f32_e32 v8, v20, v24
	;; [unrolled: 1-line block ×3, first 2 shown]
	v_fma_f32 v8, -v21, v25, v8
	v_fmac_f32_e32 v11, v20, v25
	s_waitcnt vmcnt(0)
	v_fmac_f32_e32 v8, v14, v26
	v_fmac_f32_e32 v11, v15, v26
	v_fma_f32 v8, -v15, v27, v8
	v_fmac_f32_e32 v11, v14, v27
	v_fmac_f32_e32 v8, v16, v28
	;; [unrolled: 1-line block ×3, first 2 shown]
	v_fma_f32 v13, -v17, v29, v8
	v_fmac_f32_e32 v11, v16, v29
	s_andn2_b32 exec_lo, exec_lo, s10
	s_cbranch_execnz .LBB165_6
; %bb.7:
	s_or_b32 exec_lo, exec_lo, s10
.LBB165_8:
	s_or_b32 exec_lo, exec_lo, s9
	v_mbcnt_lo_u32_b32 v7, -1, 0
	v_xor_b32_e32 v8, 16, v7
	v_xor_b32_e32 v10, 8, v7
	;; [unrolled: 1-line block ×3, first 2 shown]
	v_cmp_gt_i32_e32 vcc_lo, 32, v8
	v_cndmask_b32_e32 v8, v7, v8, vcc_lo
	v_cmp_gt_i32_e32 vcc_lo, 32, v10
	v_lshlrev_b32_e32 v8, 2, v8
	v_cndmask_b32_e32 v10, v7, v10, vcc_lo
	v_cmp_gt_i32_e32 vcc_lo, 32, v12
	ds_bpermute_b32 v9, v8, v13
	ds_bpermute_b32 v8, v8, v11
	v_lshlrev_b32_e32 v10, 2, v10
	v_cndmask_b32_e32 v12, v7, v12, vcc_lo
	v_lshlrev_b32_e32 v12, 2, v12
	s_waitcnt lgkmcnt(1)
	v_add_f32_e32 v9, v13, v9
	s_waitcnt lgkmcnt(0)
	v_add_f32_e32 v8, v11, v8
	ds_bpermute_b32 v11, v10, v9
	ds_bpermute_b32 v10, v10, v8
	s_waitcnt lgkmcnt(1)
	v_add_f32_e32 v9, v9, v11
	s_waitcnt lgkmcnt(0)
	v_add_f32_e32 v8, v8, v10
	ds_bpermute_b32 v10, v12, v9
	ds_bpermute_b32 v11, v12, v8
	v_xor_b32_e32 v12, 2, v7
	v_cmp_gt_i32_e32 vcc_lo, 32, v12
	v_cndmask_b32_e32 v12, v7, v12, vcc_lo
	v_lshlrev_b32_e32 v12, 2, v12
	s_waitcnt lgkmcnt(1)
	v_add_f32_e32 v9, v9, v10
	s_waitcnt lgkmcnt(0)
	v_add_f32_e32 v8, v8, v11
	ds_bpermute_b32 v10, v12, v9
	ds_bpermute_b32 v11, v12, v8
	v_xor_b32_e32 v12, 1, v7
	v_cmp_gt_i32_e32 vcc_lo, 32, v12
	v_cndmask_b32_e32 v7, v7, v12, vcc_lo
	v_cmp_eq_u32_e32 vcc_lo, 31, v0
	v_lshlrev_b32_e32 v12, 2, v7
	s_waitcnt lgkmcnt(1)
	v_add_f32_e32 v7, v9, v10
	s_waitcnt lgkmcnt(0)
	v_add_f32_e32 v9, v8, v11
	ds_bpermute_b32 v8, v12, v7
	ds_bpermute_b32 v10, v12, v9
	s_and_b32 exec_lo, exec_lo, vcc_lo
	s_cbranch_execz .LBB165_13
; %bb.9:
	s_waitcnt lgkmcnt(0)
	v_add_f32_e32 v0, v9, v10
	v_add_f32_e32 v9, v7, v8
	v_cmp_eq_f32_e32 vcc_lo, 0, v1
	v_cmp_eq_f32_e64 s0, 0, v2
	v_lshlrev_b64 v[5:6], 3, v[5:6]
	v_mul_f32_e64 v7, v0, -v4
	v_mul_f32_e32 v8, v3, v0
	s_and_b32 s0, vcc_lo, s0
	v_fmac_f32_e32 v7, v3, v9
	v_fmac_f32_e32 v8, v4, v9
	s_and_saveexec_b32 s1, s0
	s_xor_b32 s0, exec_lo, s1
	s_cbranch_execz .LBB165_11
; %bb.10:
	v_add_co_u32 v0, vcc_lo, s6, v5
	v_add_co_ci_u32_e64 v1, null, s7, v6, vcc_lo
                                        ; implicit-def: $vgpr5_vgpr6
	global_store_dwordx2 v[0:1], v[7:8], off
                                        ; implicit-def: $vgpr1_vgpr2
                                        ; implicit-def: $vgpr7
.LBB165_11:
	s_andn2_saveexec_b32 s0, s0
	s_cbranch_execz .LBB165_13
; %bb.12:
	v_add_co_u32 v3, vcc_lo, s6, v5
	v_add_co_ci_u32_e64 v4, null, s7, v6, vcc_lo
	global_load_dwordx2 v[5:6], v[3:4], off
	s_waitcnt vmcnt(0)
	v_fmac_f32_e32 v7, v1, v5
	v_fmac_f32_e32 v8, v2, v5
	v_fma_f32 v7, -v2, v6, v7
	v_fmac_f32_e32 v8, v1, v6
	global_store_dwordx2 v[3:4], v[7:8], off
.LBB165_13:
	s_endpgm
	.section	.rodata,"a",@progbits
	.p2align	6, 0x0
	.amdhsa_kernel _ZN9rocsparseL19gebsrmvn_1xn_kernelILj128ELj4ELj32E21rocsparse_complex_numIfEEEvi20rocsparse_direction_NS_24const_host_device_scalarIT2_EEPKiS8_PKS5_SA_S6_PS5_21rocsparse_index_base_b
		.amdhsa_group_segment_fixed_size 0
		.amdhsa_private_segment_fixed_size 0
		.amdhsa_kernarg_size 72
		.amdhsa_user_sgpr_count 6
		.amdhsa_user_sgpr_private_segment_buffer 1
		.amdhsa_user_sgpr_dispatch_ptr 0
		.amdhsa_user_sgpr_queue_ptr 0
		.amdhsa_user_sgpr_kernarg_segment_ptr 1
		.amdhsa_user_sgpr_dispatch_id 0
		.amdhsa_user_sgpr_flat_scratch_init 0
		.amdhsa_user_sgpr_private_segment_size 0
		.amdhsa_wavefront_size32 1
		.amdhsa_uses_dynamic_stack 0
		.amdhsa_system_sgpr_private_segment_wavefront_offset 0
		.amdhsa_system_sgpr_workgroup_id_x 1
		.amdhsa_system_sgpr_workgroup_id_y 0
		.amdhsa_system_sgpr_workgroup_id_z 0
		.amdhsa_system_sgpr_workgroup_info 0
		.amdhsa_system_vgpr_workitem_id 0
		.amdhsa_next_free_vgpr 30
		.amdhsa_next_free_sgpr 13
		.amdhsa_reserve_vcc 1
		.amdhsa_reserve_flat_scratch 0
		.amdhsa_float_round_mode_32 0
		.amdhsa_float_round_mode_16_64 0
		.amdhsa_float_denorm_mode_32 3
		.amdhsa_float_denorm_mode_16_64 3
		.amdhsa_dx10_clamp 1
		.amdhsa_ieee_mode 1
		.amdhsa_fp16_overflow 0
		.amdhsa_workgroup_processor_mode 1
		.amdhsa_memory_ordered 1
		.amdhsa_forward_progress 1
		.amdhsa_shared_vgpr_count 0
		.amdhsa_exception_fp_ieee_invalid_op 0
		.amdhsa_exception_fp_denorm_src 0
		.amdhsa_exception_fp_ieee_div_zero 0
		.amdhsa_exception_fp_ieee_overflow 0
		.amdhsa_exception_fp_ieee_underflow 0
		.amdhsa_exception_fp_ieee_inexact 0
		.amdhsa_exception_int_div_zero 0
	.end_amdhsa_kernel
	.section	.text._ZN9rocsparseL19gebsrmvn_1xn_kernelILj128ELj4ELj32E21rocsparse_complex_numIfEEEvi20rocsparse_direction_NS_24const_host_device_scalarIT2_EEPKiS8_PKS5_SA_S6_PS5_21rocsparse_index_base_b,"axG",@progbits,_ZN9rocsparseL19gebsrmvn_1xn_kernelILj128ELj4ELj32E21rocsparse_complex_numIfEEEvi20rocsparse_direction_NS_24const_host_device_scalarIT2_EEPKiS8_PKS5_SA_S6_PS5_21rocsparse_index_base_b,comdat
.Lfunc_end165:
	.size	_ZN9rocsparseL19gebsrmvn_1xn_kernelILj128ELj4ELj32E21rocsparse_complex_numIfEEEvi20rocsparse_direction_NS_24const_host_device_scalarIT2_EEPKiS8_PKS5_SA_S6_PS5_21rocsparse_index_base_b, .Lfunc_end165-_ZN9rocsparseL19gebsrmvn_1xn_kernelILj128ELj4ELj32E21rocsparse_complex_numIfEEEvi20rocsparse_direction_NS_24const_host_device_scalarIT2_EEPKiS8_PKS5_SA_S6_PS5_21rocsparse_index_base_b
                                        ; -- End function
	.set _ZN9rocsparseL19gebsrmvn_1xn_kernelILj128ELj4ELj32E21rocsparse_complex_numIfEEEvi20rocsparse_direction_NS_24const_host_device_scalarIT2_EEPKiS8_PKS5_SA_S6_PS5_21rocsparse_index_base_b.num_vgpr, 30
	.set _ZN9rocsparseL19gebsrmvn_1xn_kernelILj128ELj4ELj32E21rocsparse_complex_numIfEEEvi20rocsparse_direction_NS_24const_host_device_scalarIT2_EEPKiS8_PKS5_SA_S6_PS5_21rocsparse_index_base_b.num_agpr, 0
	.set _ZN9rocsparseL19gebsrmvn_1xn_kernelILj128ELj4ELj32E21rocsparse_complex_numIfEEEvi20rocsparse_direction_NS_24const_host_device_scalarIT2_EEPKiS8_PKS5_SA_S6_PS5_21rocsparse_index_base_b.numbered_sgpr, 13
	.set _ZN9rocsparseL19gebsrmvn_1xn_kernelILj128ELj4ELj32E21rocsparse_complex_numIfEEEvi20rocsparse_direction_NS_24const_host_device_scalarIT2_EEPKiS8_PKS5_SA_S6_PS5_21rocsparse_index_base_b.num_named_barrier, 0
	.set _ZN9rocsparseL19gebsrmvn_1xn_kernelILj128ELj4ELj32E21rocsparse_complex_numIfEEEvi20rocsparse_direction_NS_24const_host_device_scalarIT2_EEPKiS8_PKS5_SA_S6_PS5_21rocsparse_index_base_b.private_seg_size, 0
	.set _ZN9rocsparseL19gebsrmvn_1xn_kernelILj128ELj4ELj32E21rocsparse_complex_numIfEEEvi20rocsparse_direction_NS_24const_host_device_scalarIT2_EEPKiS8_PKS5_SA_S6_PS5_21rocsparse_index_base_b.uses_vcc, 1
	.set _ZN9rocsparseL19gebsrmvn_1xn_kernelILj128ELj4ELj32E21rocsparse_complex_numIfEEEvi20rocsparse_direction_NS_24const_host_device_scalarIT2_EEPKiS8_PKS5_SA_S6_PS5_21rocsparse_index_base_b.uses_flat_scratch, 0
	.set _ZN9rocsparseL19gebsrmvn_1xn_kernelILj128ELj4ELj32E21rocsparse_complex_numIfEEEvi20rocsparse_direction_NS_24const_host_device_scalarIT2_EEPKiS8_PKS5_SA_S6_PS5_21rocsparse_index_base_b.has_dyn_sized_stack, 0
	.set _ZN9rocsparseL19gebsrmvn_1xn_kernelILj128ELj4ELj32E21rocsparse_complex_numIfEEEvi20rocsparse_direction_NS_24const_host_device_scalarIT2_EEPKiS8_PKS5_SA_S6_PS5_21rocsparse_index_base_b.has_recursion, 0
	.set _ZN9rocsparseL19gebsrmvn_1xn_kernelILj128ELj4ELj32E21rocsparse_complex_numIfEEEvi20rocsparse_direction_NS_24const_host_device_scalarIT2_EEPKiS8_PKS5_SA_S6_PS5_21rocsparse_index_base_b.has_indirect_call, 0
	.section	.AMDGPU.csdata,"",@progbits
; Kernel info:
; codeLenInByte = 1020
; TotalNumSgprs: 15
; NumVgprs: 30
; ScratchSize: 0
; MemoryBound: 0
; FloatMode: 240
; IeeeMode: 1
; LDSByteSize: 0 bytes/workgroup (compile time only)
; SGPRBlocks: 0
; VGPRBlocks: 3
; NumSGPRsForWavesPerEU: 15
; NumVGPRsForWavesPerEU: 30
; Occupancy: 16
; WaveLimiterHint : 1
; COMPUTE_PGM_RSRC2:SCRATCH_EN: 0
; COMPUTE_PGM_RSRC2:USER_SGPR: 6
; COMPUTE_PGM_RSRC2:TRAP_HANDLER: 0
; COMPUTE_PGM_RSRC2:TGID_X_EN: 1
; COMPUTE_PGM_RSRC2:TGID_Y_EN: 0
; COMPUTE_PGM_RSRC2:TGID_Z_EN: 0
; COMPUTE_PGM_RSRC2:TIDIG_COMP_CNT: 0
	.section	.text._ZN9rocsparseL19gebsrmvn_1xn_kernelILj128ELj4ELj64E21rocsparse_complex_numIfEEEvi20rocsparse_direction_NS_24const_host_device_scalarIT2_EEPKiS8_PKS5_SA_S6_PS5_21rocsparse_index_base_b,"axG",@progbits,_ZN9rocsparseL19gebsrmvn_1xn_kernelILj128ELj4ELj64E21rocsparse_complex_numIfEEEvi20rocsparse_direction_NS_24const_host_device_scalarIT2_EEPKiS8_PKS5_SA_S6_PS5_21rocsparse_index_base_b,comdat
	.globl	_ZN9rocsparseL19gebsrmvn_1xn_kernelILj128ELj4ELj64E21rocsparse_complex_numIfEEEvi20rocsparse_direction_NS_24const_host_device_scalarIT2_EEPKiS8_PKS5_SA_S6_PS5_21rocsparse_index_base_b ; -- Begin function _ZN9rocsparseL19gebsrmvn_1xn_kernelILj128ELj4ELj64E21rocsparse_complex_numIfEEEvi20rocsparse_direction_NS_24const_host_device_scalarIT2_EEPKiS8_PKS5_SA_S6_PS5_21rocsparse_index_base_b
	.p2align	8
	.type	_ZN9rocsparseL19gebsrmvn_1xn_kernelILj128ELj4ELj64E21rocsparse_complex_numIfEEEvi20rocsparse_direction_NS_24const_host_device_scalarIT2_EEPKiS8_PKS5_SA_S6_PS5_21rocsparse_index_base_b,@function
_ZN9rocsparseL19gebsrmvn_1xn_kernelILj128ELj4ELj64E21rocsparse_complex_numIfEEEvi20rocsparse_direction_NS_24const_host_device_scalarIT2_EEPKiS8_PKS5_SA_S6_PS5_21rocsparse_index_base_b: ; @_ZN9rocsparseL19gebsrmvn_1xn_kernelILj128ELj4ELj64E21rocsparse_complex_numIfEEEvi20rocsparse_direction_NS_24const_host_device_scalarIT2_EEPKiS8_PKS5_SA_S6_PS5_21rocsparse_index_base_b
; %bb.0:
	s_clause 0x2
	s_load_dwordx2 s[8:9], s[4:5], 0x40
	s_load_dwordx2 s[0:1], s[4:5], 0x8
	;; [unrolled: 1-line block ×3, first 2 shown]
	s_add_u32 s7, s4, 8
	s_addc_u32 s10, s5, 0
	s_add_u32 s11, s4, 48
	s_addc_u32 s12, s5, 0
	s_waitcnt lgkmcnt(0)
	s_bitcmp1_b32 s9, 0
	s_cselect_b32 s0, s7, s0
	s_cselect_b32 s1, s10, s1
	v_mov_b32_e32 v1, s0
	v_mov_b32_e32 v2, s1
	s_cselect_b32 s0, s11, s2
	s_cselect_b32 s1, s12, s3
	flat_load_dwordx2 v[3:4], v[1:2]
	v_mov_b32_e32 v1, s0
	v_mov_b32_e32 v2, s1
	flat_load_dwordx2 v[1:2], v[1:2]
	s_waitcnt vmcnt(1) lgkmcnt(1)
	v_cmp_eq_f32_e32 vcc_lo, 0, v3
	v_cmp_eq_f32_e64 s0, 0, v4
	s_and_b32 s2, vcc_lo, s0
	s_mov_b32 s0, -1
	s_and_saveexec_b32 s1, s2
	s_cbranch_execz .LBB166_2
; %bb.1:
	s_waitcnt vmcnt(0) lgkmcnt(0)
	v_cmp_neq_f32_e32 vcc_lo, 1.0, v1
	v_cmp_neq_f32_e64 s0, 0, v2
	s_or_b32 s0, vcc_lo, s0
	s_orn2_b32 s0, s0, exec_lo
.LBB166_2:
	s_or_b32 exec_lo, exec_lo, s1
	s_and_saveexec_b32 s1, s0
	s_cbranch_execz .LBB166_13
; %bb.3:
	s_load_dword s0, s[4:5], 0x0
	v_lshrrev_b32_e32 v5, 6, v0
	v_lshl_or_b32 v5, s6, 1, v5
	s_waitcnt lgkmcnt(0)
	v_cmp_gt_i32_e32 vcc_lo, s0, v5
	s_and_b32 exec_lo, exec_lo, vcc_lo
	s_cbranch_execz .LBB166_13
; %bb.4:
	s_clause 0x1
	s_load_dwordx2 s[0:1], s[4:5], 0x10
	s_load_dwordx2 s[6:7], s[4:5], 0x38
	v_ashrrev_i32_e32 v6, 31, v5
	v_and_b32_e32 v0, 63, v0
	v_mov_b32_e32 v11, 0
	v_mov_b32_e32 v12, 0
	s_mov_b32 s9, exec_lo
	v_lshlrev_b64 v[7:8], 2, v[5:6]
	v_subrev_nc_u32_e32 v9, s8, v0
	s_waitcnt lgkmcnt(0)
	v_add_co_u32 v7, vcc_lo, s0, v7
	v_add_co_ci_u32_e64 v8, null, s1, v8, vcc_lo
	global_load_dwordx2 v[7:8], v[7:8], off
	s_waitcnt vmcnt(0)
	v_subrev_nc_u32_e32 v13, s8, v8
	v_add_nc_u32_e32 v7, v7, v9
	v_cmpx_lt_i32_e64 v7, v13
	s_cbranch_execz .LBB166_8
; %bb.5:
	s_clause 0x1
	s_load_dwordx4 s[0:3], s[4:5], 0x18
	s_load_dwordx2 s[4:5], s[4:5], 0x28
	v_mov_b32_e32 v10, 0
	v_lshlrev_b32_e32 v9, 2, v7
	s_mov_b32 s10, 0
	v_mov_b32_e32 v11, v10
	v_mov_b32_e32 v12, v10
.LBB166_6:                              ; =>This Inner Loop Header: Depth=1
	v_ashrrev_i32_e32 v8, 31, v7
	v_mov_b32_e32 v17, v10
	v_lshlrev_b64 v[14:15], 2, v[7:8]
	v_add_nc_u32_e32 v7, 64, v7
	s_waitcnt lgkmcnt(0)
	v_add_co_u32 v14, vcc_lo, s0, v14
	v_add_co_ci_u32_e64 v15, null, s1, v15, vcc_lo
	global_load_dword v8, v[14:15], off
	v_lshlrev_b64 v[14:15], 3, v[9:10]
	v_add_nc_u32_e32 v9, 0x100, v9
	v_add_co_u32 v18, vcc_lo, s2, v14
	v_add_co_ci_u32_e64 v19, null, s3, v15, vcc_lo
	s_waitcnt vmcnt(0)
	v_subrev_nc_u32_e32 v8, s8, v8
	v_lshlrev_b32_e32 v16, 2, v8
	v_lshlrev_b64 v[16:17], 3, v[16:17]
	v_add_co_u32 v26, vcc_lo, s4, v16
	v_add_co_ci_u32_e64 v27, null, s5, v17, vcc_lo
	v_cmp_ge_i32_e32 vcc_lo, v7, v13
	s_clause 0x1
	global_load_dwordx4 v[14:17], v[18:19], off offset:16
	global_load_dwordx4 v[18:21], v[18:19], off
	s_clause 0x1
	global_load_dwordx4 v[22:25], v[26:27], off
	global_load_dwordx4 v[26:29], v[26:27], off offset:16
	s_or_b32 s10, vcc_lo, s10
	s_waitcnt vmcnt(1)
	v_fmac_f32_e32 v12, v18, v22
	v_fmac_f32_e32 v11, v19, v22
	v_fma_f32 v8, -v19, v23, v12
	v_fmac_f32_e32 v11, v18, v23
	v_fmac_f32_e32 v8, v20, v24
	;; [unrolled: 1-line block ×3, first 2 shown]
	v_fma_f32 v8, -v21, v25, v8
	v_fmac_f32_e32 v11, v20, v25
	s_waitcnt vmcnt(0)
	v_fmac_f32_e32 v8, v14, v26
	v_fmac_f32_e32 v11, v15, v26
	v_fma_f32 v8, -v15, v27, v8
	v_fmac_f32_e32 v11, v14, v27
	v_fmac_f32_e32 v8, v16, v28
	;; [unrolled: 1-line block ×3, first 2 shown]
	v_fma_f32 v12, -v17, v29, v8
	v_fmac_f32_e32 v11, v16, v29
	s_andn2_b32 exec_lo, exec_lo, s10
	s_cbranch_execnz .LBB166_6
; %bb.7:
	s_or_b32 exec_lo, exec_lo, s10
.LBB166_8:
	s_or_b32 exec_lo, exec_lo, s9
	v_mbcnt_lo_u32_b32 v7, -1, 0
	v_or_b32_e32 v8, 32, v7
	v_xor_b32_e32 v10, 16, v7
	v_cmp_gt_i32_e32 vcc_lo, 32, v8
	v_cndmask_b32_e32 v8, v7, v8, vcc_lo
	v_cmp_gt_i32_e32 vcc_lo, 32, v10
	v_lshlrev_b32_e32 v8, 2, v8
	v_cndmask_b32_e32 v10, v7, v10, vcc_lo
	ds_bpermute_b32 v9, v8, v12
	ds_bpermute_b32 v8, v8, v11
	v_lshlrev_b32_e32 v10, 2, v10
	s_waitcnt lgkmcnt(1)
	v_add_f32_e32 v9, v12, v9
	s_waitcnt lgkmcnt(0)
	v_add_f32_e32 v8, v11, v8
	v_xor_b32_e32 v12, 8, v7
	ds_bpermute_b32 v11, v10, v9
	ds_bpermute_b32 v10, v10, v8
	v_cmp_gt_i32_e32 vcc_lo, 32, v12
	v_cndmask_b32_e32 v12, v7, v12, vcc_lo
	v_lshlrev_b32_e32 v12, 2, v12
	s_waitcnt lgkmcnt(1)
	v_add_f32_e32 v9, v9, v11
	s_waitcnt lgkmcnt(0)
	v_add_f32_e32 v8, v8, v10
	ds_bpermute_b32 v10, v12, v9
	ds_bpermute_b32 v11, v12, v8
	v_xor_b32_e32 v12, 4, v7
	v_cmp_gt_i32_e32 vcc_lo, 32, v12
	v_cndmask_b32_e32 v12, v7, v12, vcc_lo
	v_lshlrev_b32_e32 v12, 2, v12
	s_waitcnt lgkmcnt(1)
	v_add_f32_e32 v9, v9, v10
	s_waitcnt lgkmcnt(0)
	v_add_f32_e32 v8, v8, v11
	ds_bpermute_b32 v10, v12, v9
	ds_bpermute_b32 v11, v12, v8
	v_xor_b32_e32 v12, 2, v7
	v_cmp_gt_i32_e32 vcc_lo, 32, v12
	v_cndmask_b32_e32 v12, v7, v12, vcc_lo
	v_lshlrev_b32_e32 v12, 2, v12
	s_waitcnt lgkmcnt(1)
	v_add_f32_e32 v9, v9, v10
	s_waitcnt lgkmcnt(0)
	v_add_f32_e32 v8, v8, v11
	ds_bpermute_b32 v10, v12, v9
	ds_bpermute_b32 v11, v12, v8
	v_xor_b32_e32 v12, 1, v7
	v_cmp_gt_i32_e32 vcc_lo, 32, v12
	v_cndmask_b32_e32 v7, v7, v12, vcc_lo
	v_cmp_eq_u32_e32 vcc_lo, 63, v0
	v_lshlrev_b32_e32 v12, 2, v7
	s_waitcnt lgkmcnt(1)
	v_add_f32_e32 v7, v9, v10
	s_waitcnt lgkmcnt(0)
	v_add_f32_e32 v9, v8, v11
	ds_bpermute_b32 v8, v12, v7
	ds_bpermute_b32 v10, v12, v9
	s_and_b32 exec_lo, exec_lo, vcc_lo
	s_cbranch_execz .LBB166_13
; %bb.9:
	s_waitcnt lgkmcnt(0)
	v_add_f32_e32 v0, v9, v10
	v_add_f32_e32 v9, v7, v8
	v_cmp_eq_f32_e32 vcc_lo, 0, v1
	v_cmp_eq_f32_e64 s0, 0, v2
	v_lshlrev_b64 v[5:6], 3, v[5:6]
	v_mul_f32_e64 v7, v0, -v4
	v_mul_f32_e32 v8, v3, v0
	s_and_b32 s0, vcc_lo, s0
	v_fmac_f32_e32 v7, v3, v9
	v_fmac_f32_e32 v8, v4, v9
	s_and_saveexec_b32 s1, s0
	s_xor_b32 s0, exec_lo, s1
	s_cbranch_execz .LBB166_11
; %bb.10:
	v_add_co_u32 v0, vcc_lo, s6, v5
	v_add_co_ci_u32_e64 v1, null, s7, v6, vcc_lo
                                        ; implicit-def: $vgpr5_vgpr6
	global_store_dwordx2 v[0:1], v[7:8], off
                                        ; implicit-def: $vgpr1_vgpr2
                                        ; implicit-def: $vgpr7
.LBB166_11:
	s_andn2_saveexec_b32 s0, s0
	s_cbranch_execz .LBB166_13
; %bb.12:
	v_add_co_u32 v3, vcc_lo, s6, v5
	v_add_co_ci_u32_e64 v4, null, s7, v6, vcc_lo
	global_load_dwordx2 v[5:6], v[3:4], off
	s_waitcnt vmcnt(0)
	v_fmac_f32_e32 v7, v1, v5
	v_fmac_f32_e32 v8, v2, v5
	v_fma_f32 v7, -v2, v6, v7
	v_fmac_f32_e32 v8, v1, v6
	global_store_dwordx2 v[3:4], v[7:8], off
.LBB166_13:
	s_endpgm
	.section	.rodata,"a",@progbits
	.p2align	6, 0x0
	.amdhsa_kernel _ZN9rocsparseL19gebsrmvn_1xn_kernelILj128ELj4ELj64E21rocsparse_complex_numIfEEEvi20rocsparse_direction_NS_24const_host_device_scalarIT2_EEPKiS8_PKS5_SA_S6_PS5_21rocsparse_index_base_b
		.amdhsa_group_segment_fixed_size 0
		.amdhsa_private_segment_fixed_size 0
		.amdhsa_kernarg_size 72
		.amdhsa_user_sgpr_count 6
		.amdhsa_user_sgpr_private_segment_buffer 1
		.amdhsa_user_sgpr_dispatch_ptr 0
		.amdhsa_user_sgpr_queue_ptr 0
		.amdhsa_user_sgpr_kernarg_segment_ptr 1
		.amdhsa_user_sgpr_dispatch_id 0
		.amdhsa_user_sgpr_flat_scratch_init 0
		.amdhsa_user_sgpr_private_segment_size 0
		.amdhsa_wavefront_size32 1
		.amdhsa_uses_dynamic_stack 0
		.amdhsa_system_sgpr_private_segment_wavefront_offset 0
		.amdhsa_system_sgpr_workgroup_id_x 1
		.amdhsa_system_sgpr_workgroup_id_y 0
		.amdhsa_system_sgpr_workgroup_id_z 0
		.amdhsa_system_sgpr_workgroup_info 0
		.amdhsa_system_vgpr_workitem_id 0
		.amdhsa_next_free_vgpr 30
		.amdhsa_next_free_sgpr 13
		.amdhsa_reserve_vcc 1
		.amdhsa_reserve_flat_scratch 0
		.amdhsa_float_round_mode_32 0
		.amdhsa_float_round_mode_16_64 0
		.amdhsa_float_denorm_mode_32 3
		.amdhsa_float_denorm_mode_16_64 3
		.amdhsa_dx10_clamp 1
		.amdhsa_ieee_mode 1
		.amdhsa_fp16_overflow 0
		.amdhsa_workgroup_processor_mode 1
		.amdhsa_memory_ordered 1
		.amdhsa_forward_progress 1
		.amdhsa_shared_vgpr_count 0
		.amdhsa_exception_fp_ieee_invalid_op 0
		.amdhsa_exception_fp_denorm_src 0
		.amdhsa_exception_fp_ieee_div_zero 0
		.amdhsa_exception_fp_ieee_overflow 0
		.amdhsa_exception_fp_ieee_underflow 0
		.amdhsa_exception_fp_ieee_inexact 0
		.amdhsa_exception_int_div_zero 0
	.end_amdhsa_kernel
	.section	.text._ZN9rocsparseL19gebsrmvn_1xn_kernelILj128ELj4ELj64E21rocsparse_complex_numIfEEEvi20rocsparse_direction_NS_24const_host_device_scalarIT2_EEPKiS8_PKS5_SA_S6_PS5_21rocsparse_index_base_b,"axG",@progbits,_ZN9rocsparseL19gebsrmvn_1xn_kernelILj128ELj4ELj64E21rocsparse_complex_numIfEEEvi20rocsparse_direction_NS_24const_host_device_scalarIT2_EEPKiS8_PKS5_SA_S6_PS5_21rocsparse_index_base_b,comdat
.Lfunc_end166:
	.size	_ZN9rocsparseL19gebsrmvn_1xn_kernelILj128ELj4ELj64E21rocsparse_complex_numIfEEEvi20rocsparse_direction_NS_24const_host_device_scalarIT2_EEPKiS8_PKS5_SA_S6_PS5_21rocsparse_index_base_b, .Lfunc_end166-_ZN9rocsparseL19gebsrmvn_1xn_kernelILj128ELj4ELj64E21rocsparse_complex_numIfEEEvi20rocsparse_direction_NS_24const_host_device_scalarIT2_EEPKiS8_PKS5_SA_S6_PS5_21rocsparse_index_base_b
                                        ; -- End function
	.set _ZN9rocsparseL19gebsrmvn_1xn_kernelILj128ELj4ELj64E21rocsparse_complex_numIfEEEvi20rocsparse_direction_NS_24const_host_device_scalarIT2_EEPKiS8_PKS5_SA_S6_PS5_21rocsparse_index_base_b.num_vgpr, 30
	.set _ZN9rocsparseL19gebsrmvn_1xn_kernelILj128ELj4ELj64E21rocsparse_complex_numIfEEEvi20rocsparse_direction_NS_24const_host_device_scalarIT2_EEPKiS8_PKS5_SA_S6_PS5_21rocsparse_index_base_b.num_agpr, 0
	.set _ZN9rocsparseL19gebsrmvn_1xn_kernelILj128ELj4ELj64E21rocsparse_complex_numIfEEEvi20rocsparse_direction_NS_24const_host_device_scalarIT2_EEPKiS8_PKS5_SA_S6_PS5_21rocsparse_index_base_b.numbered_sgpr, 13
	.set _ZN9rocsparseL19gebsrmvn_1xn_kernelILj128ELj4ELj64E21rocsparse_complex_numIfEEEvi20rocsparse_direction_NS_24const_host_device_scalarIT2_EEPKiS8_PKS5_SA_S6_PS5_21rocsparse_index_base_b.num_named_barrier, 0
	.set _ZN9rocsparseL19gebsrmvn_1xn_kernelILj128ELj4ELj64E21rocsparse_complex_numIfEEEvi20rocsparse_direction_NS_24const_host_device_scalarIT2_EEPKiS8_PKS5_SA_S6_PS5_21rocsparse_index_base_b.private_seg_size, 0
	.set _ZN9rocsparseL19gebsrmvn_1xn_kernelILj128ELj4ELj64E21rocsparse_complex_numIfEEEvi20rocsparse_direction_NS_24const_host_device_scalarIT2_EEPKiS8_PKS5_SA_S6_PS5_21rocsparse_index_base_b.uses_vcc, 1
	.set _ZN9rocsparseL19gebsrmvn_1xn_kernelILj128ELj4ELj64E21rocsparse_complex_numIfEEEvi20rocsparse_direction_NS_24const_host_device_scalarIT2_EEPKiS8_PKS5_SA_S6_PS5_21rocsparse_index_base_b.uses_flat_scratch, 0
	.set _ZN9rocsparseL19gebsrmvn_1xn_kernelILj128ELj4ELj64E21rocsparse_complex_numIfEEEvi20rocsparse_direction_NS_24const_host_device_scalarIT2_EEPKiS8_PKS5_SA_S6_PS5_21rocsparse_index_base_b.has_dyn_sized_stack, 0
	.set _ZN9rocsparseL19gebsrmvn_1xn_kernelILj128ELj4ELj64E21rocsparse_complex_numIfEEEvi20rocsparse_direction_NS_24const_host_device_scalarIT2_EEPKiS8_PKS5_SA_S6_PS5_21rocsparse_index_base_b.has_recursion, 0
	.set _ZN9rocsparseL19gebsrmvn_1xn_kernelILj128ELj4ELj64E21rocsparse_complex_numIfEEEvi20rocsparse_direction_NS_24const_host_device_scalarIT2_EEPKiS8_PKS5_SA_S6_PS5_21rocsparse_index_base_b.has_indirect_call, 0
	.section	.AMDGPU.csdata,"",@progbits
; Kernel info:
; codeLenInByte = 1068
; TotalNumSgprs: 15
; NumVgprs: 30
; ScratchSize: 0
; MemoryBound: 0
; FloatMode: 240
; IeeeMode: 1
; LDSByteSize: 0 bytes/workgroup (compile time only)
; SGPRBlocks: 0
; VGPRBlocks: 3
; NumSGPRsForWavesPerEU: 15
; NumVGPRsForWavesPerEU: 30
; Occupancy: 16
; WaveLimiterHint : 1
; COMPUTE_PGM_RSRC2:SCRATCH_EN: 0
; COMPUTE_PGM_RSRC2:USER_SGPR: 6
; COMPUTE_PGM_RSRC2:TRAP_HANDLER: 0
; COMPUTE_PGM_RSRC2:TGID_X_EN: 1
; COMPUTE_PGM_RSRC2:TGID_Y_EN: 0
; COMPUTE_PGM_RSRC2:TGID_Z_EN: 0
; COMPUTE_PGM_RSRC2:TIDIG_COMP_CNT: 0
	.section	.text._ZN9rocsparseL19gebsrmvn_1xn_kernelILj128ELj5ELj4E21rocsparse_complex_numIfEEEvi20rocsparse_direction_NS_24const_host_device_scalarIT2_EEPKiS8_PKS5_SA_S6_PS5_21rocsparse_index_base_b,"axG",@progbits,_ZN9rocsparseL19gebsrmvn_1xn_kernelILj128ELj5ELj4E21rocsparse_complex_numIfEEEvi20rocsparse_direction_NS_24const_host_device_scalarIT2_EEPKiS8_PKS5_SA_S6_PS5_21rocsparse_index_base_b,comdat
	.globl	_ZN9rocsparseL19gebsrmvn_1xn_kernelILj128ELj5ELj4E21rocsparse_complex_numIfEEEvi20rocsparse_direction_NS_24const_host_device_scalarIT2_EEPKiS8_PKS5_SA_S6_PS5_21rocsparse_index_base_b ; -- Begin function _ZN9rocsparseL19gebsrmvn_1xn_kernelILj128ELj5ELj4E21rocsparse_complex_numIfEEEvi20rocsparse_direction_NS_24const_host_device_scalarIT2_EEPKiS8_PKS5_SA_S6_PS5_21rocsparse_index_base_b
	.p2align	8
	.type	_ZN9rocsparseL19gebsrmvn_1xn_kernelILj128ELj5ELj4E21rocsparse_complex_numIfEEEvi20rocsparse_direction_NS_24const_host_device_scalarIT2_EEPKiS8_PKS5_SA_S6_PS5_21rocsparse_index_base_b,@function
_ZN9rocsparseL19gebsrmvn_1xn_kernelILj128ELj5ELj4E21rocsparse_complex_numIfEEEvi20rocsparse_direction_NS_24const_host_device_scalarIT2_EEPKiS8_PKS5_SA_S6_PS5_21rocsparse_index_base_b: ; @_ZN9rocsparseL19gebsrmvn_1xn_kernelILj128ELj5ELj4E21rocsparse_complex_numIfEEEvi20rocsparse_direction_NS_24const_host_device_scalarIT2_EEPKiS8_PKS5_SA_S6_PS5_21rocsparse_index_base_b
; %bb.0:
	s_clause 0x2
	s_load_dwordx2 s[8:9], s[4:5], 0x40
	s_load_dwordx2 s[0:1], s[4:5], 0x8
	;; [unrolled: 1-line block ×3, first 2 shown]
	s_add_u32 s7, s4, 8
	s_addc_u32 s10, s5, 0
	s_add_u32 s11, s4, 48
	s_addc_u32 s12, s5, 0
	s_waitcnt lgkmcnt(0)
	s_bitcmp1_b32 s9, 0
	s_cselect_b32 s0, s7, s0
	s_cselect_b32 s1, s10, s1
	v_mov_b32_e32 v1, s0
	v_mov_b32_e32 v2, s1
	s_cselect_b32 s0, s11, s2
	s_cselect_b32 s1, s12, s3
	flat_load_dwordx2 v[3:4], v[1:2]
	v_mov_b32_e32 v1, s0
	v_mov_b32_e32 v2, s1
	flat_load_dwordx2 v[1:2], v[1:2]
	s_waitcnt vmcnt(1) lgkmcnt(1)
	v_cmp_eq_f32_e32 vcc_lo, 0, v3
	v_cmp_eq_f32_e64 s0, 0, v4
	s_and_b32 s2, vcc_lo, s0
	s_mov_b32 s0, -1
	s_and_saveexec_b32 s1, s2
	s_cbranch_execz .LBB167_2
; %bb.1:
	s_waitcnt vmcnt(0) lgkmcnt(0)
	v_cmp_neq_f32_e32 vcc_lo, 1.0, v1
	v_cmp_neq_f32_e64 s0, 0, v2
	s_or_b32 s0, vcc_lo, s0
	s_orn2_b32 s0, s0, exec_lo
.LBB167_2:
	s_or_b32 exec_lo, exec_lo, s1
	s_and_saveexec_b32 s1, s0
	s_cbranch_execz .LBB167_13
; %bb.3:
	s_load_dword s0, s[4:5], 0x0
	v_lshrrev_b32_e32 v5, 2, v0
	v_lshl_or_b32 v5, s6, 5, v5
	s_waitcnt lgkmcnt(0)
	v_cmp_gt_i32_e32 vcc_lo, s0, v5
	s_and_b32 exec_lo, exec_lo, vcc_lo
	s_cbranch_execz .LBB167_13
; %bb.4:
	s_clause 0x1
	s_load_dwordx2 s[0:1], s[4:5], 0x10
	s_load_dwordx2 s[6:7], s[4:5], 0x38
	v_ashrrev_i32_e32 v6, 31, v5
	v_and_b32_e32 v0, 3, v0
	v_mov_b32_e32 v13, 0
	v_mov_b32_e32 v15, 0
	s_mov_b32 s9, exec_lo
	v_lshlrev_b64 v[7:8], 2, v[5:6]
	v_subrev_nc_u32_e32 v9, s8, v0
	s_waitcnt lgkmcnt(0)
	v_add_co_u32 v7, vcc_lo, s0, v7
	v_add_co_ci_u32_e64 v8, null, s1, v8, vcc_lo
	global_load_dwordx2 v[7:8], v[7:8], off
	s_waitcnt vmcnt(0)
	v_subrev_nc_u32_e32 v14, s8, v8
	v_add_nc_u32_e32 v7, v7, v9
	v_cmpx_lt_i32_e64 v7, v14
	s_cbranch_execz .LBB167_8
; %bb.5:
	s_clause 0x1
	s_load_dwordx4 s[0:3], s[4:5], 0x18
	s_load_dwordx2 s[4:5], s[4:5], 0x28
	v_mad_u64_u32 v[9:10], null, v7, 5, 4
	v_mov_b32_e32 v12, 0
	v_mov_b32_e32 v13, 0
	;; [unrolled: 1-line block ×3, first 2 shown]
	s_mov_b32 s10, 0
.LBB167_6:                              ; =>This Inner Loop Header: Depth=1
	v_ashrrev_i32_e32 v8, 31, v7
	v_mov_b32_e32 v17, v12
	v_lshlrev_b64 v[10:11], 2, v[7:8]
	v_add_nc_u32_e32 v7, 4, v7
	s_waitcnt lgkmcnt(0)
	v_add_co_u32 v10, vcc_lo, s0, v10
	v_add_co_ci_u32_e64 v11, null, s1, v11, vcc_lo
	global_load_dword v8, v[10:11], off
	v_add_nc_u32_e32 v11, -4, v9
	v_mov_b32_e32 v10, v12
	v_lshlrev_b64 v[18:19], 3, v[11:12]
	v_add_nc_u32_e32 v11, -3, v9
	v_lshlrev_b64 v[20:21], 3, v[9:10]
	v_lshlrev_b64 v[10:11], 3, v[11:12]
	v_add_co_u32 v18, vcc_lo, s2, v18
	v_add_co_ci_u32_e64 v19, null, s3, v19, vcc_lo
	v_add_co_u32 v20, vcc_lo, s2, v20
	v_add_co_ci_u32_e64 v21, null, s3, v21, vcc_lo
	;; [unrolled: 2-line block ×3, first 2 shown]
	s_clause 0x1
	global_load_dwordx2 v[18:19], v[18:19], off
	global_load_dwordx2 v[22:23], v[10:11], off
	s_waitcnt vmcnt(2)
	v_subrev_nc_u32_e32 v8, s8, v8
	v_lshl_add_u32 v16, v8, 2, v8
	v_lshlrev_b64 v[24:25], 3, v[16:17]
	v_add_nc_u32_e32 v11, 1, v16
	v_lshlrev_b64 v[26:27], 3, v[11:12]
	v_add_co_u32 v24, vcc_lo, s4, v24
	v_add_co_ci_u32_e64 v25, null, s5, v25, vcc_lo
	v_add_nc_u32_e32 v11, -2, v9
	v_add_co_u32 v26, vcc_lo, s4, v26
	global_load_dwordx2 v[24:25], v[24:25], off
	v_add_co_ci_u32_e64 v27, null, s5, v27, vcc_lo
	v_lshlrev_b64 v[28:29], 3, v[11:12]
	v_add_nc_u32_e32 v11, 2, v16
	global_load_dwordx2 v[26:27], v[26:27], off
	v_lshlrev_b64 v[30:31], 3, v[11:12]
	v_add_nc_u32_e32 v11, -1, v9
	v_add_co_u32 v28, vcc_lo, s2, v28
	v_add_co_ci_u32_e64 v29, null, s3, v29, vcc_lo
	v_lshlrev_b64 v[32:33], 3, v[11:12]
	v_add_nc_u32_e32 v11, 3, v16
	v_add_co_u32 v30, vcc_lo, s4, v30
	v_add_co_ci_u32_e64 v31, null, s5, v31, vcc_lo
	v_lshlrev_b64 v[34:35], 3, v[11:12]
	global_load_dwordx2 v[28:29], v[28:29], off
	v_add_nc_u32_e32 v11, 4, v16
	global_load_dwordx2 v[16:17], v[30:31], off
	v_add_co_u32 v30, vcc_lo, s2, v32
	v_add_co_ci_u32_e64 v31, null, s3, v33, vcc_lo
	v_add_co_u32 v32, vcc_lo, s4, v34
	v_add_co_ci_u32_e64 v33, null, s5, v35, vcc_lo
	v_lshlrev_b64 v[10:11], 3, v[11:12]
	global_load_dwordx2 v[30:31], v[30:31], off
	global_load_dwordx2 v[32:33], v[32:33], off
	v_add_nc_u32_e32 v9, 20, v9
	v_add_co_u32 v10, vcc_lo, s4, v10
	v_add_co_ci_u32_e64 v11, null, s5, v11, vcc_lo
	global_load_dwordx2 v[20:21], v[20:21], off
	global_load_dwordx2 v[10:11], v[10:11], off
	v_cmp_ge_i32_e32 vcc_lo, v7, v14
	s_or_b32 s10, vcc_lo, s10
	s_waitcnt vmcnt(7)
	v_fmac_f32_e32 v15, v18, v24
	v_fmac_f32_e32 v13, v19, v24
	v_fma_f32 v8, -v19, v25, v15
	v_fmac_f32_e32 v13, v18, v25
	s_waitcnt vmcnt(6)
	v_fmac_f32_e32 v8, v22, v26
	v_fmac_f32_e32 v13, v23, v26
	v_fma_f32 v8, -v23, v27, v8
	v_fmac_f32_e32 v13, v22, v27
	;; [unrolled: 5-line block ×5, first 2 shown]
	s_andn2_b32 exec_lo, exec_lo, s10
	s_cbranch_execnz .LBB167_6
; %bb.7:
	s_or_b32 exec_lo, exec_lo, s10
.LBB167_8:
	s_or_b32 exec_lo, exec_lo, s9
	v_mbcnt_lo_u32_b32 v7, -1, 0
	v_xor_b32_e32 v8, 2, v7
	v_xor_b32_e32 v10, 1, v7
	v_cmp_gt_i32_e32 vcc_lo, 32, v8
	v_cndmask_b32_e32 v8, v7, v8, vcc_lo
	v_cmp_gt_i32_e32 vcc_lo, 32, v10
	v_lshlrev_b32_e32 v8, 2, v8
	v_cndmask_b32_e32 v7, v7, v10, vcc_lo
	v_cmp_eq_u32_e32 vcc_lo, 3, v0
	ds_bpermute_b32 v9, v8, v15
	ds_bpermute_b32 v8, v8, v13
	v_lshlrev_b32_e32 v10, 2, v7
	s_waitcnt lgkmcnt(1)
	v_add_f32_e32 v7, v15, v9
	s_waitcnt lgkmcnt(0)
	v_add_f32_e32 v9, v13, v8
	ds_bpermute_b32 v8, v10, v7
	ds_bpermute_b32 v10, v10, v9
	s_and_b32 exec_lo, exec_lo, vcc_lo
	s_cbranch_execz .LBB167_13
; %bb.9:
	s_waitcnt lgkmcnt(0)
	v_add_f32_e32 v0, v9, v10
	v_add_f32_e32 v9, v7, v8
	v_cmp_eq_f32_e32 vcc_lo, 0, v1
	v_cmp_eq_f32_e64 s0, 0, v2
	v_lshlrev_b64 v[5:6], 3, v[5:6]
	v_mul_f32_e64 v7, v0, -v4
	v_mul_f32_e32 v8, v3, v0
	s_and_b32 s0, vcc_lo, s0
	v_fmac_f32_e32 v7, v3, v9
	v_fmac_f32_e32 v8, v4, v9
	s_and_saveexec_b32 s1, s0
	s_xor_b32 s0, exec_lo, s1
	s_cbranch_execz .LBB167_11
; %bb.10:
	v_add_co_u32 v0, vcc_lo, s6, v5
	v_add_co_ci_u32_e64 v1, null, s7, v6, vcc_lo
                                        ; implicit-def: $vgpr5_vgpr6
	global_store_dwordx2 v[0:1], v[7:8], off
                                        ; implicit-def: $vgpr1_vgpr2
                                        ; implicit-def: $vgpr7
.LBB167_11:
	s_andn2_saveexec_b32 s0, s0
	s_cbranch_execz .LBB167_13
; %bb.12:
	v_add_co_u32 v3, vcc_lo, s6, v5
	v_add_co_ci_u32_e64 v4, null, s7, v6, vcc_lo
	global_load_dwordx2 v[5:6], v[3:4], off
	s_waitcnt vmcnt(0)
	v_fmac_f32_e32 v7, v1, v5
	v_fmac_f32_e32 v8, v2, v5
	v_fma_f32 v7, -v2, v6, v7
	v_fmac_f32_e32 v8, v1, v6
	global_store_dwordx2 v[3:4], v[7:8], off
.LBB167_13:
	s_endpgm
	.section	.rodata,"a",@progbits
	.p2align	6, 0x0
	.amdhsa_kernel _ZN9rocsparseL19gebsrmvn_1xn_kernelILj128ELj5ELj4E21rocsparse_complex_numIfEEEvi20rocsparse_direction_NS_24const_host_device_scalarIT2_EEPKiS8_PKS5_SA_S6_PS5_21rocsparse_index_base_b
		.amdhsa_group_segment_fixed_size 0
		.amdhsa_private_segment_fixed_size 0
		.amdhsa_kernarg_size 72
		.amdhsa_user_sgpr_count 6
		.amdhsa_user_sgpr_private_segment_buffer 1
		.amdhsa_user_sgpr_dispatch_ptr 0
		.amdhsa_user_sgpr_queue_ptr 0
		.amdhsa_user_sgpr_kernarg_segment_ptr 1
		.amdhsa_user_sgpr_dispatch_id 0
		.amdhsa_user_sgpr_flat_scratch_init 0
		.amdhsa_user_sgpr_private_segment_size 0
		.amdhsa_wavefront_size32 1
		.amdhsa_uses_dynamic_stack 0
		.amdhsa_system_sgpr_private_segment_wavefront_offset 0
		.amdhsa_system_sgpr_workgroup_id_x 1
		.amdhsa_system_sgpr_workgroup_id_y 0
		.amdhsa_system_sgpr_workgroup_id_z 0
		.amdhsa_system_sgpr_workgroup_info 0
		.amdhsa_system_vgpr_workitem_id 0
		.amdhsa_next_free_vgpr 36
		.amdhsa_next_free_sgpr 13
		.amdhsa_reserve_vcc 1
		.amdhsa_reserve_flat_scratch 0
		.amdhsa_float_round_mode_32 0
		.amdhsa_float_round_mode_16_64 0
		.amdhsa_float_denorm_mode_32 3
		.amdhsa_float_denorm_mode_16_64 3
		.amdhsa_dx10_clamp 1
		.amdhsa_ieee_mode 1
		.amdhsa_fp16_overflow 0
		.amdhsa_workgroup_processor_mode 1
		.amdhsa_memory_ordered 1
		.amdhsa_forward_progress 1
		.amdhsa_shared_vgpr_count 0
		.amdhsa_exception_fp_ieee_invalid_op 0
		.amdhsa_exception_fp_denorm_src 0
		.amdhsa_exception_fp_ieee_div_zero 0
		.amdhsa_exception_fp_ieee_overflow 0
		.amdhsa_exception_fp_ieee_underflow 0
		.amdhsa_exception_fp_ieee_inexact 0
		.amdhsa_exception_int_div_zero 0
	.end_amdhsa_kernel
	.section	.text._ZN9rocsparseL19gebsrmvn_1xn_kernelILj128ELj5ELj4E21rocsparse_complex_numIfEEEvi20rocsparse_direction_NS_24const_host_device_scalarIT2_EEPKiS8_PKS5_SA_S6_PS5_21rocsparse_index_base_b,"axG",@progbits,_ZN9rocsparseL19gebsrmvn_1xn_kernelILj128ELj5ELj4E21rocsparse_complex_numIfEEEvi20rocsparse_direction_NS_24const_host_device_scalarIT2_EEPKiS8_PKS5_SA_S6_PS5_21rocsparse_index_base_b,comdat
.Lfunc_end167:
	.size	_ZN9rocsparseL19gebsrmvn_1xn_kernelILj128ELj5ELj4E21rocsparse_complex_numIfEEEvi20rocsparse_direction_NS_24const_host_device_scalarIT2_EEPKiS8_PKS5_SA_S6_PS5_21rocsparse_index_base_b, .Lfunc_end167-_ZN9rocsparseL19gebsrmvn_1xn_kernelILj128ELj5ELj4E21rocsparse_complex_numIfEEEvi20rocsparse_direction_NS_24const_host_device_scalarIT2_EEPKiS8_PKS5_SA_S6_PS5_21rocsparse_index_base_b
                                        ; -- End function
	.set _ZN9rocsparseL19gebsrmvn_1xn_kernelILj128ELj5ELj4E21rocsparse_complex_numIfEEEvi20rocsparse_direction_NS_24const_host_device_scalarIT2_EEPKiS8_PKS5_SA_S6_PS5_21rocsparse_index_base_b.num_vgpr, 36
	.set _ZN9rocsparseL19gebsrmvn_1xn_kernelILj128ELj5ELj4E21rocsparse_complex_numIfEEEvi20rocsparse_direction_NS_24const_host_device_scalarIT2_EEPKiS8_PKS5_SA_S6_PS5_21rocsparse_index_base_b.num_agpr, 0
	.set _ZN9rocsparseL19gebsrmvn_1xn_kernelILj128ELj5ELj4E21rocsparse_complex_numIfEEEvi20rocsparse_direction_NS_24const_host_device_scalarIT2_EEPKiS8_PKS5_SA_S6_PS5_21rocsparse_index_base_b.numbered_sgpr, 13
	.set _ZN9rocsparseL19gebsrmvn_1xn_kernelILj128ELj5ELj4E21rocsparse_complex_numIfEEEvi20rocsparse_direction_NS_24const_host_device_scalarIT2_EEPKiS8_PKS5_SA_S6_PS5_21rocsparse_index_base_b.num_named_barrier, 0
	.set _ZN9rocsparseL19gebsrmvn_1xn_kernelILj128ELj5ELj4E21rocsparse_complex_numIfEEEvi20rocsparse_direction_NS_24const_host_device_scalarIT2_EEPKiS8_PKS5_SA_S6_PS5_21rocsparse_index_base_b.private_seg_size, 0
	.set _ZN9rocsparseL19gebsrmvn_1xn_kernelILj128ELj5ELj4E21rocsparse_complex_numIfEEEvi20rocsparse_direction_NS_24const_host_device_scalarIT2_EEPKiS8_PKS5_SA_S6_PS5_21rocsparse_index_base_b.uses_vcc, 1
	.set _ZN9rocsparseL19gebsrmvn_1xn_kernelILj128ELj5ELj4E21rocsparse_complex_numIfEEEvi20rocsparse_direction_NS_24const_host_device_scalarIT2_EEPKiS8_PKS5_SA_S6_PS5_21rocsparse_index_base_b.uses_flat_scratch, 0
	.set _ZN9rocsparseL19gebsrmvn_1xn_kernelILj128ELj5ELj4E21rocsparse_complex_numIfEEEvi20rocsparse_direction_NS_24const_host_device_scalarIT2_EEPKiS8_PKS5_SA_S6_PS5_21rocsparse_index_base_b.has_dyn_sized_stack, 0
	.set _ZN9rocsparseL19gebsrmvn_1xn_kernelILj128ELj5ELj4E21rocsparse_complex_numIfEEEvi20rocsparse_direction_NS_24const_host_device_scalarIT2_EEPKiS8_PKS5_SA_S6_PS5_21rocsparse_index_base_b.has_recursion, 0
	.set _ZN9rocsparseL19gebsrmvn_1xn_kernelILj128ELj5ELj4E21rocsparse_complex_numIfEEEvi20rocsparse_direction_NS_24const_host_device_scalarIT2_EEPKiS8_PKS5_SA_S6_PS5_21rocsparse_index_base_b.has_indirect_call, 0
	.section	.AMDGPU.csdata,"",@progbits
; Kernel info:
; codeLenInByte = 1184
; TotalNumSgprs: 15
; NumVgprs: 36
; ScratchSize: 0
; MemoryBound: 0
; FloatMode: 240
; IeeeMode: 1
; LDSByteSize: 0 bytes/workgroup (compile time only)
; SGPRBlocks: 0
; VGPRBlocks: 4
; NumSGPRsForWavesPerEU: 15
; NumVGPRsForWavesPerEU: 36
; Occupancy: 16
; WaveLimiterHint : 1
; COMPUTE_PGM_RSRC2:SCRATCH_EN: 0
; COMPUTE_PGM_RSRC2:USER_SGPR: 6
; COMPUTE_PGM_RSRC2:TRAP_HANDLER: 0
; COMPUTE_PGM_RSRC2:TGID_X_EN: 1
; COMPUTE_PGM_RSRC2:TGID_Y_EN: 0
; COMPUTE_PGM_RSRC2:TGID_Z_EN: 0
; COMPUTE_PGM_RSRC2:TIDIG_COMP_CNT: 0
	.section	.text._ZN9rocsparseL19gebsrmvn_1xn_kernelILj128ELj5ELj8E21rocsparse_complex_numIfEEEvi20rocsparse_direction_NS_24const_host_device_scalarIT2_EEPKiS8_PKS5_SA_S6_PS5_21rocsparse_index_base_b,"axG",@progbits,_ZN9rocsparseL19gebsrmvn_1xn_kernelILj128ELj5ELj8E21rocsparse_complex_numIfEEEvi20rocsparse_direction_NS_24const_host_device_scalarIT2_EEPKiS8_PKS5_SA_S6_PS5_21rocsparse_index_base_b,comdat
	.globl	_ZN9rocsparseL19gebsrmvn_1xn_kernelILj128ELj5ELj8E21rocsparse_complex_numIfEEEvi20rocsparse_direction_NS_24const_host_device_scalarIT2_EEPKiS8_PKS5_SA_S6_PS5_21rocsparse_index_base_b ; -- Begin function _ZN9rocsparseL19gebsrmvn_1xn_kernelILj128ELj5ELj8E21rocsparse_complex_numIfEEEvi20rocsparse_direction_NS_24const_host_device_scalarIT2_EEPKiS8_PKS5_SA_S6_PS5_21rocsparse_index_base_b
	.p2align	8
	.type	_ZN9rocsparseL19gebsrmvn_1xn_kernelILj128ELj5ELj8E21rocsparse_complex_numIfEEEvi20rocsparse_direction_NS_24const_host_device_scalarIT2_EEPKiS8_PKS5_SA_S6_PS5_21rocsparse_index_base_b,@function
_ZN9rocsparseL19gebsrmvn_1xn_kernelILj128ELj5ELj8E21rocsparse_complex_numIfEEEvi20rocsparse_direction_NS_24const_host_device_scalarIT2_EEPKiS8_PKS5_SA_S6_PS5_21rocsparse_index_base_b: ; @_ZN9rocsparseL19gebsrmvn_1xn_kernelILj128ELj5ELj8E21rocsparse_complex_numIfEEEvi20rocsparse_direction_NS_24const_host_device_scalarIT2_EEPKiS8_PKS5_SA_S6_PS5_21rocsparse_index_base_b
; %bb.0:
	s_clause 0x2
	s_load_dwordx2 s[8:9], s[4:5], 0x40
	s_load_dwordx2 s[0:1], s[4:5], 0x8
	;; [unrolled: 1-line block ×3, first 2 shown]
	s_add_u32 s7, s4, 8
	s_addc_u32 s10, s5, 0
	s_add_u32 s11, s4, 48
	s_addc_u32 s12, s5, 0
	s_waitcnt lgkmcnt(0)
	s_bitcmp1_b32 s9, 0
	s_cselect_b32 s0, s7, s0
	s_cselect_b32 s1, s10, s1
	v_mov_b32_e32 v1, s0
	v_mov_b32_e32 v2, s1
	s_cselect_b32 s0, s11, s2
	s_cselect_b32 s1, s12, s3
	flat_load_dwordx2 v[3:4], v[1:2]
	v_mov_b32_e32 v1, s0
	v_mov_b32_e32 v2, s1
	flat_load_dwordx2 v[1:2], v[1:2]
	s_waitcnt vmcnt(1) lgkmcnt(1)
	v_cmp_eq_f32_e32 vcc_lo, 0, v3
	v_cmp_eq_f32_e64 s0, 0, v4
	s_and_b32 s2, vcc_lo, s0
	s_mov_b32 s0, -1
	s_and_saveexec_b32 s1, s2
	s_cbranch_execz .LBB168_2
; %bb.1:
	s_waitcnt vmcnt(0) lgkmcnt(0)
	v_cmp_neq_f32_e32 vcc_lo, 1.0, v1
	v_cmp_neq_f32_e64 s0, 0, v2
	s_or_b32 s0, vcc_lo, s0
	s_orn2_b32 s0, s0, exec_lo
.LBB168_2:
	s_or_b32 exec_lo, exec_lo, s1
	s_and_saveexec_b32 s1, s0
	s_cbranch_execz .LBB168_13
; %bb.3:
	s_load_dword s0, s[4:5], 0x0
	v_lshrrev_b32_e32 v5, 3, v0
	v_lshl_or_b32 v5, s6, 4, v5
	s_waitcnt lgkmcnt(0)
	v_cmp_gt_i32_e32 vcc_lo, s0, v5
	s_and_b32 exec_lo, exec_lo, vcc_lo
	s_cbranch_execz .LBB168_13
; %bb.4:
	s_clause 0x1
	s_load_dwordx2 s[0:1], s[4:5], 0x10
	s_load_dwordx2 s[6:7], s[4:5], 0x38
	v_ashrrev_i32_e32 v6, 31, v5
	v_and_b32_e32 v0, 7, v0
	v_mov_b32_e32 v13, 0
	v_mov_b32_e32 v15, 0
	s_mov_b32 s9, exec_lo
	v_lshlrev_b64 v[7:8], 2, v[5:6]
	v_subrev_nc_u32_e32 v9, s8, v0
	s_waitcnt lgkmcnt(0)
	v_add_co_u32 v7, vcc_lo, s0, v7
	v_add_co_ci_u32_e64 v8, null, s1, v8, vcc_lo
	global_load_dwordx2 v[7:8], v[7:8], off
	s_waitcnt vmcnt(0)
	v_subrev_nc_u32_e32 v14, s8, v8
	v_add_nc_u32_e32 v7, v7, v9
	v_cmpx_lt_i32_e64 v7, v14
	s_cbranch_execz .LBB168_8
; %bb.5:
	s_clause 0x1
	s_load_dwordx4 s[0:3], s[4:5], 0x18
	s_load_dwordx2 s[4:5], s[4:5], 0x28
	v_mad_u64_u32 v[9:10], null, v7, 5, 4
	v_mov_b32_e32 v12, 0
	v_mov_b32_e32 v13, 0
	;; [unrolled: 1-line block ×3, first 2 shown]
	s_mov_b32 s10, 0
.LBB168_6:                              ; =>This Inner Loop Header: Depth=1
	v_ashrrev_i32_e32 v8, 31, v7
	v_mov_b32_e32 v17, v12
	v_lshlrev_b64 v[10:11], 2, v[7:8]
	v_add_nc_u32_e32 v7, 8, v7
	s_waitcnt lgkmcnt(0)
	v_add_co_u32 v10, vcc_lo, s0, v10
	v_add_co_ci_u32_e64 v11, null, s1, v11, vcc_lo
	global_load_dword v8, v[10:11], off
	v_add_nc_u32_e32 v11, -4, v9
	v_mov_b32_e32 v10, v12
	v_lshlrev_b64 v[18:19], 3, v[11:12]
	v_add_nc_u32_e32 v11, -3, v9
	v_lshlrev_b64 v[20:21], 3, v[9:10]
	v_lshlrev_b64 v[10:11], 3, v[11:12]
	v_add_co_u32 v18, vcc_lo, s2, v18
	v_add_co_ci_u32_e64 v19, null, s3, v19, vcc_lo
	v_add_co_u32 v20, vcc_lo, s2, v20
	v_add_co_ci_u32_e64 v21, null, s3, v21, vcc_lo
	;; [unrolled: 2-line block ×3, first 2 shown]
	s_clause 0x1
	global_load_dwordx2 v[18:19], v[18:19], off
	global_load_dwordx2 v[22:23], v[10:11], off
	s_waitcnt vmcnt(2)
	v_subrev_nc_u32_e32 v8, s8, v8
	v_lshl_add_u32 v16, v8, 2, v8
	v_lshlrev_b64 v[24:25], 3, v[16:17]
	v_add_nc_u32_e32 v11, 1, v16
	v_lshlrev_b64 v[26:27], 3, v[11:12]
	v_add_co_u32 v24, vcc_lo, s4, v24
	v_add_co_ci_u32_e64 v25, null, s5, v25, vcc_lo
	v_add_nc_u32_e32 v11, -2, v9
	v_add_co_u32 v26, vcc_lo, s4, v26
	global_load_dwordx2 v[24:25], v[24:25], off
	v_add_co_ci_u32_e64 v27, null, s5, v27, vcc_lo
	v_lshlrev_b64 v[28:29], 3, v[11:12]
	v_add_nc_u32_e32 v11, 2, v16
	global_load_dwordx2 v[26:27], v[26:27], off
	v_lshlrev_b64 v[30:31], 3, v[11:12]
	v_add_nc_u32_e32 v11, -1, v9
	v_add_co_u32 v28, vcc_lo, s2, v28
	v_add_co_ci_u32_e64 v29, null, s3, v29, vcc_lo
	v_lshlrev_b64 v[32:33], 3, v[11:12]
	v_add_nc_u32_e32 v11, 3, v16
	v_add_co_u32 v30, vcc_lo, s4, v30
	v_add_co_ci_u32_e64 v31, null, s5, v31, vcc_lo
	v_lshlrev_b64 v[34:35], 3, v[11:12]
	global_load_dwordx2 v[28:29], v[28:29], off
	v_add_nc_u32_e32 v11, 4, v16
	global_load_dwordx2 v[16:17], v[30:31], off
	v_add_co_u32 v30, vcc_lo, s2, v32
	v_add_co_ci_u32_e64 v31, null, s3, v33, vcc_lo
	v_add_co_u32 v32, vcc_lo, s4, v34
	v_add_co_ci_u32_e64 v33, null, s5, v35, vcc_lo
	v_lshlrev_b64 v[10:11], 3, v[11:12]
	global_load_dwordx2 v[30:31], v[30:31], off
	global_load_dwordx2 v[32:33], v[32:33], off
	v_add_nc_u32_e32 v9, 40, v9
	v_add_co_u32 v10, vcc_lo, s4, v10
	v_add_co_ci_u32_e64 v11, null, s5, v11, vcc_lo
	global_load_dwordx2 v[20:21], v[20:21], off
	global_load_dwordx2 v[10:11], v[10:11], off
	v_cmp_ge_i32_e32 vcc_lo, v7, v14
	s_or_b32 s10, vcc_lo, s10
	s_waitcnt vmcnt(7)
	v_fmac_f32_e32 v15, v18, v24
	v_fmac_f32_e32 v13, v19, v24
	v_fma_f32 v8, -v19, v25, v15
	v_fmac_f32_e32 v13, v18, v25
	s_waitcnt vmcnt(6)
	v_fmac_f32_e32 v8, v22, v26
	v_fmac_f32_e32 v13, v23, v26
	v_fma_f32 v8, -v23, v27, v8
	v_fmac_f32_e32 v13, v22, v27
	;; [unrolled: 5-line block ×5, first 2 shown]
	s_andn2_b32 exec_lo, exec_lo, s10
	s_cbranch_execnz .LBB168_6
; %bb.7:
	s_or_b32 exec_lo, exec_lo, s10
.LBB168_8:
	s_or_b32 exec_lo, exec_lo, s9
	v_mbcnt_lo_u32_b32 v7, -1, 0
	v_xor_b32_e32 v8, 4, v7
	v_xor_b32_e32 v10, 2, v7
	;; [unrolled: 1-line block ×3, first 2 shown]
	v_cmp_gt_i32_e32 vcc_lo, 32, v8
	v_cndmask_b32_e32 v8, v7, v8, vcc_lo
	v_cmp_gt_i32_e32 vcc_lo, 32, v10
	v_lshlrev_b32_e32 v8, 2, v8
	v_cndmask_b32_e32 v10, v7, v10, vcc_lo
	v_cmp_gt_i32_e32 vcc_lo, 32, v12
	ds_bpermute_b32 v9, v8, v15
	ds_bpermute_b32 v8, v8, v13
	v_lshlrev_b32_e32 v10, 2, v10
	v_cndmask_b32_e32 v7, v7, v12, vcc_lo
	v_cmp_eq_u32_e32 vcc_lo, 7, v0
	v_lshlrev_b32_e32 v12, 2, v7
	s_waitcnt lgkmcnt(1)
	v_add_f32_e32 v9, v15, v9
	s_waitcnt lgkmcnt(0)
	v_add_f32_e32 v8, v13, v8
	ds_bpermute_b32 v11, v10, v9
	ds_bpermute_b32 v10, v10, v8
	s_waitcnt lgkmcnt(1)
	v_add_f32_e32 v7, v9, v11
	s_waitcnt lgkmcnt(0)
	v_add_f32_e32 v9, v8, v10
	ds_bpermute_b32 v8, v12, v7
	ds_bpermute_b32 v10, v12, v9
	s_and_b32 exec_lo, exec_lo, vcc_lo
	s_cbranch_execz .LBB168_13
; %bb.9:
	s_waitcnt lgkmcnt(0)
	v_add_f32_e32 v0, v9, v10
	v_add_f32_e32 v9, v7, v8
	v_cmp_eq_f32_e32 vcc_lo, 0, v1
	v_cmp_eq_f32_e64 s0, 0, v2
	v_lshlrev_b64 v[5:6], 3, v[5:6]
	v_mul_f32_e64 v7, v0, -v4
	v_mul_f32_e32 v8, v3, v0
	s_and_b32 s0, vcc_lo, s0
	v_fmac_f32_e32 v7, v3, v9
	v_fmac_f32_e32 v8, v4, v9
	s_and_saveexec_b32 s1, s0
	s_xor_b32 s0, exec_lo, s1
	s_cbranch_execz .LBB168_11
; %bb.10:
	v_add_co_u32 v0, vcc_lo, s6, v5
	v_add_co_ci_u32_e64 v1, null, s7, v6, vcc_lo
                                        ; implicit-def: $vgpr5_vgpr6
	global_store_dwordx2 v[0:1], v[7:8], off
                                        ; implicit-def: $vgpr1_vgpr2
                                        ; implicit-def: $vgpr7
.LBB168_11:
	s_andn2_saveexec_b32 s0, s0
	s_cbranch_execz .LBB168_13
; %bb.12:
	v_add_co_u32 v3, vcc_lo, s6, v5
	v_add_co_ci_u32_e64 v4, null, s7, v6, vcc_lo
	global_load_dwordx2 v[5:6], v[3:4], off
	s_waitcnt vmcnt(0)
	v_fmac_f32_e32 v7, v1, v5
	v_fmac_f32_e32 v8, v2, v5
	v_fma_f32 v7, -v2, v6, v7
	v_fmac_f32_e32 v8, v1, v6
	global_store_dwordx2 v[3:4], v[7:8], off
.LBB168_13:
	s_endpgm
	.section	.rodata,"a",@progbits
	.p2align	6, 0x0
	.amdhsa_kernel _ZN9rocsparseL19gebsrmvn_1xn_kernelILj128ELj5ELj8E21rocsparse_complex_numIfEEEvi20rocsparse_direction_NS_24const_host_device_scalarIT2_EEPKiS8_PKS5_SA_S6_PS5_21rocsparse_index_base_b
		.amdhsa_group_segment_fixed_size 0
		.amdhsa_private_segment_fixed_size 0
		.amdhsa_kernarg_size 72
		.amdhsa_user_sgpr_count 6
		.amdhsa_user_sgpr_private_segment_buffer 1
		.amdhsa_user_sgpr_dispatch_ptr 0
		.amdhsa_user_sgpr_queue_ptr 0
		.amdhsa_user_sgpr_kernarg_segment_ptr 1
		.amdhsa_user_sgpr_dispatch_id 0
		.amdhsa_user_sgpr_flat_scratch_init 0
		.amdhsa_user_sgpr_private_segment_size 0
		.amdhsa_wavefront_size32 1
		.amdhsa_uses_dynamic_stack 0
		.amdhsa_system_sgpr_private_segment_wavefront_offset 0
		.amdhsa_system_sgpr_workgroup_id_x 1
		.amdhsa_system_sgpr_workgroup_id_y 0
		.amdhsa_system_sgpr_workgroup_id_z 0
		.amdhsa_system_sgpr_workgroup_info 0
		.amdhsa_system_vgpr_workitem_id 0
		.amdhsa_next_free_vgpr 36
		.amdhsa_next_free_sgpr 13
		.amdhsa_reserve_vcc 1
		.amdhsa_reserve_flat_scratch 0
		.amdhsa_float_round_mode_32 0
		.amdhsa_float_round_mode_16_64 0
		.amdhsa_float_denorm_mode_32 3
		.amdhsa_float_denorm_mode_16_64 3
		.amdhsa_dx10_clamp 1
		.amdhsa_ieee_mode 1
		.amdhsa_fp16_overflow 0
		.amdhsa_workgroup_processor_mode 1
		.amdhsa_memory_ordered 1
		.amdhsa_forward_progress 1
		.amdhsa_shared_vgpr_count 0
		.amdhsa_exception_fp_ieee_invalid_op 0
		.amdhsa_exception_fp_denorm_src 0
		.amdhsa_exception_fp_ieee_div_zero 0
		.amdhsa_exception_fp_ieee_overflow 0
		.amdhsa_exception_fp_ieee_underflow 0
		.amdhsa_exception_fp_ieee_inexact 0
		.amdhsa_exception_int_div_zero 0
	.end_amdhsa_kernel
	.section	.text._ZN9rocsparseL19gebsrmvn_1xn_kernelILj128ELj5ELj8E21rocsparse_complex_numIfEEEvi20rocsparse_direction_NS_24const_host_device_scalarIT2_EEPKiS8_PKS5_SA_S6_PS5_21rocsparse_index_base_b,"axG",@progbits,_ZN9rocsparseL19gebsrmvn_1xn_kernelILj128ELj5ELj8E21rocsparse_complex_numIfEEEvi20rocsparse_direction_NS_24const_host_device_scalarIT2_EEPKiS8_PKS5_SA_S6_PS5_21rocsparse_index_base_b,comdat
.Lfunc_end168:
	.size	_ZN9rocsparseL19gebsrmvn_1xn_kernelILj128ELj5ELj8E21rocsparse_complex_numIfEEEvi20rocsparse_direction_NS_24const_host_device_scalarIT2_EEPKiS8_PKS5_SA_S6_PS5_21rocsparse_index_base_b, .Lfunc_end168-_ZN9rocsparseL19gebsrmvn_1xn_kernelILj128ELj5ELj8E21rocsparse_complex_numIfEEEvi20rocsparse_direction_NS_24const_host_device_scalarIT2_EEPKiS8_PKS5_SA_S6_PS5_21rocsparse_index_base_b
                                        ; -- End function
	.set _ZN9rocsparseL19gebsrmvn_1xn_kernelILj128ELj5ELj8E21rocsparse_complex_numIfEEEvi20rocsparse_direction_NS_24const_host_device_scalarIT2_EEPKiS8_PKS5_SA_S6_PS5_21rocsparse_index_base_b.num_vgpr, 36
	.set _ZN9rocsparseL19gebsrmvn_1xn_kernelILj128ELj5ELj8E21rocsparse_complex_numIfEEEvi20rocsparse_direction_NS_24const_host_device_scalarIT2_EEPKiS8_PKS5_SA_S6_PS5_21rocsparse_index_base_b.num_agpr, 0
	.set _ZN9rocsparseL19gebsrmvn_1xn_kernelILj128ELj5ELj8E21rocsparse_complex_numIfEEEvi20rocsparse_direction_NS_24const_host_device_scalarIT2_EEPKiS8_PKS5_SA_S6_PS5_21rocsparse_index_base_b.numbered_sgpr, 13
	.set _ZN9rocsparseL19gebsrmvn_1xn_kernelILj128ELj5ELj8E21rocsparse_complex_numIfEEEvi20rocsparse_direction_NS_24const_host_device_scalarIT2_EEPKiS8_PKS5_SA_S6_PS5_21rocsparse_index_base_b.num_named_barrier, 0
	.set _ZN9rocsparseL19gebsrmvn_1xn_kernelILj128ELj5ELj8E21rocsparse_complex_numIfEEEvi20rocsparse_direction_NS_24const_host_device_scalarIT2_EEPKiS8_PKS5_SA_S6_PS5_21rocsparse_index_base_b.private_seg_size, 0
	.set _ZN9rocsparseL19gebsrmvn_1xn_kernelILj128ELj5ELj8E21rocsparse_complex_numIfEEEvi20rocsparse_direction_NS_24const_host_device_scalarIT2_EEPKiS8_PKS5_SA_S6_PS5_21rocsparse_index_base_b.uses_vcc, 1
	.set _ZN9rocsparseL19gebsrmvn_1xn_kernelILj128ELj5ELj8E21rocsparse_complex_numIfEEEvi20rocsparse_direction_NS_24const_host_device_scalarIT2_EEPKiS8_PKS5_SA_S6_PS5_21rocsparse_index_base_b.uses_flat_scratch, 0
	.set _ZN9rocsparseL19gebsrmvn_1xn_kernelILj128ELj5ELj8E21rocsparse_complex_numIfEEEvi20rocsparse_direction_NS_24const_host_device_scalarIT2_EEPKiS8_PKS5_SA_S6_PS5_21rocsparse_index_base_b.has_dyn_sized_stack, 0
	.set _ZN9rocsparseL19gebsrmvn_1xn_kernelILj128ELj5ELj8E21rocsparse_complex_numIfEEEvi20rocsparse_direction_NS_24const_host_device_scalarIT2_EEPKiS8_PKS5_SA_S6_PS5_21rocsparse_index_base_b.has_recursion, 0
	.set _ZN9rocsparseL19gebsrmvn_1xn_kernelILj128ELj5ELj8E21rocsparse_complex_numIfEEEvi20rocsparse_direction_NS_24const_host_device_scalarIT2_EEPKiS8_PKS5_SA_S6_PS5_21rocsparse_index_base_b.has_indirect_call, 0
	.section	.AMDGPU.csdata,"",@progbits
; Kernel info:
; codeLenInByte = 1232
; TotalNumSgprs: 15
; NumVgprs: 36
; ScratchSize: 0
; MemoryBound: 0
; FloatMode: 240
; IeeeMode: 1
; LDSByteSize: 0 bytes/workgroup (compile time only)
; SGPRBlocks: 0
; VGPRBlocks: 4
; NumSGPRsForWavesPerEU: 15
; NumVGPRsForWavesPerEU: 36
; Occupancy: 16
; WaveLimiterHint : 1
; COMPUTE_PGM_RSRC2:SCRATCH_EN: 0
; COMPUTE_PGM_RSRC2:USER_SGPR: 6
; COMPUTE_PGM_RSRC2:TRAP_HANDLER: 0
; COMPUTE_PGM_RSRC2:TGID_X_EN: 1
; COMPUTE_PGM_RSRC2:TGID_Y_EN: 0
; COMPUTE_PGM_RSRC2:TGID_Z_EN: 0
; COMPUTE_PGM_RSRC2:TIDIG_COMP_CNT: 0
	.section	.text._ZN9rocsparseL19gebsrmvn_1xn_kernelILj128ELj5ELj16E21rocsparse_complex_numIfEEEvi20rocsparse_direction_NS_24const_host_device_scalarIT2_EEPKiS8_PKS5_SA_S6_PS5_21rocsparse_index_base_b,"axG",@progbits,_ZN9rocsparseL19gebsrmvn_1xn_kernelILj128ELj5ELj16E21rocsparse_complex_numIfEEEvi20rocsparse_direction_NS_24const_host_device_scalarIT2_EEPKiS8_PKS5_SA_S6_PS5_21rocsparse_index_base_b,comdat
	.globl	_ZN9rocsparseL19gebsrmvn_1xn_kernelILj128ELj5ELj16E21rocsparse_complex_numIfEEEvi20rocsparse_direction_NS_24const_host_device_scalarIT2_EEPKiS8_PKS5_SA_S6_PS5_21rocsparse_index_base_b ; -- Begin function _ZN9rocsparseL19gebsrmvn_1xn_kernelILj128ELj5ELj16E21rocsparse_complex_numIfEEEvi20rocsparse_direction_NS_24const_host_device_scalarIT2_EEPKiS8_PKS5_SA_S6_PS5_21rocsparse_index_base_b
	.p2align	8
	.type	_ZN9rocsparseL19gebsrmvn_1xn_kernelILj128ELj5ELj16E21rocsparse_complex_numIfEEEvi20rocsparse_direction_NS_24const_host_device_scalarIT2_EEPKiS8_PKS5_SA_S6_PS5_21rocsparse_index_base_b,@function
_ZN9rocsparseL19gebsrmvn_1xn_kernelILj128ELj5ELj16E21rocsparse_complex_numIfEEEvi20rocsparse_direction_NS_24const_host_device_scalarIT2_EEPKiS8_PKS5_SA_S6_PS5_21rocsparse_index_base_b: ; @_ZN9rocsparseL19gebsrmvn_1xn_kernelILj128ELj5ELj16E21rocsparse_complex_numIfEEEvi20rocsparse_direction_NS_24const_host_device_scalarIT2_EEPKiS8_PKS5_SA_S6_PS5_21rocsparse_index_base_b
; %bb.0:
	s_clause 0x2
	s_load_dwordx2 s[8:9], s[4:5], 0x40
	s_load_dwordx2 s[0:1], s[4:5], 0x8
	;; [unrolled: 1-line block ×3, first 2 shown]
	s_add_u32 s7, s4, 8
	s_addc_u32 s10, s5, 0
	s_add_u32 s11, s4, 48
	s_addc_u32 s12, s5, 0
	s_waitcnt lgkmcnt(0)
	s_bitcmp1_b32 s9, 0
	s_cselect_b32 s0, s7, s0
	s_cselect_b32 s1, s10, s1
	v_mov_b32_e32 v1, s0
	v_mov_b32_e32 v2, s1
	s_cselect_b32 s0, s11, s2
	s_cselect_b32 s1, s12, s3
	flat_load_dwordx2 v[3:4], v[1:2]
	v_mov_b32_e32 v1, s0
	v_mov_b32_e32 v2, s1
	flat_load_dwordx2 v[1:2], v[1:2]
	s_waitcnt vmcnt(1) lgkmcnt(1)
	v_cmp_eq_f32_e32 vcc_lo, 0, v3
	v_cmp_eq_f32_e64 s0, 0, v4
	s_and_b32 s2, vcc_lo, s0
	s_mov_b32 s0, -1
	s_and_saveexec_b32 s1, s2
	s_cbranch_execz .LBB169_2
; %bb.1:
	s_waitcnt vmcnt(0) lgkmcnt(0)
	v_cmp_neq_f32_e32 vcc_lo, 1.0, v1
	v_cmp_neq_f32_e64 s0, 0, v2
	s_or_b32 s0, vcc_lo, s0
	s_orn2_b32 s0, s0, exec_lo
.LBB169_2:
	s_or_b32 exec_lo, exec_lo, s1
	s_and_saveexec_b32 s1, s0
	s_cbranch_execz .LBB169_13
; %bb.3:
	s_load_dword s0, s[4:5], 0x0
	v_lshrrev_b32_e32 v5, 4, v0
	v_lshl_or_b32 v5, s6, 3, v5
	s_waitcnt lgkmcnt(0)
	v_cmp_gt_i32_e32 vcc_lo, s0, v5
	s_and_b32 exec_lo, exec_lo, vcc_lo
	s_cbranch_execz .LBB169_13
; %bb.4:
	s_clause 0x1
	s_load_dwordx2 s[0:1], s[4:5], 0x10
	s_load_dwordx2 s[6:7], s[4:5], 0x38
	v_ashrrev_i32_e32 v6, 31, v5
	v_and_b32_e32 v0, 15, v0
	v_mov_b32_e32 v13, 0
	v_mov_b32_e32 v15, 0
	s_mov_b32 s9, exec_lo
	v_lshlrev_b64 v[7:8], 2, v[5:6]
	v_subrev_nc_u32_e32 v9, s8, v0
	s_waitcnt lgkmcnt(0)
	v_add_co_u32 v7, vcc_lo, s0, v7
	v_add_co_ci_u32_e64 v8, null, s1, v8, vcc_lo
	global_load_dwordx2 v[7:8], v[7:8], off
	s_waitcnt vmcnt(0)
	v_subrev_nc_u32_e32 v14, s8, v8
	v_add_nc_u32_e32 v7, v7, v9
	v_cmpx_lt_i32_e64 v7, v14
	s_cbranch_execz .LBB169_8
; %bb.5:
	s_clause 0x1
	s_load_dwordx4 s[0:3], s[4:5], 0x18
	s_load_dwordx2 s[4:5], s[4:5], 0x28
	v_mad_u64_u32 v[9:10], null, v7, 5, 4
	v_mov_b32_e32 v12, 0
	v_mov_b32_e32 v13, 0
	v_mov_b32_e32 v15, 0
	s_mov_b32 s10, 0
.LBB169_6:                              ; =>This Inner Loop Header: Depth=1
	v_ashrrev_i32_e32 v8, 31, v7
	v_mov_b32_e32 v17, v12
	v_lshlrev_b64 v[10:11], 2, v[7:8]
	v_add_nc_u32_e32 v7, 16, v7
	s_waitcnt lgkmcnt(0)
	v_add_co_u32 v10, vcc_lo, s0, v10
	v_add_co_ci_u32_e64 v11, null, s1, v11, vcc_lo
	global_load_dword v8, v[10:11], off
	v_add_nc_u32_e32 v11, -4, v9
	v_mov_b32_e32 v10, v12
	v_lshlrev_b64 v[18:19], 3, v[11:12]
	v_add_nc_u32_e32 v11, -3, v9
	v_lshlrev_b64 v[20:21], 3, v[9:10]
	v_lshlrev_b64 v[10:11], 3, v[11:12]
	v_add_co_u32 v18, vcc_lo, s2, v18
	v_add_co_ci_u32_e64 v19, null, s3, v19, vcc_lo
	v_add_co_u32 v20, vcc_lo, s2, v20
	v_add_co_ci_u32_e64 v21, null, s3, v21, vcc_lo
	v_add_co_u32 v10, vcc_lo, s2, v10
	v_add_co_ci_u32_e64 v11, null, s3, v11, vcc_lo
	s_clause 0x1
	global_load_dwordx2 v[18:19], v[18:19], off
	global_load_dwordx2 v[22:23], v[10:11], off
	s_waitcnt vmcnt(2)
	v_subrev_nc_u32_e32 v8, s8, v8
	v_lshl_add_u32 v16, v8, 2, v8
	v_lshlrev_b64 v[24:25], 3, v[16:17]
	v_add_nc_u32_e32 v11, 1, v16
	v_lshlrev_b64 v[26:27], 3, v[11:12]
	v_add_co_u32 v24, vcc_lo, s4, v24
	v_add_co_ci_u32_e64 v25, null, s5, v25, vcc_lo
	v_add_nc_u32_e32 v11, -2, v9
	v_add_co_u32 v26, vcc_lo, s4, v26
	global_load_dwordx2 v[24:25], v[24:25], off
	v_add_co_ci_u32_e64 v27, null, s5, v27, vcc_lo
	v_lshlrev_b64 v[28:29], 3, v[11:12]
	v_add_nc_u32_e32 v11, 2, v16
	global_load_dwordx2 v[26:27], v[26:27], off
	v_lshlrev_b64 v[30:31], 3, v[11:12]
	v_add_nc_u32_e32 v11, -1, v9
	v_add_co_u32 v28, vcc_lo, s2, v28
	v_add_co_ci_u32_e64 v29, null, s3, v29, vcc_lo
	v_lshlrev_b64 v[32:33], 3, v[11:12]
	v_add_nc_u32_e32 v11, 3, v16
	v_add_co_u32 v30, vcc_lo, s4, v30
	v_add_co_ci_u32_e64 v31, null, s5, v31, vcc_lo
	v_lshlrev_b64 v[34:35], 3, v[11:12]
	global_load_dwordx2 v[28:29], v[28:29], off
	v_add_nc_u32_e32 v11, 4, v16
	global_load_dwordx2 v[16:17], v[30:31], off
	v_add_co_u32 v30, vcc_lo, s2, v32
	v_add_co_ci_u32_e64 v31, null, s3, v33, vcc_lo
	v_add_co_u32 v32, vcc_lo, s4, v34
	v_add_co_ci_u32_e64 v33, null, s5, v35, vcc_lo
	v_lshlrev_b64 v[10:11], 3, v[11:12]
	global_load_dwordx2 v[30:31], v[30:31], off
	global_load_dwordx2 v[32:33], v[32:33], off
	v_add_nc_u32_e32 v9, 0x50, v9
	v_add_co_u32 v10, vcc_lo, s4, v10
	v_add_co_ci_u32_e64 v11, null, s5, v11, vcc_lo
	global_load_dwordx2 v[20:21], v[20:21], off
	global_load_dwordx2 v[10:11], v[10:11], off
	v_cmp_ge_i32_e32 vcc_lo, v7, v14
	s_or_b32 s10, vcc_lo, s10
	s_waitcnt vmcnt(7)
	v_fmac_f32_e32 v15, v18, v24
	v_fmac_f32_e32 v13, v19, v24
	v_fma_f32 v8, -v19, v25, v15
	v_fmac_f32_e32 v13, v18, v25
	s_waitcnt vmcnt(6)
	v_fmac_f32_e32 v8, v22, v26
	v_fmac_f32_e32 v13, v23, v26
	v_fma_f32 v8, -v23, v27, v8
	v_fmac_f32_e32 v13, v22, v27
	;; [unrolled: 5-line block ×5, first 2 shown]
	s_andn2_b32 exec_lo, exec_lo, s10
	s_cbranch_execnz .LBB169_6
; %bb.7:
	s_or_b32 exec_lo, exec_lo, s10
.LBB169_8:
	s_or_b32 exec_lo, exec_lo, s9
	v_mbcnt_lo_u32_b32 v7, -1, 0
	v_xor_b32_e32 v8, 8, v7
	v_xor_b32_e32 v10, 4, v7
	;; [unrolled: 1-line block ×3, first 2 shown]
	v_cmp_gt_i32_e32 vcc_lo, 32, v8
	v_cndmask_b32_e32 v8, v7, v8, vcc_lo
	v_cmp_gt_i32_e32 vcc_lo, 32, v10
	v_lshlrev_b32_e32 v8, 2, v8
	v_cndmask_b32_e32 v10, v7, v10, vcc_lo
	v_cmp_gt_i32_e32 vcc_lo, 32, v12
	ds_bpermute_b32 v9, v8, v15
	ds_bpermute_b32 v8, v8, v13
	v_lshlrev_b32_e32 v10, 2, v10
	v_cndmask_b32_e32 v12, v7, v12, vcc_lo
	v_lshlrev_b32_e32 v12, 2, v12
	s_waitcnt lgkmcnt(1)
	v_add_f32_e32 v9, v15, v9
	s_waitcnt lgkmcnt(0)
	v_add_f32_e32 v8, v13, v8
	ds_bpermute_b32 v11, v10, v9
	ds_bpermute_b32 v10, v10, v8
	s_waitcnt lgkmcnt(1)
	v_add_f32_e32 v9, v9, v11
	s_waitcnt lgkmcnt(0)
	v_add_f32_e32 v8, v8, v10
	ds_bpermute_b32 v10, v12, v9
	ds_bpermute_b32 v11, v12, v8
	v_xor_b32_e32 v12, 1, v7
	v_cmp_gt_i32_e32 vcc_lo, 32, v12
	v_cndmask_b32_e32 v7, v7, v12, vcc_lo
	v_cmp_eq_u32_e32 vcc_lo, 15, v0
	v_lshlrev_b32_e32 v12, 2, v7
	s_waitcnt lgkmcnt(1)
	v_add_f32_e32 v7, v9, v10
	s_waitcnt lgkmcnt(0)
	v_add_f32_e32 v9, v8, v11
	ds_bpermute_b32 v8, v12, v7
	ds_bpermute_b32 v10, v12, v9
	s_and_b32 exec_lo, exec_lo, vcc_lo
	s_cbranch_execz .LBB169_13
; %bb.9:
	s_waitcnt lgkmcnt(0)
	v_add_f32_e32 v0, v9, v10
	v_add_f32_e32 v9, v7, v8
	v_cmp_eq_f32_e32 vcc_lo, 0, v1
	v_cmp_eq_f32_e64 s0, 0, v2
	v_lshlrev_b64 v[5:6], 3, v[5:6]
	v_mul_f32_e64 v7, v0, -v4
	v_mul_f32_e32 v8, v3, v0
	s_and_b32 s0, vcc_lo, s0
	v_fmac_f32_e32 v7, v3, v9
	v_fmac_f32_e32 v8, v4, v9
	s_and_saveexec_b32 s1, s0
	s_xor_b32 s0, exec_lo, s1
	s_cbranch_execz .LBB169_11
; %bb.10:
	v_add_co_u32 v0, vcc_lo, s6, v5
	v_add_co_ci_u32_e64 v1, null, s7, v6, vcc_lo
                                        ; implicit-def: $vgpr5_vgpr6
	global_store_dwordx2 v[0:1], v[7:8], off
                                        ; implicit-def: $vgpr1_vgpr2
                                        ; implicit-def: $vgpr7
.LBB169_11:
	s_andn2_saveexec_b32 s0, s0
	s_cbranch_execz .LBB169_13
; %bb.12:
	v_add_co_u32 v3, vcc_lo, s6, v5
	v_add_co_ci_u32_e64 v4, null, s7, v6, vcc_lo
	global_load_dwordx2 v[5:6], v[3:4], off
	s_waitcnt vmcnt(0)
	v_fmac_f32_e32 v7, v1, v5
	v_fmac_f32_e32 v8, v2, v5
	v_fma_f32 v7, -v2, v6, v7
	v_fmac_f32_e32 v8, v1, v6
	global_store_dwordx2 v[3:4], v[7:8], off
.LBB169_13:
	s_endpgm
	.section	.rodata,"a",@progbits
	.p2align	6, 0x0
	.amdhsa_kernel _ZN9rocsparseL19gebsrmvn_1xn_kernelILj128ELj5ELj16E21rocsparse_complex_numIfEEEvi20rocsparse_direction_NS_24const_host_device_scalarIT2_EEPKiS8_PKS5_SA_S6_PS5_21rocsparse_index_base_b
		.amdhsa_group_segment_fixed_size 0
		.amdhsa_private_segment_fixed_size 0
		.amdhsa_kernarg_size 72
		.amdhsa_user_sgpr_count 6
		.amdhsa_user_sgpr_private_segment_buffer 1
		.amdhsa_user_sgpr_dispatch_ptr 0
		.amdhsa_user_sgpr_queue_ptr 0
		.amdhsa_user_sgpr_kernarg_segment_ptr 1
		.amdhsa_user_sgpr_dispatch_id 0
		.amdhsa_user_sgpr_flat_scratch_init 0
		.amdhsa_user_sgpr_private_segment_size 0
		.amdhsa_wavefront_size32 1
		.amdhsa_uses_dynamic_stack 0
		.amdhsa_system_sgpr_private_segment_wavefront_offset 0
		.amdhsa_system_sgpr_workgroup_id_x 1
		.amdhsa_system_sgpr_workgroup_id_y 0
		.amdhsa_system_sgpr_workgroup_id_z 0
		.amdhsa_system_sgpr_workgroup_info 0
		.amdhsa_system_vgpr_workitem_id 0
		.amdhsa_next_free_vgpr 36
		.amdhsa_next_free_sgpr 13
		.amdhsa_reserve_vcc 1
		.amdhsa_reserve_flat_scratch 0
		.amdhsa_float_round_mode_32 0
		.amdhsa_float_round_mode_16_64 0
		.amdhsa_float_denorm_mode_32 3
		.amdhsa_float_denorm_mode_16_64 3
		.amdhsa_dx10_clamp 1
		.amdhsa_ieee_mode 1
		.amdhsa_fp16_overflow 0
		.amdhsa_workgroup_processor_mode 1
		.amdhsa_memory_ordered 1
		.amdhsa_forward_progress 1
		.amdhsa_shared_vgpr_count 0
		.amdhsa_exception_fp_ieee_invalid_op 0
		.amdhsa_exception_fp_denorm_src 0
		.amdhsa_exception_fp_ieee_div_zero 0
		.amdhsa_exception_fp_ieee_overflow 0
		.amdhsa_exception_fp_ieee_underflow 0
		.amdhsa_exception_fp_ieee_inexact 0
		.amdhsa_exception_int_div_zero 0
	.end_amdhsa_kernel
	.section	.text._ZN9rocsparseL19gebsrmvn_1xn_kernelILj128ELj5ELj16E21rocsparse_complex_numIfEEEvi20rocsparse_direction_NS_24const_host_device_scalarIT2_EEPKiS8_PKS5_SA_S6_PS5_21rocsparse_index_base_b,"axG",@progbits,_ZN9rocsparseL19gebsrmvn_1xn_kernelILj128ELj5ELj16E21rocsparse_complex_numIfEEEvi20rocsparse_direction_NS_24const_host_device_scalarIT2_EEPKiS8_PKS5_SA_S6_PS5_21rocsparse_index_base_b,comdat
.Lfunc_end169:
	.size	_ZN9rocsparseL19gebsrmvn_1xn_kernelILj128ELj5ELj16E21rocsparse_complex_numIfEEEvi20rocsparse_direction_NS_24const_host_device_scalarIT2_EEPKiS8_PKS5_SA_S6_PS5_21rocsparse_index_base_b, .Lfunc_end169-_ZN9rocsparseL19gebsrmvn_1xn_kernelILj128ELj5ELj16E21rocsparse_complex_numIfEEEvi20rocsparse_direction_NS_24const_host_device_scalarIT2_EEPKiS8_PKS5_SA_S6_PS5_21rocsparse_index_base_b
                                        ; -- End function
	.set _ZN9rocsparseL19gebsrmvn_1xn_kernelILj128ELj5ELj16E21rocsparse_complex_numIfEEEvi20rocsparse_direction_NS_24const_host_device_scalarIT2_EEPKiS8_PKS5_SA_S6_PS5_21rocsparse_index_base_b.num_vgpr, 36
	.set _ZN9rocsparseL19gebsrmvn_1xn_kernelILj128ELj5ELj16E21rocsparse_complex_numIfEEEvi20rocsparse_direction_NS_24const_host_device_scalarIT2_EEPKiS8_PKS5_SA_S6_PS5_21rocsparse_index_base_b.num_agpr, 0
	.set _ZN9rocsparseL19gebsrmvn_1xn_kernelILj128ELj5ELj16E21rocsparse_complex_numIfEEEvi20rocsparse_direction_NS_24const_host_device_scalarIT2_EEPKiS8_PKS5_SA_S6_PS5_21rocsparse_index_base_b.numbered_sgpr, 13
	.set _ZN9rocsparseL19gebsrmvn_1xn_kernelILj128ELj5ELj16E21rocsparse_complex_numIfEEEvi20rocsparse_direction_NS_24const_host_device_scalarIT2_EEPKiS8_PKS5_SA_S6_PS5_21rocsparse_index_base_b.num_named_barrier, 0
	.set _ZN9rocsparseL19gebsrmvn_1xn_kernelILj128ELj5ELj16E21rocsparse_complex_numIfEEEvi20rocsparse_direction_NS_24const_host_device_scalarIT2_EEPKiS8_PKS5_SA_S6_PS5_21rocsparse_index_base_b.private_seg_size, 0
	.set _ZN9rocsparseL19gebsrmvn_1xn_kernelILj128ELj5ELj16E21rocsparse_complex_numIfEEEvi20rocsparse_direction_NS_24const_host_device_scalarIT2_EEPKiS8_PKS5_SA_S6_PS5_21rocsparse_index_base_b.uses_vcc, 1
	.set _ZN9rocsparseL19gebsrmvn_1xn_kernelILj128ELj5ELj16E21rocsparse_complex_numIfEEEvi20rocsparse_direction_NS_24const_host_device_scalarIT2_EEPKiS8_PKS5_SA_S6_PS5_21rocsparse_index_base_b.uses_flat_scratch, 0
	.set _ZN9rocsparseL19gebsrmvn_1xn_kernelILj128ELj5ELj16E21rocsparse_complex_numIfEEEvi20rocsparse_direction_NS_24const_host_device_scalarIT2_EEPKiS8_PKS5_SA_S6_PS5_21rocsparse_index_base_b.has_dyn_sized_stack, 0
	.set _ZN9rocsparseL19gebsrmvn_1xn_kernelILj128ELj5ELj16E21rocsparse_complex_numIfEEEvi20rocsparse_direction_NS_24const_host_device_scalarIT2_EEPKiS8_PKS5_SA_S6_PS5_21rocsparse_index_base_b.has_recursion, 0
	.set _ZN9rocsparseL19gebsrmvn_1xn_kernelILj128ELj5ELj16E21rocsparse_complex_numIfEEEvi20rocsparse_direction_NS_24const_host_device_scalarIT2_EEPKiS8_PKS5_SA_S6_PS5_21rocsparse_index_base_b.has_indirect_call, 0
	.section	.AMDGPU.csdata,"",@progbits
; Kernel info:
; codeLenInByte = 1284
; TotalNumSgprs: 15
; NumVgprs: 36
; ScratchSize: 0
; MemoryBound: 0
; FloatMode: 240
; IeeeMode: 1
; LDSByteSize: 0 bytes/workgroup (compile time only)
; SGPRBlocks: 0
; VGPRBlocks: 4
; NumSGPRsForWavesPerEU: 15
; NumVGPRsForWavesPerEU: 36
; Occupancy: 16
; WaveLimiterHint : 1
; COMPUTE_PGM_RSRC2:SCRATCH_EN: 0
; COMPUTE_PGM_RSRC2:USER_SGPR: 6
; COMPUTE_PGM_RSRC2:TRAP_HANDLER: 0
; COMPUTE_PGM_RSRC2:TGID_X_EN: 1
; COMPUTE_PGM_RSRC2:TGID_Y_EN: 0
; COMPUTE_PGM_RSRC2:TGID_Z_EN: 0
; COMPUTE_PGM_RSRC2:TIDIG_COMP_CNT: 0
	.section	.text._ZN9rocsparseL19gebsrmvn_1xn_kernelILj128ELj5ELj32E21rocsparse_complex_numIfEEEvi20rocsparse_direction_NS_24const_host_device_scalarIT2_EEPKiS8_PKS5_SA_S6_PS5_21rocsparse_index_base_b,"axG",@progbits,_ZN9rocsparseL19gebsrmvn_1xn_kernelILj128ELj5ELj32E21rocsparse_complex_numIfEEEvi20rocsparse_direction_NS_24const_host_device_scalarIT2_EEPKiS8_PKS5_SA_S6_PS5_21rocsparse_index_base_b,comdat
	.globl	_ZN9rocsparseL19gebsrmvn_1xn_kernelILj128ELj5ELj32E21rocsparse_complex_numIfEEEvi20rocsparse_direction_NS_24const_host_device_scalarIT2_EEPKiS8_PKS5_SA_S6_PS5_21rocsparse_index_base_b ; -- Begin function _ZN9rocsparseL19gebsrmvn_1xn_kernelILj128ELj5ELj32E21rocsparse_complex_numIfEEEvi20rocsparse_direction_NS_24const_host_device_scalarIT2_EEPKiS8_PKS5_SA_S6_PS5_21rocsparse_index_base_b
	.p2align	8
	.type	_ZN9rocsparseL19gebsrmvn_1xn_kernelILj128ELj5ELj32E21rocsparse_complex_numIfEEEvi20rocsparse_direction_NS_24const_host_device_scalarIT2_EEPKiS8_PKS5_SA_S6_PS5_21rocsparse_index_base_b,@function
_ZN9rocsparseL19gebsrmvn_1xn_kernelILj128ELj5ELj32E21rocsparse_complex_numIfEEEvi20rocsparse_direction_NS_24const_host_device_scalarIT2_EEPKiS8_PKS5_SA_S6_PS5_21rocsparse_index_base_b: ; @_ZN9rocsparseL19gebsrmvn_1xn_kernelILj128ELj5ELj32E21rocsparse_complex_numIfEEEvi20rocsparse_direction_NS_24const_host_device_scalarIT2_EEPKiS8_PKS5_SA_S6_PS5_21rocsparse_index_base_b
; %bb.0:
	s_clause 0x2
	s_load_dwordx2 s[8:9], s[4:5], 0x40
	s_load_dwordx2 s[0:1], s[4:5], 0x8
	;; [unrolled: 1-line block ×3, first 2 shown]
	s_add_u32 s7, s4, 8
	s_addc_u32 s10, s5, 0
	s_add_u32 s11, s4, 48
	s_addc_u32 s12, s5, 0
	s_waitcnt lgkmcnt(0)
	s_bitcmp1_b32 s9, 0
	s_cselect_b32 s0, s7, s0
	s_cselect_b32 s1, s10, s1
	v_mov_b32_e32 v1, s0
	v_mov_b32_e32 v2, s1
	s_cselect_b32 s0, s11, s2
	s_cselect_b32 s1, s12, s3
	flat_load_dwordx2 v[3:4], v[1:2]
	v_mov_b32_e32 v1, s0
	v_mov_b32_e32 v2, s1
	flat_load_dwordx2 v[1:2], v[1:2]
	s_waitcnt vmcnt(1) lgkmcnt(1)
	v_cmp_eq_f32_e32 vcc_lo, 0, v3
	v_cmp_eq_f32_e64 s0, 0, v4
	s_and_b32 s2, vcc_lo, s0
	s_mov_b32 s0, -1
	s_and_saveexec_b32 s1, s2
	s_cbranch_execz .LBB170_2
; %bb.1:
	s_waitcnt vmcnt(0) lgkmcnt(0)
	v_cmp_neq_f32_e32 vcc_lo, 1.0, v1
	v_cmp_neq_f32_e64 s0, 0, v2
	s_or_b32 s0, vcc_lo, s0
	s_orn2_b32 s0, s0, exec_lo
.LBB170_2:
	s_or_b32 exec_lo, exec_lo, s1
	s_and_saveexec_b32 s1, s0
	s_cbranch_execz .LBB170_13
; %bb.3:
	s_load_dword s0, s[4:5], 0x0
	v_lshrrev_b32_e32 v5, 5, v0
	v_lshl_or_b32 v5, s6, 2, v5
	s_waitcnt lgkmcnt(0)
	v_cmp_gt_i32_e32 vcc_lo, s0, v5
	s_and_b32 exec_lo, exec_lo, vcc_lo
	s_cbranch_execz .LBB170_13
; %bb.4:
	s_clause 0x1
	s_load_dwordx2 s[0:1], s[4:5], 0x10
	s_load_dwordx2 s[6:7], s[4:5], 0x38
	v_ashrrev_i32_e32 v6, 31, v5
	v_and_b32_e32 v0, 31, v0
	v_mov_b32_e32 v13, 0
	v_mov_b32_e32 v15, 0
	s_mov_b32 s9, exec_lo
	v_lshlrev_b64 v[7:8], 2, v[5:6]
	v_subrev_nc_u32_e32 v9, s8, v0
	s_waitcnt lgkmcnt(0)
	v_add_co_u32 v7, vcc_lo, s0, v7
	v_add_co_ci_u32_e64 v8, null, s1, v8, vcc_lo
	global_load_dwordx2 v[7:8], v[7:8], off
	s_waitcnt vmcnt(0)
	v_subrev_nc_u32_e32 v14, s8, v8
	v_add_nc_u32_e32 v7, v7, v9
	v_cmpx_lt_i32_e64 v7, v14
	s_cbranch_execz .LBB170_8
; %bb.5:
	s_clause 0x1
	s_load_dwordx4 s[0:3], s[4:5], 0x18
	s_load_dwordx2 s[4:5], s[4:5], 0x28
	v_mad_u64_u32 v[9:10], null, v7, 5, 4
	v_mov_b32_e32 v12, 0
	v_mov_b32_e32 v13, 0
	;; [unrolled: 1-line block ×3, first 2 shown]
	s_mov_b32 s10, 0
.LBB170_6:                              ; =>This Inner Loop Header: Depth=1
	v_ashrrev_i32_e32 v8, 31, v7
	v_mov_b32_e32 v17, v12
	v_lshlrev_b64 v[10:11], 2, v[7:8]
	v_add_nc_u32_e32 v7, 32, v7
	s_waitcnt lgkmcnt(0)
	v_add_co_u32 v10, vcc_lo, s0, v10
	v_add_co_ci_u32_e64 v11, null, s1, v11, vcc_lo
	global_load_dword v8, v[10:11], off
	v_add_nc_u32_e32 v11, -4, v9
	v_mov_b32_e32 v10, v12
	v_lshlrev_b64 v[18:19], 3, v[11:12]
	v_add_nc_u32_e32 v11, -3, v9
	v_lshlrev_b64 v[20:21], 3, v[9:10]
	v_lshlrev_b64 v[10:11], 3, v[11:12]
	v_add_co_u32 v18, vcc_lo, s2, v18
	v_add_co_ci_u32_e64 v19, null, s3, v19, vcc_lo
	v_add_co_u32 v20, vcc_lo, s2, v20
	v_add_co_ci_u32_e64 v21, null, s3, v21, vcc_lo
	;; [unrolled: 2-line block ×3, first 2 shown]
	s_clause 0x1
	global_load_dwordx2 v[18:19], v[18:19], off
	global_load_dwordx2 v[22:23], v[10:11], off
	s_waitcnt vmcnt(2)
	v_subrev_nc_u32_e32 v8, s8, v8
	v_lshl_add_u32 v16, v8, 2, v8
	v_lshlrev_b64 v[24:25], 3, v[16:17]
	v_add_nc_u32_e32 v11, 1, v16
	v_lshlrev_b64 v[26:27], 3, v[11:12]
	v_add_co_u32 v24, vcc_lo, s4, v24
	v_add_co_ci_u32_e64 v25, null, s5, v25, vcc_lo
	v_add_nc_u32_e32 v11, -2, v9
	v_add_co_u32 v26, vcc_lo, s4, v26
	global_load_dwordx2 v[24:25], v[24:25], off
	v_add_co_ci_u32_e64 v27, null, s5, v27, vcc_lo
	v_lshlrev_b64 v[28:29], 3, v[11:12]
	v_add_nc_u32_e32 v11, 2, v16
	global_load_dwordx2 v[26:27], v[26:27], off
	v_lshlrev_b64 v[30:31], 3, v[11:12]
	v_add_nc_u32_e32 v11, -1, v9
	v_add_co_u32 v28, vcc_lo, s2, v28
	v_add_co_ci_u32_e64 v29, null, s3, v29, vcc_lo
	v_lshlrev_b64 v[32:33], 3, v[11:12]
	v_add_nc_u32_e32 v11, 3, v16
	v_add_co_u32 v30, vcc_lo, s4, v30
	v_add_co_ci_u32_e64 v31, null, s5, v31, vcc_lo
	v_lshlrev_b64 v[34:35], 3, v[11:12]
	global_load_dwordx2 v[28:29], v[28:29], off
	v_add_nc_u32_e32 v11, 4, v16
	global_load_dwordx2 v[16:17], v[30:31], off
	v_add_co_u32 v30, vcc_lo, s2, v32
	v_add_co_ci_u32_e64 v31, null, s3, v33, vcc_lo
	v_add_co_u32 v32, vcc_lo, s4, v34
	v_add_co_ci_u32_e64 v33, null, s5, v35, vcc_lo
	v_lshlrev_b64 v[10:11], 3, v[11:12]
	global_load_dwordx2 v[30:31], v[30:31], off
	global_load_dwordx2 v[32:33], v[32:33], off
	v_add_nc_u32_e32 v9, 0xa0, v9
	v_add_co_u32 v10, vcc_lo, s4, v10
	v_add_co_ci_u32_e64 v11, null, s5, v11, vcc_lo
	global_load_dwordx2 v[20:21], v[20:21], off
	global_load_dwordx2 v[10:11], v[10:11], off
	v_cmp_ge_i32_e32 vcc_lo, v7, v14
	s_or_b32 s10, vcc_lo, s10
	s_waitcnt vmcnt(7)
	v_fmac_f32_e32 v15, v18, v24
	v_fmac_f32_e32 v13, v19, v24
	v_fma_f32 v8, -v19, v25, v15
	v_fmac_f32_e32 v13, v18, v25
	s_waitcnt vmcnt(6)
	v_fmac_f32_e32 v8, v22, v26
	v_fmac_f32_e32 v13, v23, v26
	v_fma_f32 v8, -v23, v27, v8
	v_fmac_f32_e32 v13, v22, v27
	;; [unrolled: 5-line block ×5, first 2 shown]
	s_andn2_b32 exec_lo, exec_lo, s10
	s_cbranch_execnz .LBB170_6
; %bb.7:
	s_or_b32 exec_lo, exec_lo, s10
.LBB170_8:
	s_or_b32 exec_lo, exec_lo, s9
	v_mbcnt_lo_u32_b32 v7, -1, 0
	v_xor_b32_e32 v8, 16, v7
	v_xor_b32_e32 v10, 8, v7
	;; [unrolled: 1-line block ×3, first 2 shown]
	v_cmp_gt_i32_e32 vcc_lo, 32, v8
	v_cndmask_b32_e32 v8, v7, v8, vcc_lo
	v_cmp_gt_i32_e32 vcc_lo, 32, v10
	v_lshlrev_b32_e32 v8, 2, v8
	v_cndmask_b32_e32 v10, v7, v10, vcc_lo
	v_cmp_gt_i32_e32 vcc_lo, 32, v12
	ds_bpermute_b32 v9, v8, v15
	ds_bpermute_b32 v8, v8, v13
	v_lshlrev_b32_e32 v10, 2, v10
	v_cndmask_b32_e32 v12, v7, v12, vcc_lo
	v_lshlrev_b32_e32 v12, 2, v12
	s_waitcnt lgkmcnt(1)
	v_add_f32_e32 v9, v15, v9
	s_waitcnt lgkmcnt(0)
	v_add_f32_e32 v8, v13, v8
	ds_bpermute_b32 v11, v10, v9
	ds_bpermute_b32 v10, v10, v8
	s_waitcnt lgkmcnt(1)
	v_add_f32_e32 v9, v9, v11
	s_waitcnt lgkmcnt(0)
	v_add_f32_e32 v8, v8, v10
	ds_bpermute_b32 v10, v12, v9
	ds_bpermute_b32 v11, v12, v8
	v_xor_b32_e32 v12, 2, v7
	v_cmp_gt_i32_e32 vcc_lo, 32, v12
	v_cndmask_b32_e32 v12, v7, v12, vcc_lo
	v_lshlrev_b32_e32 v12, 2, v12
	s_waitcnt lgkmcnt(1)
	v_add_f32_e32 v9, v9, v10
	s_waitcnt lgkmcnt(0)
	v_add_f32_e32 v8, v8, v11
	ds_bpermute_b32 v10, v12, v9
	ds_bpermute_b32 v11, v12, v8
	v_xor_b32_e32 v12, 1, v7
	v_cmp_gt_i32_e32 vcc_lo, 32, v12
	v_cndmask_b32_e32 v7, v7, v12, vcc_lo
	v_cmp_eq_u32_e32 vcc_lo, 31, v0
	v_lshlrev_b32_e32 v12, 2, v7
	s_waitcnt lgkmcnt(1)
	v_add_f32_e32 v7, v9, v10
	s_waitcnt lgkmcnt(0)
	v_add_f32_e32 v9, v8, v11
	ds_bpermute_b32 v8, v12, v7
	ds_bpermute_b32 v10, v12, v9
	s_and_b32 exec_lo, exec_lo, vcc_lo
	s_cbranch_execz .LBB170_13
; %bb.9:
	s_waitcnt lgkmcnt(0)
	v_add_f32_e32 v0, v9, v10
	v_add_f32_e32 v9, v7, v8
	v_cmp_eq_f32_e32 vcc_lo, 0, v1
	v_cmp_eq_f32_e64 s0, 0, v2
	v_lshlrev_b64 v[5:6], 3, v[5:6]
	v_mul_f32_e64 v7, v0, -v4
	v_mul_f32_e32 v8, v3, v0
	s_and_b32 s0, vcc_lo, s0
	v_fmac_f32_e32 v7, v3, v9
	v_fmac_f32_e32 v8, v4, v9
	s_and_saveexec_b32 s1, s0
	s_xor_b32 s0, exec_lo, s1
	s_cbranch_execz .LBB170_11
; %bb.10:
	v_add_co_u32 v0, vcc_lo, s6, v5
	v_add_co_ci_u32_e64 v1, null, s7, v6, vcc_lo
                                        ; implicit-def: $vgpr5_vgpr6
	global_store_dwordx2 v[0:1], v[7:8], off
                                        ; implicit-def: $vgpr1_vgpr2
                                        ; implicit-def: $vgpr7
.LBB170_11:
	s_andn2_saveexec_b32 s0, s0
	s_cbranch_execz .LBB170_13
; %bb.12:
	v_add_co_u32 v3, vcc_lo, s6, v5
	v_add_co_ci_u32_e64 v4, null, s7, v6, vcc_lo
	global_load_dwordx2 v[5:6], v[3:4], off
	s_waitcnt vmcnt(0)
	v_fmac_f32_e32 v7, v1, v5
	v_fmac_f32_e32 v8, v2, v5
	v_fma_f32 v7, -v2, v6, v7
	v_fmac_f32_e32 v8, v1, v6
	global_store_dwordx2 v[3:4], v[7:8], off
.LBB170_13:
	s_endpgm
	.section	.rodata,"a",@progbits
	.p2align	6, 0x0
	.amdhsa_kernel _ZN9rocsparseL19gebsrmvn_1xn_kernelILj128ELj5ELj32E21rocsparse_complex_numIfEEEvi20rocsparse_direction_NS_24const_host_device_scalarIT2_EEPKiS8_PKS5_SA_S6_PS5_21rocsparse_index_base_b
		.amdhsa_group_segment_fixed_size 0
		.amdhsa_private_segment_fixed_size 0
		.amdhsa_kernarg_size 72
		.amdhsa_user_sgpr_count 6
		.amdhsa_user_sgpr_private_segment_buffer 1
		.amdhsa_user_sgpr_dispatch_ptr 0
		.amdhsa_user_sgpr_queue_ptr 0
		.amdhsa_user_sgpr_kernarg_segment_ptr 1
		.amdhsa_user_sgpr_dispatch_id 0
		.amdhsa_user_sgpr_flat_scratch_init 0
		.amdhsa_user_sgpr_private_segment_size 0
		.amdhsa_wavefront_size32 1
		.amdhsa_uses_dynamic_stack 0
		.amdhsa_system_sgpr_private_segment_wavefront_offset 0
		.amdhsa_system_sgpr_workgroup_id_x 1
		.amdhsa_system_sgpr_workgroup_id_y 0
		.amdhsa_system_sgpr_workgroup_id_z 0
		.amdhsa_system_sgpr_workgroup_info 0
		.amdhsa_system_vgpr_workitem_id 0
		.amdhsa_next_free_vgpr 36
		.amdhsa_next_free_sgpr 13
		.amdhsa_reserve_vcc 1
		.amdhsa_reserve_flat_scratch 0
		.amdhsa_float_round_mode_32 0
		.amdhsa_float_round_mode_16_64 0
		.amdhsa_float_denorm_mode_32 3
		.amdhsa_float_denorm_mode_16_64 3
		.amdhsa_dx10_clamp 1
		.amdhsa_ieee_mode 1
		.amdhsa_fp16_overflow 0
		.amdhsa_workgroup_processor_mode 1
		.amdhsa_memory_ordered 1
		.amdhsa_forward_progress 1
		.amdhsa_shared_vgpr_count 0
		.amdhsa_exception_fp_ieee_invalid_op 0
		.amdhsa_exception_fp_denorm_src 0
		.amdhsa_exception_fp_ieee_div_zero 0
		.amdhsa_exception_fp_ieee_overflow 0
		.amdhsa_exception_fp_ieee_underflow 0
		.amdhsa_exception_fp_ieee_inexact 0
		.amdhsa_exception_int_div_zero 0
	.end_amdhsa_kernel
	.section	.text._ZN9rocsparseL19gebsrmvn_1xn_kernelILj128ELj5ELj32E21rocsparse_complex_numIfEEEvi20rocsparse_direction_NS_24const_host_device_scalarIT2_EEPKiS8_PKS5_SA_S6_PS5_21rocsparse_index_base_b,"axG",@progbits,_ZN9rocsparseL19gebsrmvn_1xn_kernelILj128ELj5ELj32E21rocsparse_complex_numIfEEEvi20rocsparse_direction_NS_24const_host_device_scalarIT2_EEPKiS8_PKS5_SA_S6_PS5_21rocsparse_index_base_b,comdat
.Lfunc_end170:
	.size	_ZN9rocsparseL19gebsrmvn_1xn_kernelILj128ELj5ELj32E21rocsparse_complex_numIfEEEvi20rocsparse_direction_NS_24const_host_device_scalarIT2_EEPKiS8_PKS5_SA_S6_PS5_21rocsparse_index_base_b, .Lfunc_end170-_ZN9rocsparseL19gebsrmvn_1xn_kernelILj128ELj5ELj32E21rocsparse_complex_numIfEEEvi20rocsparse_direction_NS_24const_host_device_scalarIT2_EEPKiS8_PKS5_SA_S6_PS5_21rocsparse_index_base_b
                                        ; -- End function
	.set _ZN9rocsparseL19gebsrmvn_1xn_kernelILj128ELj5ELj32E21rocsparse_complex_numIfEEEvi20rocsparse_direction_NS_24const_host_device_scalarIT2_EEPKiS8_PKS5_SA_S6_PS5_21rocsparse_index_base_b.num_vgpr, 36
	.set _ZN9rocsparseL19gebsrmvn_1xn_kernelILj128ELj5ELj32E21rocsparse_complex_numIfEEEvi20rocsparse_direction_NS_24const_host_device_scalarIT2_EEPKiS8_PKS5_SA_S6_PS5_21rocsparse_index_base_b.num_agpr, 0
	.set _ZN9rocsparseL19gebsrmvn_1xn_kernelILj128ELj5ELj32E21rocsparse_complex_numIfEEEvi20rocsparse_direction_NS_24const_host_device_scalarIT2_EEPKiS8_PKS5_SA_S6_PS5_21rocsparse_index_base_b.numbered_sgpr, 13
	.set _ZN9rocsparseL19gebsrmvn_1xn_kernelILj128ELj5ELj32E21rocsparse_complex_numIfEEEvi20rocsparse_direction_NS_24const_host_device_scalarIT2_EEPKiS8_PKS5_SA_S6_PS5_21rocsparse_index_base_b.num_named_barrier, 0
	.set _ZN9rocsparseL19gebsrmvn_1xn_kernelILj128ELj5ELj32E21rocsparse_complex_numIfEEEvi20rocsparse_direction_NS_24const_host_device_scalarIT2_EEPKiS8_PKS5_SA_S6_PS5_21rocsparse_index_base_b.private_seg_size, 0
	.set _ZN9rocsparseL19gebsrmvn_1xn_kernelILj128ELj5ELj32E21rocsparse_complex_numIfEEEvi20rocsparse_direction_NS_24const_host_device_scalarIT2_EEPKiS8_PKS5_SA_S6_PS5_21rocsparse_index_base_b.uses_vcc, 1
	.set _ZN9rocsparseL19gebsrmvn_1xn_kernelILj128ELj5ELj32E21rocsparse_complex_numIfEEEvi20rocsparse_direction_NS_24const_host_device_scalarIT2_EEPKiS8_PKS5_SA_S6_PS5_21rocsparse_index_base_b.uses_flat_scratch, 0
	.set _ZN9rocsparseL19gebsrmvn_1xn_kernelILj128ELj5ELj32E21rocsparse_complex_numIfEEEvi20rocsparse_direction_NS_24const_host_device_scalarIT2_EEPKiS8_PKS5_SA_S6_PS5_21rocsparse_index_base_b.has_dyn_sized_stack, 0
	.set _ZN9rocsparseL19gebsrmvn_1xn_kernelILj128ELj5ELj32E21rocsparse_complex_numIfEEEvi20rocsparse_direction_NS_24const_host_device_scalarIT2_EEPKiS8_PKS5_SA_S6_PS5_21rocsparse_index_base_b.has_recursion, 0
	.set _ZN9rocsparseL19gebsrmvn_1xn_kernelILj128ELj5ELj32E21rocsparse_complex_numIfEEEvi20rocsparse_direction_NS_24const_host_device_scalarIT2_EEPKiS8_PKS5_SA_S6_PS5_21rocsparse_index_base_b.has_indirect_call, 0
	.section	.AMDGPU.csdata,"",@progbits
; Kernel info:
; codeLenInByte = 1332
; TotalNumSgprs: 15
; NumVgprs: 36
; ScratchSize: 0
; MemoryBound: 0
; FloatMode: 240
; IeeeMode: 1
; LDSByteSize: 0 bytes/workgroup (compile time only)
; SGPRBlocks: 0
; VGPRBlocks: 4
; NumSGPRsForWavesPerEU: 15
; NumVGPRsForWavesPerEU: 36
; Occupancy: 16
; WaveLimiterHint : 1
; COMPUTE_PGM_RSRC2:SCRATCH_EN: 0
; COMPUTE_PGM_RSRC2:USER_SGPR: 6
; COMPUTE_PGM_RSRC2:TRAP_HANDLER: 0
; COMPUTE_PGM_RSRC2:TGID_X_EN: 1
; COMPUTE_PGM_RSRC2:TGID_Y_EN: 0
; COMPUTE_PGM_RSRC2:TGID_Z_EN: 0
; COMPUTE_PGM_RSRC2:TIDIG_COMP_CNT: 0
	.section	.text._ZN9rocsparseL19gebsrmvn_1xn_kernelILj128ELj5ELj64E21rocsparse_complex_numIfEEEvi20rocsparse_direction_NS_24const_host_device_scalarIT2_EEPKiS8_PKS5_SA_S6_PS5_21rocsparse_index_base_b,"axG",@progbits,_ZN9rocsparseL19gebsrmvn_1xn_kernelILj128ELj5ELj64E21rocsparse_complex_numIfEEEvi20rocsparse_direction_NS_24const_host_device_scalarIT2_EEPKiS8_PKS5_SA_S6_PS5_21rocsparse_index_base_b,comdat
	.globl	_ZN9rocsparseL19gebsrmvn_1xn_kernelILj128ELj5ELj64E21rocsparse_complex_numIfEEEvi20rocsparse_direction_NS_24const_host_device_scalarIT2_EEPKiS8_PKS5_SA_S6_PS5_21rocsparse_index_base_b ; -- Begin function _ZN9rocsparseL19gebsrmvn_1xn_kernelILj128ELj5ELj64E21rocsparse_complex_numIfEEEvi20rocsparse_direction_NS_24const_host_device_scalarIT2_EEPKiS8_PKS5_SA_S6_PS5_21rocsparse_index_base_b
	.p2align	8
	.type	_ZN9rocsparseL19gebsrmvn_1xn_kernelILj128ELj5ELj64E21rocsparse_complex_numIfEEEvi20rocsparse_direction_NS_24const_host_device_scalarIT2_EEPKiS8_PKS5_SA_S6_PS5_21rocsparse_index_base_b,@function
_ZN9rocsparseL19gebsrmvn_1xn_kernelILj128ELj5ELj64E21rocsparse_complex_numIfEEEvi20rocsparse_direction_NS_24const_host_device_scalarIT2_EEPKiS8_PKS5_SA_S6_PS5_21rocsparse_index_base_b: ; @_ZN9rocsparseL19gebsrmvn_1xn_kernelILj128ELj5ELj64E21rocsparse_complex_numIfEEEvi20rocsparse_direction_NS_24const_host_device_scalarIT2_EEPKiS8_PKS5_SA_S6_PS5_21rocsparse_index_base_b
; %bb.0:
	s_clause 0x2
	s_load_dwordx2 s[8:9], s[4:5], 0x40
	s_load_dwordx2 s[0:1], s[4:5], 0x8
	;; [unrolled: 1-line block ×3, first 2 shown]
	s_add_u32 s7, s4, 8
	s_addc_u32 s10, s5, 0
	s_add_u32 s11, s4, 48
	s_addc_u32 s12, s5, 0
	s_waitcnt lgkmcnt(0)
	s_bitcmp1_b32 s9, 0
	s_cselect_b32 s0, s7, s0
	s_cselect_b32 s1, s10, s1
	v_mov_b32_e32 v1, s0
	v_mov_b32_e32 v2, s1
	s_cselect_b32 s0, s11, s2
	s_cselect_b32 s1, s12, s3
	flat_load_dwordx2 v[3:4], v[1:2]
	v_mov_b32_e32 v1, s0
	v_mov_b32_e32 v2, s1
	flat_load_dwordx2 v[1:2], v[1:2]
	s_waitcnt vmcnt(1) lgkmcnt(1)
	v_cmp_eq_f32_e32 vcc_lo, 0, v3
	v_cmp_eq_f32_e64 s0, 0, v4
	s_and_b32 s2, vcc_lo, s0
	s_mov_b32 s0, -1
	s_and_saveexec_b32 s1, s2
	s_cbranch_execz .LBB171_2
; %bb.1:
	s_waitcnt vmcnt(0) lgkmcnt(0)
	v_cmp_neq_f32_e32 vcc_lo, 1.0, v1
	v_cmp_neq_f32_e64 s0, 0, v2
	s_or_b32 s0, vcc_lo, s0
	s_orn2_b32 s0, s0, exec_lo
.LBB171_2:
	s_or_b32 exec_lo, exec_lo, s1
	s_and_saveexec_b32 s1, s0
	s_cbranch_execz .LBB171_13
; %bb.3:
	s_load_dword s0, s[4:5], 0x0
	v_lshrrev_b32_e32 v5, 6, v0
	v_lshl_or_b32 v5, s6, 1, v5
	s_waitcnt lgkmcnt(0)
	v_cmp_gt_i32_e32 vcc_lo, s0, v5
	s_and_b32 exec_lo, exec_lo, vcc_lo
	s_cbranch_execz .LBB171_13
; %bb.4:
	s_clause 0x1
	s_load_dwordx2 s[0:1], s[4:5], 0x10
	s_load_dwordx2 s[6:7], s[4:5], 0x38
	v_ashrrev_i32_e32 v6, 31, v5
	v_and_b32_e32 v0, 63, v0
	v_mov_b32_e32 v13, 0
	v_mov_b32_e32 v14, 0
	s_mov_b32 s9, exec_lo
	v_lshlrev_b64 v[7:8], 2, v[5:6]
	v_subrev_nc_u32_e32 v9, s8, v0
	s_waitcnt lgkmcnt(0)
	v_add_co_u32 v7, vcc_lo, s0, v7
	v_add_co_ci_u32_e64 v8, null, s1, v8, vcc_lo
	global_load_dwordx2 v[7:8], v[7:8], off
	s_waitcnt vmcnt(0)
	v_subrev_nc_u32_e32 v15, s8, v8
	v_add_nc_u32_e32 v7, v7, v9
	v_cmpx_lt_i32_e64 v7, v15
	s_cbranch_execz .LBB171_8
; %bb.5:
	s_clause 0x1
	s_load_dwordx4 s[0:3], s[4:5], 0x18
	s_load_dwordx2 s[4:5], s[4:5], 0x28
	v_mad_u64_u32 v[9:10], null, v7, 5, 4
	v_mov_b32_e32 v12, 0
	v_mov_b32_e32 v13, 0
	;; [unrolled: 1-line block ×3, first 2 shown]
	s_mov_b32 s10, 0
.LBB171_6:                              ; =>This Inner Loop Header: Depth=1
	v_ashrrev_i32_e32 v8, 31, v7
	v_mov_b32_e32 v17, v12
	v_lshlrev_b64 v[10:11], 2, v[7:8]
	v_add_nc_u32_e32 v7, 64, v7
	s_waitcnt lgkmcnt(0)
	v_add_co_u32 v10, vcc_lo, s0, v10
	v_add_co_ci_u32_e64 v11, null, s1, v11, vcc_lo
	global_load_dword v8, v[10:11], off
	v_add_nc_u32_e32 v11, -4, v9
	v_mov_b32_e32 v10, v12
	v_lshlrev_b64 v[18:19], 3, v[11:12]
	v_add_nc_u32_e32 v11, -3, v9
	v_lshlrev_b64 v[20:21], 3, v[9:10]
	v_lshlrev_b64 v[10:11], 3, v[11:12]
	v_add_co_u32 v18, vcc_lo, s2, v18
	v_add_co_ci_u32_e64 v19, null, s3, v19, vcc_lo
	v_add_co_u32 v20, vcc_lo, s2, v20
	v_add_co_ci_u32_e64 v21, null, s3, v21, vcc_lo
	;; [unrolled: 2-line block ×3, first 2 shown]
	s_clause 0x1
	global_load_dwordx2 v[18:19], v[18:19], off
	global_load_dwordx2 v[22:23], v[10:11], off
	s_waitcnt vmcnt(2)
	v_subrev_nc_u32_e32 v8, s8, v8
	v_lshl_add_u32 v16, v8, 2, v8
	v_lshlrev_b64 v[24:25], 3, v[16:17]
	v_add_nc_u32_e32 v11, 1, v16
	v_lshlrev_b64 v[26:27], 3, v[11:12]
	v_add_co_u32 v24, vcc_lo, s4, v24
	v_add_co_ci_u32_e64 v25, null, s5, v25, vcc_lo
	v_add_nc_u32_e32 v11, -2, v9
	v_add_co_u32 v26, vcc_lo, s4, v26
	global_load_dwordx2 v[24:25], v[24:25], off
	v_add_co_ci_u32_e64 v27, null, s5, v27, vcc_lo
	v_lshlrev_b64 v[28:29], 3, v[11:12]
	v_add_nc_u32_e32 v11, 2, v16
	global_load_dwordx2 v[26:27], v[26:27], off
	v_lshlrev_b64 v[30:31], 3, v[11:12]
	v_add_nc_u32_e32 v11, -1, v9
	v_add_co_u32 v28, vcc_lo, s2, v28
	v_add_co_ci_u32_e64 v29, null, s3, v29, vcc_lo
	v_lshlrev_b64 v[32:33], 3, v[11:12]
	v_add_nc_u32_e32 v11, 3, v16
	v_add_co_u32 v30, vcc_lo, s4, v30
	v_add_co_ci_u32_e64 v31, null, s5, v31, vcc_lo
	v_lshlrev_b64 v[34:35], 3, v[11:12]
	global_load_dwordx2 v[28:29], v[28:29], off
	v_add_nc_u32_e32 v11, 4, v16
	global_load_dwordx2 v[16:17], v[30:31], off
	v_add_co_u32 v30, vcc_lo, s2, v32
	v_add_co_ci_u32_e64 v31, null, s3, v33, vcc_lo
	v_add_co_u32 v32, vcc_lo, s4, v34
	v_add_co_ci_u32_e64 v33, null, s5, v35, vcc_lo
	v_lshlrev_b64 v[10:11], 3, v[11:12]
	global_load_dwordx2 v[30:31], v[30:31], off
	global_load_dwordx2 v[32:33], v[32:33], off
	v_add_nc_u32_e32 v9, 0x140, v9
	v_add_co_u32 v10, vcc_lo, s4, v10
	v_add_co_ci_u32_e64 v11, null, s5, v11, vcc_lo
	global_load_dwordx2 v[20:21], v[20:21], off
	global_load_dwordx2 v[10:11], v[10:11], off
	v_cmp_ge_i32_e32 vcc_lo, v7, v15
	s_or_b32 s10, vcc_lo, s10
	s_waitcnt vmcnt(7)
	v_fmac_f32_e32 v14, v18, v24
	v_fmac_f32_e32 v13, v19, v24
	v_fma_f32 v8, -v19, v25, v14
	v_fmac_f32_e32 v13, v18, v25
	s_waitcnt vmcnt(6)
	v_fmac_f32_e32 v8, v22, v26
	v_fmac_f32_e32 v13, v23, v26
	v_fma_f32 v8, -v23, v27, v8
	v_fmac_f32_e32 v13, v22, v27
	;; [unrolled: 5-line block ×5, first 2 shown]
	s_andn2_b32 exec_lo, exec_lo, s10
	s_cbranch_execnz .LBB171_6
; %bb.7:
	s_or_b32 exec_lo, exec_lo, s10
.LBB171_8:
	s_or_b32 exec_lo, exec_lo, s9
	v_mbcnt_lo_u32_b32 v7, -1, 0
	v_or_b32_e32 v8, 32, v7
	v_xor_b32_e32 v10, 16, v7
	v_xor_b32_e32 v12, 8, v7
	v_cmp_gt_i32_e32 vcc_lo, 32, v8
	v_cndmask_b32_e32 v8, v7, v8, vcc_lo
	v_cmp_gt_i32_e32 vcc_lo, 32, v10
	v_lshlrev_b32_e32 v8, 2, v8
	v_cndmask_b32_e32 v10, v7, v10, vcc_lo
	v_cmp_gt_i32_e32 vcc_lo, 32, v12
	ds_bpermute_b32 v9, v8, v14
	ds_bpermute_b32 v8, v8, v13
	v_lshlrev_b32_e32 v10, 2, v10
	v_cndmask_b32_e32 v12, v7, v12, vcc_lo
	v_lshlrev_b32_e32 v12, 2, v12
	s_waitcnt lgkmcnt(1)
	v_add_f32_e32 v9, v14, v9
	s_waitcnt lgkmcnt(0)
	v_add_f32_e32 v8, v13, v8
	ds_bpermute_b32 v11, v10, v9
	ds_bpermute_b32 v10, v10, v8
	s_waitcnt lgkmcnt(1)
	v_add_f32_e32 v9, v9, v11
	s_waitcnt lgkmcnt(0)
	v_add_f32_e32 v8, v8, v10
	ds_bpermute_b32 v10, v12, v9
	ds_bpermute_b32 v11, v12, v8
	v_xor_b32_e32 v12, 4, v7
	v_cmp_gt_i32_e32 vcc_lo, 32, v12
	v_cndmask_b32_e32 v12, v7, v12, vcc_lo
	v_lshlrev_b32_e32 v12, 2, v12
	s_waitcnt lgkmcnt(1)
	v_add_f32_e32 v9, v9, v10
	s_waitcnt lgkmcnt(0)
	v_add_f32_e32 v8, v8, v11
	ds_bpermute_b32 v10, v12, v9
	ds_bpermute_b32 v11, v12, v8
	v_xor_b32_e32 v12, 2, v7
	v_cmp_gt_i32_e32 vcc_lo, 32, v12
	v_cndmask_b32_e32 v12, v7, v12, vcc_lo
	v_lshlrev_b32_e32 v12, 2, v12
	s_waitcnt lgkmcnt(1)
	v_add_f32_e32 v9, v9, v10
	s_waitcnt lgkmcnt(0)
	v_add_f32_e32 v8, v8, v11
	ds_bpermute_b32 v10, v12, v9
	ds_bpermute_b32 v11, v12, v8
	v_xor_b32_e32 v12, 1, v7
	v_cmp_gt_i32_e32 vcc_lo, 32, v12
	v_cndmask_b32_e32 v7, v7, v12, vcc_lo
	v_cmp_eq_u32_e32 vcc_lo, 63, v0
	v_lshlrev_b32_e32 v12, 2, v7
	s_waitcnt lgkmcnt(1)
	v_add_f32_e32 v7, v9, v10
	s_waitcnt lgkmcnt(0)
	v_add_f32_e32 v9, v8, v11
	ds_bpermute_b32 v8, v12, v7
	ds_bpermute_b32 v10, v12, v9
	s_and_b32 exec_lo, exec_lo, vcc_lo
	s_cbranch_execz .LBB171_13
; %bb.9:
	s_waitcnt lgkmcnt(0)
	v_add_f32_e32 v0, v9, v10
	v_add_f32_e32 v9, v7, v8
	v_cmp_eq_f32_e32 vcc_lo, 0, v1
	v_cmp_eq_f32_e64 s0, 0, v2
	v_lshlrev_b64 v[5:6], 3, v[5:6]
	v_mul_f32_e64 v7, v0, -v4
	v_mul_f32_e32 v8, v3, v0
	s_and_b32 s0, vcc_lo, s0
	v_fmac_f32_e32 v7, v3, v9
	v_fmac_f32_e32 v8, v4, v9
	s_and_saveexec_b32 s1, s0
	s_xor_b32 s0, exec_lo, s1
	s_cbranch_execz .LBB171_11
; %bb.10:
	v_add_co_u32 v0, vcc_lo, s6, v5
	v_add_co_ci_u32_e64 v1, null, s7, v6, vcc_lo
                                        ; implicit-def: $vgpr5_vgpr6
	global_store_dwordx2 v[0:1], v[7:8], off
                                        ; implicit-def: $vgpr1_vgpr2
                                        ; implicit-def: $vgpr7
.LBB171_11:
	s_andn2_saveexec_b32 s0, s0
	s_cbranch_execz .LBB171_13
; %bb.12:
	v_add_co_u32 v3, vcc_lo, s6, v5
	v_add_co_ci_u32_e64 v4, null, s7, v6, vcc_lo
	global_load_dwordx2 v[5:6], v[3:4], off
	s_waitcnt vmcnt(0)
	v_fmac_f32_e32 v7, v1, v5
	v_fmac_f32_e32 v8, v2, v5
	v_fma_f32 v7, -v2, v6, v7
	v_fmac_f32_e32 v8, v1, v6
	global_store_dwordx2 v[3:4], v[7:8], off
.LBB171_13:
	s_endpgm
	.section	.rodata,"a",@progbits
	.p2align	6, 0x0
	.amdhsa_kernel _ZN9rocsparseL19gebsrmvn_1xn_kernelILj128ELj5ELj64E21rocsparse_complex_numIfEEEvi20rocsparse_direction_NS_24const_host_device_scalarIT2_EEPKiS8_PKS5_SA_S6_PS5_21rocsparse_index_base_b
		.amdhsa_group_segment_fixed_size 0
		.amdhsa_private_segment_fixed_size 0
		.amdhsa_kernarg_size 72
		.amdhsa_user_sgpr_count 6
		.amdhsa_user_sgpr_private_segment_buffer 1
		.amdhsa_user_sgpr_dispatch_ptr 0
		.amdhsa_user_sgpr_queue_ptr 0
		.amdhsa_user_sgpr_kernarg_segment_ptr 1
		.amdhsa_user_sgpr_dispatch_id 0
		.amdhsa_user_sgpr_flat_scratch_init 0
		.amdhsa_user_sgpr_private_segment_size 0
		.amdhsa_wavefront_size32 1
		.amdhsa_uses_dynamic_stack 0
		.amdhsa_system_sgpr_private_segment_wavefront_offset 0
		.amdhsa_system_sgpr_workgroup_id_x 1
		.amdhsa_system_sgpr_workgroup_id_y 0
		.amdhsa_system_sgpr_workgroup_id_z 0
		.amdhsa_system_sgpr_workgroup_info 0
		.amdhsa_system_vgpr_workitem_id 0
		.amdhsa_next_free_vgpr 36
		.amdhsa_next_free_sgpr 13
		.amdhsa_reserve_vcc 1
		.amdhsa_reserve_flat_scratch 0
		.amdhsa_float_round_mode_32 0
		.amdhsa_float_round_mode_16_64 0
		.amdhsa_float_denorm_mode_32 3
		.amdhsa_float_denorm_mode_16_64 3
		.amdhsa_dx10_clamp 1
		.amdhsa_ieee_mode 1
		.amdhsa_fp16_overflow 0
		.amdhsa_workgroup_processor_mode 1
		.amdhsa_memory_ordered 1
		.amdhsa_forward_progress 1
		.amdhsa_shared_vgpr_count 0
		.amdhsa_exception_fp_ieee_invalid_op 0
		.amdhsa_exception_fp_denorm_src 0
		.amdhsa_exception_fp_ieee_div_zero 0
		.amdhsa_exception_fp_ieee_overflow 0
		.amdhsa_exception_fp_ieee_underflow 0
		.amdhsa_exception_fp_ieee_inexact 0
		.amdhsa_exception_int_div_zero 0
	.end_amdhsa_kernel
	.section	.text._ZN9rocsparseL19gebsrmvn_1xn_kernelILj128ELj5ELj64E21rocsparse_complex_numIfEEEvi20rocsparse_direction_NS_24const_host_device_scalarIT2_EEPKiS8_PKS5_SA_S6_PS5_21rocsparse_index_base_b,"axG",@progbits,_ZN9rocsparseL19gebsrmvn_1xn_kernelILj128ELj5ELj64E21rocsparse_complex_numIfEEEvi20rocsparse_direction_NS_24const_host_device_scalarIT2_EEPKiS8_PKS5_SA_S6_PS5_21rocsparse_index_base_b,comdat
.Lfunc_end171:
	.size	_ZN9rocsparseL19gebsrmvn_1xn_kernelILj128ELj5ELj64E21rocsparse_complex_numIfEEEvi20rocsparse_direction_NS_24const_host_device_scalarIT2_EEPKiS8_PKS5_SA_S6_PS5_21rocsparse_index_base_b, .Lfunc_end171-_ZN9rocsparseL19gebsrmvn_1xn_kernelILj128ELj5ELj64E21rocsparse_complex_numIfEEEvi20rocsparse_direction_NS_24const_host_device_scalarIT2_EEPKiS8_PKS5_SA_S6_PS5_21rocsparse_index_base_b
                                        ; -- End function
	.set _ZN9rocsparseL19gebsrmvn_1xn_kernelILj128ELj5ELj64E21rocsparse_complex_numIfEEEvi20rocsparse_direction_NS_24const_host_device_scalarIT2_EEPKiS8_PKS5_SA_S6_PS5_21rocsparse_index_base_b.num_vgpr, 36
	.set _ZN9rocsparseL19gebsrmvn_1xn_kernelILj128ELj5ELj64E21rocsparse_complex_numIfEEEvi20rocsparse_direction_NS_24const_host_device_scalarIT2_EEPKiS8_PKS5_SA_S6_PS5_21rocsparse_index_base_b.num_agpr, 0
	.set _ZN9rocsparseL19gebsrmvn_1xn_kernelILj128ELj5ELj64E21rocsparse_complex_numIfEEEvi20rocsparse_direction_NS_24const_host_device_scalarIT2_EEPKiS8_PKS5_SA_S6_PS5_21rocsparse_index_base_b.numbered_sgpr, 13
	.set _ZN9rocsparseL19gebsrmvn_1xn_kernelILj128ELj5ELj64E21rocsparse_complex_numIfEEEvi20rocsparse_direction_NS_24const_host_device_scalarIT2_EEPKiS8_PKS5_SA_S6_PS5_21rocsparse_index_base_b.num_named_barrier, 0
	.set _ZN9rocsparseL19gebsrmvn_1xn_kernelILj128ELj5ELj64E21rocsparse_complex_numIfEEEvi20rocsparse_direction_NS_24const_host_device_scalarIT2_EEPKiS8_PKS5_SA_S6_PS5_21rocsparse_index_base_b.private_seg_size, 0
	.set _ZN9rocsparseL19gebsrmvn_1xn_kernelILj128ELj5ELj64E21rocsparse_complex_numIfEEEvi20rocsparse_direction_NS_24const_host_device_scalarIT2_EEPKiS8_PKS5_SA_S6_PS5_21rocsparse_index_base_b.uses_vcc, 1
	.set _ZN9rocsparseL19gebsrmvn_1xn_kernelILj128ELj5ELj64E21rocsparse_complex_numIfEEEvi20rocsparse_direction_NS_24const_host_device_scalarIT2_EEPKiS8_PKS5_SA_S6_PS5_21rocsparse_index_base_b.uses_flat_scratch, 0
	.set _ZN9rocsparseL19gebsrmvn_1xn_kernelILj128ELj5ELj64E21rocsparse_complex_numIfEEEvi20rocsparse_direction_NS_24const_host_device_scalarIT2_EEPKiS8_PKS5_SA_S6_PS5_21rocsparse_index_base_b.has_dyn_sized_stack, 0
	.set _ZN9rocsparseL19gebsrmvn_1xn_kernelILj128ELj5ELj64E21rocsparse_complex_numIfEEEvi20rocsparse_direction_NS_24const_host_device_scalarIT2_EEPKiS8_PKS5_SA_S6_PS5_21rocsparse_index_base_b.has_recursion, 0
	.set _ZN9rocsparseL19gebsrmvn_1xn_kernelILj128ELj5ELj64E21rocsparse_complex_numIfEEEvi20rocsparse_direction_NS_24const_host_device_scalarIT2_EEPKiS8_PKS5_SA_S6_PS5_21rocsparse_index_base_b.has_indirect_call, 0
	.section	.AMDGPU.csdata,"",@progbits
; Kernel info:
; codeLenInByte = 1380
; TotalNumSgprs: 15
; NumVgprs: 36
; ScratchSize: 0
; MemoryBound: 0
; FloatMode: 240
; IeeeMode: 1
; LDSByteSize: 0 bytes/workgroup (compile time only)
; SGPRBlocks: 0
; VGPRBlocks: 4
; NumSGPRsForWavesPerEU: 15
; NumVGPRsForWavesPerEU: 36
; Occupancy: 16
; WaveLimiterHint : 1
; COMPUTE_PGM_RSRC2:SCRATCH_EN: 0
; COMPUTE_PGM_RSRC2:USER_SGPR: 6
; COMPUTE_PGM_RSRC2:TRAP_HANDLER: 0
; COMPUTE_PGM_RSRC2:TGID_X_EN: 1
; COMPUTE_PGM_RSRC2:TGID_Y_EN: 0
; COMPUTE_PGM_RSRC2:TGID_Z_EN: 0
; COMPUTE_PGM_RSRC2:TIDIG_COMP_CNT: 0
	.section	.text._ZN9rocsparseL19gebsrmvn_1xn_kernelILj128ELj6ELj4E21rocsparse_complex_numIfEEEvi20rocsparse_direction_NS_24const_host_device_scalarIT2_EEPKiS8_PKS5_SA_S6_PS5_21rocsparse_index_base_b,"axG",@progbits,_ZN9rocsparseL19gebsrmvn_1xn_kernelILj128ELj6ELj4E21rocsparse_complex_numIfEEEvi20rocsparse_direction_NS_24const_host_device_scalarIT2_EEPKiS8_PKS5_SA_S6_PS5_21rocsparse_index_base_b,comdat
	.globl	_ZN9rocsparseL19gebsrmvn_1xn_kernelILj128ELj6ELj4E21rocsparse_complex_numIfEEEvi20rocsparse_direction_NS_24const_host_device_scalarIT2_EEPKiS8_PKS5_SA_S6_PS5_21rocsparse_index_base_b ; -- Begin function _ZN9rocsparseL19gebsrmvn_1xn_kernelILj128ELj6ELj4E21rocsparse_complex_numIfEEEvi20rocsparse_direction_NS_24const_host_device_scalarIT2_EEPKiS8_PKS5_SA_S6_PS5_21rocsparse_index_base_b
	.p2align	8
	.type	_ZN9rocsparseL19gebsrmvn_1xn_kernelILj128ELj6ELj4E21rocsparse_complex_numIfEEEvi20rocsparse_direction_NS_24const_host_device_scalarIT2_EEPKiS8_PKS5_SA_S6_PS5_21rocsparse_index_base_b,@function
_ZN9rocsparseL19gebsrmvn_1xn_kernelILj128ELj6ELj4E21rocsparse_complex_numIfEEEvi20rocsparse_direction_NS_24const_host_device_scalarIT2_EEPKiS8_PKS5_SA_S6_PS5_21rocsparse_index_base_b: ; @_ZN9rocsparseL19gebsrmvn_1xn_kernelILj128ELj6ELj4E21rocsparse_complex_numIfEEEvi20rocsparse_direction_NS_24const_host_device_scalarIT2_EEPKiS8_PKS5_SA_S6_PS5_21rocsparse_index_base_b
; %bb.0:
	s_clause 0x2
	s_load_dwordx2 s[8:9], s[4:5], 0x40
	s_load_dwordx2 s[0:1], s[4:5], 0x8
	;; [unrolled: 1-line block ×3, first 2 shown]
	s_add_u32 s7, s4, 8
	s_addc_u32 s10, s5, 0
	s_add_u32 s11, s4, 48
	s_addc_u32 s12, s5, 0
	s_waitcnt lgkmcnt(0)
	s_bitcmp1_b32 s9, 0
	s_cselect_b32 s0, s7, s0
	s_cselect_b32 s1, s10, s1
	v_mov_b32_e32 v1, s0
	v_mov_b32_e32 v2, s1
	s_cselect_b32 s0, s11, s2
	s_cselect_b32 s1, s12, s3
	flat_load_dwordx2 v[3:4], v[1:2]
	v_mov_b32_e32 v1, s0
	v_mov_b32_e32 v2, s1
	flat_load_dwordx2 v[1:2], v[1:2]
	s_waitcnt vmcnt(1) lgkmcnt(1)
	v_cmp_eq_f32_e32 vcc_lo, 0, v3
	v_cmp_eq_f32_e64 s0, 0, v4
	s_and_b32 s2, vcc_lo, s0
	s_mov_b32 s0, -1
	s_and_saveexec_b32 s1, s2
	s_cbranch_execz .LBB172_2
; %bb.1:
	s_waitcnt vmcnt(0) lgkmcnt(0)
	v_cmp_neq_f32_e32 vcc_lo, 1.0, v1
	v_cmp_neq_f32_e64 s0, 0, v2
	s_or_b32 s0, vcc_lo, s0
	s_orn2_b32 s0, s0, exec_lo
.LBB172_2:
	s_or_b32 exec_lo, exec_lo, s1
	s_and_saveexec_b32 s1, s0
	s_cbranch_execz .LBB172_13
; %bb.3:
	s_load_dword s0, s[4:5], 0x0
	v_lshrrev_b32_e32 v5, 2, v0
	v_lshl_or_b32 v5, s6, 5, v5
	s_waitcnt lgkmcnt(0)
	v_cmp_gt_i32_e32 vcc_lo, s0, v5
	s_and_b32 exec_lo, exec_lo, vcc_lo
	s_cbranch_execz .LBB172_13
; %bb.4:
	s_clause 0x1
	s_load_dwordx2 s[0:1], s[4:5], 0x10
	s_load_dwordx2 s[6:7], s[4:5], 0x38
	v_ashrrev_i32_e32 v6, 31, v5
	v_and_b32_e32 v0, 3, v0
	v_mov_b32_e32 v13, 0
	v_mov_b32_e32 v15, 0
	s_mov_b32 s9, exec_lo
	v_lshlrev_b64 v[7:8], 2, v[5:6]
	v_subrev_nc_u32_e32 v9, s8, v0
	s_waitcnt lgkmcnt(0)
	v_add_co_u32 v7, vcc_lo, s0, v7
	v_add_co_ci_u32_e64 v8, null, s1, v8, vcc_lo
	global_load_dwordx2 v[7:8], v[7:8], off
	s_waitcnt vmcnt(0)
	v_subrev_nc_u32_e32 v14, s8, v8
	v_add_nc_u32_e32 v7, v7, v9
	v_cmpx_lt_i32_e64 v7, v14
	s_cbranch_execz .LBB172_8
; %bb.5:
	s_clause 0x1
	s_load_dwordx4 s[0:3], s[4:5], 0x18
	s_load_dwordx2 s[4:5], s[4:5], 0x28
	v_mad_u64_u32 v[9:10], null, v7, 6, 5
	v_mov_b32_e32 v12, 0
	v_mov_b32_e32 v13, 0
	;; [unrolled: 1-line block ×3, first 2 shown]
	s_mov_b32 s10, 0
.LBB172_6:                              ; =>This Inner Loop Header: Depth=1
	v_ashrrev_i32_e32 v8, 31, v7
	v_mov_b32_e32 v25, v12
	v_lshlrev_b64 v[10:11], 2, v[7:8]
	v_add_nc_u32_e32 v7, 4, v7
	s_waitcnt lgkmcnt(0)
	v_add_co_u32 v10, vcc_lo, s0, v10
	v_add_co_ci_u32_e64 v11, null, s1, v11, vcc_lo
	global_load_dword v8, v[10:11], off
	v_add_nc_u32_e32 v11, -5, v9
	v_mov_b32_e32 v10, v12
	v_lshlrev_b64 v[16:17], 3, v[11:12]
	v_add_nc_u32_e32 v11, -3, v9
	v_lshlrev_b64 v[20:21], 3, v[11:12]
	v_add_co_u32 v16, vcc_lo, s2, v16
	v_add_co_ci_u32_e64 v17, null, s3, v17, vcc_lo
	v_add_co_u32 v20, vcc_lo, s2, v20
	v_add_co_ci_u32_e64 v21, null, s3, v21, vcc_lo
	s_clause 0x1
	global_load_dwordx4 v[16:19], v[16:17], off
	global_load_dwordx2 v[32:33], v[20:21], off
	s_waitcnt vmcnt(2)
	v_subrev_nc_u32_e32 v8, s8, v8
	v_mul_lo_u32 v24, v8, 6
	v_lshlrev_b64 v[22:23], 3, v[24:25]
	v_add_nc_u32_e32 v11, 2, v24
	v_lshlrev_b64 v[25:26], 3, v[11:12]
	v_add_co_u32 v20, vcc_lo, s4, v22
	v_add_co_ci_u32_e64 v21, null, s5, v23, vcc_lo
	v_add_nc_u32_e32 v11, -2, v9
	v_add_co_u32 v25, vcc_lo, s4, v25
	global_load_dwordx4 v[20:23], v[20:21], off
	v_add_co_ci_u32_e64 v26, null, s5, v26, vcc_lo
	v_lshlrev_b64 v[28:29], 3, v[11:12]
	v_add_nc_u32_e32 v11, -1, v9
	v_lshlrev_b64 v[30:31], 3, v[11:12]
	v_add_nc_u32_e32 v11, 4, v24
	global_load_dwordx4 v[24:27], v[25:26], off
	v_add_co_u32 v28, vcc_lo, s2, v28
	v_add_co_ci_u32_e64 v29, null, s3, v29, vcc_lo
	v_lshlrev_b64 v[34:35], 3, v[11:12]
	v_lshlrev_b64 v[10:11], 3, v[9:10]
	v_add_nc_u32_e32 v9, 24, v9
	global_load_dwordx2 v[36:37], v[28:29], off
	v_add_co_u32 v28, vcc_lo, s2, v30
	v_add_co_ci_u32_e64 v29, null, s3, v31, vcc_lo
	v_add_co_u32 v30, vcc_lo, s4, v34
	v_add_co_ci_u32_e64 v31, null, s5, v35, vcc_lo
	global_load_dwordx2 v[34:35], v[28:29], off
	global_load_dwordx4 v[28:31], v[30:31], off
	v_add_co_u32 v10, vcc_lo, s2, v10
	v_add_co_ci_u32_e64 v11, null, s3, v11, vcc_lo
	v_cmp_ge_i32_e32 vcc_lo, v7, v14
	global_load_dwordx2 v[10:11], v[10:11], off
	s_or_b32 s10, vcc_lo, s10
	s_waitcnt vmcnt(5)
	v_fmac_f32_e32 v15, v16, v20
	v_fmac_f32_e32 v13, v17, v20
	v_fma_f32 v8, -v17, v21, v15
	v_fmac_f32_e32 v13, v16, v21
	v_fmac_f32_e32 v8, v18, v22
	;; [unrolled: 1-line block ×3, first 2 shown]
	v_fma_f32 v8, -v19, v23, v8
	v_fmac_f32_e32 v13, v18, v23
	s_waitcnt vmcnt(4)
	v_fmac_f32_e32 v8, v32, v24
	v_fmac_f32_e32 v13, v33, v24
	v_fma_f32 v8, -v33, v25, v8
	v_fmac_f32_e32 v13, v32, v25
	s_waitcnt vmcnt(3)
	v_fmac_f32_e32 v8, v36, v26
	v_fmac_f32_e32 v13, v37, v26
	;; [unrolled: 5-line block ×4, first 2 shown]
	v_fma_f32 v15, -v11, v31, v8
	v_fmac_f32_e32 v13, v10, v31
	s_andn2_b32 exec_lo, exec_lo, s10
	s_cbranch_execnz .LBB172_6
; %bb.7:
	s_or_b32 exec_lo, exec_lo, s10
.LBB172_8:
	s_or_b32 exec_lo, exec_lo, s9
	v_mbcnt_lo_u32_b32 v7, -1, 0
	v_xor_b32_e32 v8, 2, v7
	v_xor_b32_e32 v10, 1, v7
	v_cmp_gt_i32_e32 vcc_lo, 32, v8
	v_cndmask_b32_e32 v8, v7, v8, vcc_lo
	v_cmp_gt_i32_e32 vcc_lo, 32, v10
	v_lshlrev_b32_e32 v8, 2, v8
	v_cndmask_b32_e32 v7, v7, v10, vcc_lo
	v_cmp_eq_u32_e32 vcc_lo, 3, v0
	ds_bpermute_b32 v9, v8, v15
	ds_bpermute_b32 v8, v8, v13
	v_lshlrev_b32_e32 v10, 2, v7
	s_waitcnt lgkmcnt(1)
	v_add_f32_e32 v7, v15, v9
	s_waitcnt lgkmcnt(0)
	v_add_f32_e32 v9, v13, v8
	ds_bpermute_b32 v8, v10, v7
	ds_bpermute_b32 v10, v10, v9
	s_and_b32 exec_lo, exec_lo, vcc_lo
	s_cbranch_execz .LBB172_13
; %bb.9:
	s_waitcnt lgkmcnt(0)
	v_add_f32_e32 v0, v9, v10
	v_add_f32_e32 v9, v7, v8
	v_cmp_eq_f32_e32 vcc_lo, 0, v1
	v_cmp_eq_f32_e64 s0, 0, v2
	v_lshlrev_b64 v[5:6], 3, v[5:6]
	v_mul_f32_e64 v7, v0, -v4
	v_mul_f32_e32 v8, v3, v0
	s_and_b32 s0, vcc_lo, s0
	v_fmac_f32_e32 v7, v3, v9
	v_fmac_f32_e32 v8, v4, v9
	s_and_saveexec_b32 s1, s0
	s_xor_b32 s0, exec_lo, s1
	s_cbranch_execz .LBB172_11
; %bb.10:
	v_add_co_u32 v0, vcc_lo, s6, v5
	v_add_co_ci_u32_e64 v1, null, s7, v6, vcc_lo
                                        ; implicit-def: $vgpr5_vgpr6
	global_store_dwordx2 v[0:1], v[7:8], off
                                        ; implicit-def: $vgpr1_vgpr2
                                        ; implicit-def: $vgpr7
.LBB172_11:
	s_andn2_saveexec_b32 s0, s0
	s_cbranch_execz .LBB172_13
; %bb.12:
	v_add_co_u32 v3, vcc_lo, s6, v5
	v_add_co_ci_u32_e64 v4, null, s7, v6, vcc_lo
	global_load_dwordx2 v[5:6], v[3:4], off
	s_waitcnt vmcnt(0)
	v_fmac_f32_e32 v7, v1, v5
	v_fmac_f32_e32 v8, v2, v5
	v_fma_f32 v7, -v2, v6, v7
	v_fmac_f32_e32 v8, v1, v6
	global_store_dwordx2 v[3:4], v[7:8], off
.LBB172_13:
	s_endpgm
	.section	.rodata,"a",@progbits
	.p2align	6, 0x0
	.amdhsa_kernel _ZN9rocsparseL19gebsrmvn_1xn_kernelILj128ELj6ELj4E21rocsparse_complex_numIfEEEvi20rocsparse_direction_NS_24const_host_device_scalarIT2_EEPKiS8_PKS5_SA_S6_PS5_21rocsparse_index_base_b
		.amdhsa_group_segment_fixed_size 0
		.amdhsa_private_segment_fixed_size 0
		.amdhsa_kernarg_size 72
		.amdhsa_user_sgpr_count 6
		.amdhsa_user_sgpr_private_segment_buffer 1
		.amdhsa_user_sgpr_dispatch_ptr 0
		.amdhsa_user_sgpr_queue_ptr 0
		.amdhsa_user_sgpr_kernarg_segment_ptr 1
		.amdhsa_user_sgpr_dispatch_id 0
		.amdhsa_user_sgpr_flat_scratch_init 0
		.amdhsa_user_sgpr_private_segment_size 0
		.amdhsa_wavefront_size32 1
		.amdhsa_uses_dynamic_stack 0
		.amdhsa_system_sgpr_private_segment_wavefront_offset 0
		.amdhsa_system_sgpr_workgroup_id_x 1
		.amdhsa_system_sgpr_workgroup_id_y 0
		.amdhsa_system_sgpr_workgroup_id_z 0
		.amdhsa_system_sgpr_workgroup_info 0
		.amdhsa_system_vgpr_workitem_id 0
		.amdhsa_next_free_vgpr 38
		.amdhsa_next_free_sgpr 13
		.amdhsa_reserve_vcc 1
		.amdhsa_reserve_flat_scratch 0
		.amdhsa_float_round_mode_32 0
		.amdhsa_float_round_mode_16_64 0
		.amdhsa_float_denorm_mode_32 3
		.amdhsa_float_denorm_mode_16_64 3
		.amdhsa_dx10_clamp 1
		.amdhsa_ieee_mode 1
		.amdhsa_fp16_overflow 0
		.amdhsa_workgroup_processor_mode 1
		.amdhsa_memory_ordered 1
		.amdhsa_forward_progress 1
		.amdhsa_shared_vgpr_count 0
		.amdhsa_exception_fp_ieee_invalid_op 0
		.amdhsa_exception_fp_denorm_src 0
		.amdhsa_exception_fp_ieee_div_zero 0
		.amdhsa_exception_fp_ieee_overflow 0
		.amdhsa_exception_fp_ieee_underflow 0
		.amdhsa_exception_fp_ieee_inexact 0
		.amdhsa_exception_int_div_zero 0
	.end_amdhsa_kernel
	.section	.text._ZN9rocsparseL19gebsrmvn_1xn_kernelILj128ELj6ELj4E21rocsparse_complex_numIfEEEvi20rocsparse_direction_NS_24const_host_device_scalarIT2_EEPKiS8_PKS5_SA_S6_PS5_21rocsparse_index_base_b,"axG",@progbits,_ZN9rocsparseL19gebsrmvn_1xn_kernelILj128ELj6ELj4E21rocsparse_complex_numIfEEEvi20rocsparse_direction_NS_24const_host_device_scalarIT2_EEPKiS8_PKS5_SA_S6_PS5_21rocsparse_index_base_b,comdat
.Lfunc_end172:
	.size	_ZN9rocsparseL19gebsrmvn_1xn_kernelILj128ELj6ELj4E21rocsparse_complex_numIfEEEvi20rocsparse_direction_NS_24const_host_device_scalarIT2_EEPKiS8_PKS5_SA_S6_PS5_21rocsparse_index_base_b, .Lfunc_end172-_ZN9rocsparseL19gebsrmvn_1xn_kernelILj128ELj6ELj4E21rocsparse_complex_numIfEEEvi20rocsparse_direction_NS_24const_host_device_scalarIT2_EEPKiS8_PKS5_SA_S6_PS5_21rocsparse_index_base_b
                                        ; -- End function
	.set _ZN9rocsparseL19gebsrmvn_1xn_kernelILj128ELj6ELj4E21rocsparse_complex_numIfEEEvi20rocsparse_direction_NS_24const_host_device_scalarIT2_EEPKiS8_PKS5_SA_S6_PS5_21rocsparse_index_base_b.num_vgpr, 38
	.set _ZN9rocsparseL19gebsrmvn_1xn_kernelILj128ELj6ELj4E21rocsparse_complex_numIfEEEvi20rocsparse_direction_NS_24const_host_device_scalarIT2_EEPKiS8_PKS5_SA_S6_PS5_21rocsparse_index_base_b.num_agpr, 0
	.set _ZN9rocsparseL19gebsrmvn_1xn_kernelILj128ELj6ELj4E21rocsparse_complex_numIfEEEvi20rocsparse_direction_NS_24const_host_device_scalarIT2_EEPKiS8_PKS5_SA_S6_PS5_21rocsparse_index_base_b.numbered_sgpr, 13
	.set _ZN9rocsparseL19gebsrmvn_1xn_kernelILj128ELj6ELj4E21rocsparse_complex_numIfEEEvi20rocsparse_direction_NS_24const_host_device_scalarIT2_EEPKiS8_PKS5_SA_S6_PS5_21rocsparse_index_base_b.num_named_barrier, 0
	.set _ZN9rocsparseL19gebsrmvn_1xn_kernelILj128ELj6ELj4E21rocsparse_complex_numIfEEEvi20rocsparse_direction_NS_24const_host_device_scalarIT2_EEPKiS8_PKS5_SA_S6_PS5_21rocsparse_index_base_b.private_seg_size, 0
	.set _ZN9rocsparseL19gebsrmvn_1xn_kernelILj128ELj6ELj4E21rocsparse_complex_numIfEEEvi20rocsparse_direction_NS_24const_host_device_scalarIT2_EEPKiS8_PKS5_SA_S6_PS5_21rocsparse_index_base_b.uses_vcc, 1
	.set _ZN9rocsparseL19gebsrmvn_1xn_kernelILj128ELj6ELj4E21rocsparse_complex_numIfEEEvi20rocsparse_direction_NS_24const_host_device_scalarIT2_EEPKiS8_PKS5_SA_S6_PS5_21rocsparse_index_base_b.uses_flat_scratch, 0
	.set _ZN9rocsparseL19gebsrmvn_1xn_kernelILj128ELj6ELj4E21rocsparse_complex_numIfEEEvi20rocsparse_direction_NS_24const_host_device_scalarIT2_EEPKiS8_PKS5_SA_S6_PS5_21rocsparse_index_base_b.has_dyn_sized_stack, 0
	.set _ZN9rocsparseL19gebsrmvn_1xn_kernelILj128ELj6ELj4E21rocsparse_complex_numIfEEEvi20rocsparse_direction_NS_24const_host_device_scalarIT2_EEPKiS8_PKS5_SA_S6_PS5_21rocsparse_index_base_b.has_recursion, 0
	.set _ZN9rocsparseL19gebsrmvn_1xn_kernelILj128ELj6ELj4E21rocsparse_complex_numIfEEEvi20rocsparse_direction_NS_24const_host_device_scalarIT2_EEPKiS8_PKS5_SA_S6_PS5_21rocsparse_index_base_b.has_indirect_call, 0
	.section	.AMDGPU.csdata,"",@progbits
; Kernel info:
; codeLenInByte = 1132
; TotalNumSgprs: 15
; NumVgprs: 38
; ScratchSize: 0
; MemoryBound: 0
; FloatMode: 240
; IeeeMode: 1
; LDSByteSize: 0 bytes/workgroup (compile time only)
; SGPRBlocks: 0
; VGPRBlocks: 4
; NumSGPRsForWavesPerEU: 15
; NumVGPRsForWavesPerEU: 38
; Occupancy: 16
; WaveLimiterHint : 1
; COMPUTE_PGM_RSRC2:SCRATCH_EN: 0
; COMPUTE_PGM_RSRC2:USER_SGPR: 6
; COMPUTE_PGM_RSRC2:TRAP_HANDLER: 0
; COMPUTE_PGM_RSRC2:TGID_X_EN: 1
; COMPUTE_PGM_RSRC2:TGID_Y_EN: 0
; COMPUTE_PGM_RSRC2:TGID_Z_EN: 0
; COMPUTE_PGM_RSRC2:TIDIG_COMP_CNT: 0
	.section	.text._ZN9rocsparseL19gebsrmvn_1xn_kernelILj128ELj6ELj8E21rocsparse_complex_numIfEEEvi20rocsparse_direction_NS_24const_host_device_scalarIT2_EEPKiS8_PKS5_SA_S6_PS5_21rocsparse_index_base_b,"axG",@progbits,_ZN9rocsparseL19gebsrmvn_1xn_kernelILj128ELj6ELj8E21rocsparse_complex_numIfEEEvi20rocsparse_direction_NS_24const_host_device_scalarIT2_EEPKiS8_PKS5_SA_S6_PS5_21rocsparse_index_base_b,comdat
	.globl	_ZN9rocsparseL19gebsrmvn_1xn_kernelILj128ELj6ELj8E21rocsparse_complex_numIfEEEvi20rocsparse_direction_NS_24const_host_device_scalarIT2_EEPKiS8_PKS5_SA_S6_PS5_21rocsparse_index_base_b ; -- Begin function _ZN9rocsparseL19gebsrmvn_1xn_kernelILj128ELj6ELj8E21rocsparse_complex_numIfEEEvi20rocsparse_direction_NS_24const_host_device_scalarIT2_EEPKiS8_PKS5_SA_S6_PS5_21rocsparse_index_base_b
	.p2align	8
	.type	_ZN9rocsparseL19gebsrmvn_1xn_kernelILj128ELj6ELj8E21rocsparse_complex_numIfEEEvi20rocsparse_direction_NS_24const_host_device_scalarIT2_EEPKiS8_PKS5_SA_S6_PS5_21rocsparse_index_base_b,@function
_ZN9rocsparseL19gebsrmvn_1xn_kernelILj128ELj6ELj8E21rocsparse_complex_numIfEEEvi20rocsparse_direction_NS_24const_host_device_scalarIT2_EEPKiS8_PKS5_SA_S6_PS5_21rocsparse_index_base_b: ; @_ZN9rocsparseL19gebsrmvn_1xn_kernelILj128ELj6ELj8E21rocsparse_complex_numIfEEEvi20rocsparse_direction_NS_24const_host_device_scalarIT2_EEPKiS8_PKS5_SA_S6_PS5_21rocsparse_index_base_b
; %bb.0:
	s_clause 0x2
	s_load_dwordx2 s[8:9], s[4:5], 0x40
	s_load_dwordx2 s[0:1], s[4:5], 0x8
	;; [unrolled: 1-line block ×3, first 2 shown]
	s_add_u32 s7, s4, 8
	s_addc_u32 s10, s5, 0
	s_add_u32 s11, s4, 48
	s_addc_u32 s12, s5, 0
	s_waitcnt lgkmcnt(0)
	s_bitcmp1_b32 s9, 0
	s_cselect_b32 s0, s7, s0
	s_cselect_b32 s1, s10, s1
	v_mov_b32_e32 v1, s0
	v_mov_b32_e32 v2, s1
	s_cselect_b32 s0, s11, s2
	s_cselect_b32 s1, s12, s3
	flat_load_dwordx2 v[3:4], v[1:2]
	v_mov_b32_e32 v1, s0
	v_mov_b32_e32 v2, s1
	flat_load_dwordx2 v[1:2], v[1:2]
	s_waitcnt vmcnt(1) lgkmcnt(1)
	v_cmp_eq_f32_e32 vcc_lo, 0, v3
	v_cmp_eq_f32_e64 s0, 0, v4
	s_and_b32 s2, vcc_lo, s0
	s_mov_b32 s0, -1
	s_and_saveexec_b32 s1, s2
	s_cbranch_execz .LBB173_2
; %bb.1:
	s_waitcnt vmcnt(0) lgkmcnt(0)
	v_cmp_neq_f32_e32 vcc_lo, 1.0, v1
	v_cmp_neq_f32_e64 s0, 0, v2
	s_or_b32 s0, vcc_lo, s0
	s_orn2_b32 s0, s0, exec_lo
.LBB173_2:
	s_or_b32 exec_lo, exec_lo, s1
	s_and_saveexec_b32 s1, s0
	s_cbranch_execz .LBB173_13
; %bb.3:
	s_load_dword s0, s[4:5], 0x0
	v_lshrrev_b32_e32 v5, 3, v0
	v_lshl_or_b32 v5, s6, 4, v5
	s_waitcnt lgkmcnt(0)
	v_cmp_gt_i32_e32 vcc_lo, s0, v5
	s_and_b32 exec_lo, exec_lo, vcc_lo
	s_cbranch_execz .LBB173_13
; %bb.4:
	s_clause 0x1
	s_load_dwordx2 s[0:1], s[4:5], 0x10
	s_load_dwordx2 s[6:7], s[4:5], 0x38
	v_ashrrev_i32_e32 v6, 31, v5
	v_and_b32_e32 v0, 7, v0
	v_mov_b32_e32 v13, 0
	v_mov_b32_e32 v15, 0
	s_mov_b32 s9, exec_lo
	v_lshlrev_b64 v[7:8], 2, v[5:6]
	v_subrev_nc_u32_e32 v9, s8, v0
	s_waitcnt lgkmcnt(0)
	v_add_co_u32 v7, vcc_lo, s0, v7
	v_add_co_ci_u32_e64 v8, null, s1, v8, vcc_lo
	global_load_dwordx2 v[7:8], v[7:8], off
	s_waitcnt vmcnt(0)
	v_subrev_nc_u32_e32 v14, s8, v8
	v_add_nc_u32_e32 v7, v7, v9
	v_cmpx_lt_i32_e64 v7, v14
	s_cbranch_execz .LBB173_8
; %bb.5:
	s_clause 0x1
	s_load_dwordx4 s[0:3], s[4:5], 0x18
	s_load_dwordx2 s[4:5], s[4:5], 0x28
	v_mad_u64_u32 v[9:10], null, v7, 6, 5
	v_mov_b32_e32 v12, 0
	v_mov_b32_e32 v13, 0
	;; [unrolled: 1-line block ×3, first 2 shown]
	s_mov_b32 s10, 0
.LBB173_6:                              ; =>This Inner Loop Header: Depth=1
	v_ashrrev_i32_e32 v8, 31, v7
	v_mov_b32_e32 v25, v12
	v_lshlrev_b64 v[10:11], 2, v[7:8]
	v_add_nc_u32_e32 v7, 8, v7
	s_waitcnt lgkmcnt(0)
	v_add_co_u32 v10, vcc_lo, s0, v10
	v_add_co_ci_u32_e64 v11, null, s1, v11, vcc_lo
	global_load_dword v8, v[10:11], off
	v_add_nc_u32_e32 v11, -5, v9
	v_mov_b32_e32 v10, v12
	v_lshlrev_b64 v[16:17], 3, v[11:12]
	v_add_nc_u32_e32 v11, -3, v9
	v_lshlrev_b64 v[20:21], 3, v[11:12]
	v_add_co_u32 v16, vcc_lo, s2, v16
	v_add_co_ci_u32_e64 v17, null, s3, v17, vcc_lo
	v_add_co_u32 v20, vcc_lo, s2, v20
	v_add_co_ci_u32_e64 v21, null, s3, v21, vcc_lo
	s_clause 0x1
	global_load_dwordx4 v[16:19], v[16:17], off
	global_load_dwordx2 v[32:33], v[20:21], off
	s_waitcnt vmcnt(2)
	v_subrev_nc_u32_e32 v8, s8, v8
	v_mul_lo_u32 v24, v8, 6
	v_lshlrev_b64 v[22:23], 3, v[24:25]
	v_add_nc_u32_e32 v11, 2, v24
	v_lshlrev_b64 v[25:26], 3, v[11:12]
	v_add_co_u32 v20, vcc_lo, s4, v22
	v_add_co_ci_u32_e64 v21, null, s5, v23, vcc_lo
	v_add_nc_u32_e32 v11, -2, v9
	v_add_co_u32 v25, vcc_lo, s4, v25
	global_load_dwordx4 v[20:23], v[20:21], off
	v_add_co_ci_u32_e64 v26, null, s5, v26, vcc_lo
	v_lshlrev_b64 v[28:29], 3, v[11:12]
	v_add_nc_u32_e32 v11, -1, v9
	v_lshlrev_b64 v[30:31], 3, v[11:12]
	v_add_nc_u32_e32 v11, 4, v24
	global_load_dwordx4 v[24:27], v[25:26], off
	v_add_co_u32 v28, vcc_lo, s2, v28
	v_add_co_ci_u32_e64 v29, null, s3, v29, vcc_lo
	v_lshlrev_b64 v[34:35], 3, v[11:12]
	v_lshlrev_b64 v[10:11], 3, v[9:10]
	v_add_nc_u32_e32 v9, 48, v9
	global_load_dwordx2 v[36:37], v[28:29], off
	v_add_co_u32 v28, vcc_lo, s2, v30
	v_add_co_ci_u32_e64 v29, null, s3, v31, vcc_lo
	v_add_co_u32 v30, vcc_lo, s4, v34
	v_add_co_ci_u32_e64 v31, null, s5, v35, vcc_lo
	global_load_dwordx2 v[34:35], v[28:29], off
	global_load_dwordx4 v[28:31], v[30:31], off
	v_add_co_u32 v10, vcc_lo, s2, v10
	v_add_co_ci_u32_e64 v11, null, s3, v11, vcc_lo
	v_cmp_ge_i32_e32 vcc_lo, v7, v14
	global_load_dwordx2 v[10:11], v[10:11], off
	s_or_b32 s10, vcc_lo, s10
	s_waitcnt vmcnt(5)
	v_fmac_f32_e32 v15, v16, v20
	v_fmac_f32_e32 v13, v17, v20
	v_fma_f32 v8, -v17, v21, v15
	v_fmac_f32_e32 v13, v16, v21
	v_fmac_f32_e32 v8, v18, v22
	v_fmac_f32_e32 v13, v19, v22
	v_fma_f32 v8, -v19, v23, v8
	v_fmac_f32_e32 v13, v18, v23
	s_waitcnt vmcnt(4)
	v_fmac_f32_e32 v8, v32, v24
	v_fmac_f32_e32 v13, v33, v24
	v_fma_f32 v8, -v33, v25, v8
	v_fmac_f32_e32 v13, v32, v25
	s_waitcnt vmcnt(3)
	v_fmac_f32_e32 v8, v36, v26
	v_fmac_f32_e32 v13, v37, v26
	;; [unrolled: 5-line block ×4, first 2 shown]
	v_fma_f32 v15, -v11, v31, v8
	v_fmac_f32_e32 v13, v10, v31
	s_andn2_b32 exec_lo, exec_lo, s10
	s_cbranch_execnz .LBB173_6
; %bb.7:
	s_or_b32 exec_lo, exec_lo, s10
.LBB173_8:
	s_or_b32 exec_lo, exec_lo, s9
	v_mbcnt_lo_u32_b32 v7, -1, 0
	v_xor_b32_e32 v8, 4, v7
	v_xor_b32_e32 v10, 2, v7
	;; [unrolled: 1-line block ×3, first 2 shown]
	v_cmp_gt_i32_e32 vcc_lo, 32, v8
	v_cndmask_b32_e32 v8, v7, v8, vcc_lo
	v_cmp_gt_i32_e32 vcc_lo, 32, v10
	v_lshlrev_b32_e32 v8, 2, v8
	v_cndmask_b32_e32 v10, v7, v10, vcc_lo
	v_cmp_gt_i32_e32 vcc_lo, 32, v12
	ds_bpermute_b32 v9, v8, v15
	ds_bpermute_b32 v8, v8, v13
	v_lshlrev_b32_e32 v10, 2, v10
	v_cndmask_b32_e32 v7, v7, v12, vcc_lo
	v_cmp_eq_u32_e32 vcc_lo, 7, v0
	v_lshlrev_b32_e32 v12, 2, v7
	s_waitcnt lgkmcnt(1)
	v_add_f32_e32 v9, v15, v9
	s_waitcnt lgkmcnt(0)
	v_add_f32_e32 v8, v13, v8
	ds_bpermute_b32 v11, v10, v9
	ds_bpermute_b32 v10, v10, v8
	s_waitcnt lgkmcnt(1)
	v_add_f32_e32 v7, v9, v11
	s_waitcnt lgkmcnt(0)
	v_add_f32_e32 v9, v8, v10
	ds_bpermute_b32 v8, v12, v7
	ds_bpermute_b32 v10, v12, v9
	s_and_b32 exec_lo, exec_lo, vcc_lo
	s_cbranch_execz .LBB173_13
; %bb.9:
	s_waitcnt lgkmcnt(0)
	v_add_f32_e32 v0, v9, v10
	v_add_f32_e32 v9, v7, v8
	v_cmp_eq_f32_e32 vcc_lo, 0, v1
	v_cmp_eq_f32_e64 s0, 0, v2
	v_lshlrev_b64 v[5:6], 3, v[5:6]
	v_mul_f32_e64 v7, v0, -v4
	v_mul_f32_e32 v8, v3, v0
	s_and_b32 s0, vcc_lo, s0
	v_fmac_f32_e32 v7, v3, v9
	v_fmac_f32_e32 v8, v4, v9
	s_and_saveexec_b32 s1, s0
	s_xor_b32 s0, exec_lo, s1
	s_cbranch_execz .LBB173_11
; %bb.10:
	v_add_co_u32 v0, vcc_lo, s6, v5
	v_add_co_ci_u32_e64 v1, null, s7, v6, vcc_lo
                                        ; implicit-def: $vgpr5_vgpr6
	global_store_dwordx2 v[0:1], v[7:8], off
                                        ; implicit-def: $vgpr1_vgpr2
                                        ; implicit-def: $vgpr7
.LBB173_11:
	s_andn2_saveexec_b32 s0, s0
	s_cbranch_execz .LBB173_13
; %bb.12:
	v_add_co_u32 v3, vcc_lo, s6, v5
	v_add_co_ci_u32_e64 v4, null, s7, v6, vcc_lo
	global_load_dwordx2 v[5:6], v[3:4], off
	s_waitcnt vmcnt(0)
	v_fmac_f32_e32 v7, v1, v5
	v_fmac_f32_e32 v8, v2, v5
	v_fma_f32 v7, -v2, v6, v7
	v_fmac_f32_e32 v8, v1, v6
	global_store_dwordx2 v[3:4], v[7:8], off
.LBB173_13:
	s_endpgm
	.section	.rodata,"a",@progbits
	.p2align	6, 0x0
	.amdhsa_kernel _ZN9rocsparseL19gebsrmvn_1xn_kernelILj128ELj6ELj8E21rocsparse_complex_numIfEEEvi20rocsparse_direction_NS_24const_host_device_scalarIT2_EEPKiS8_PKS5_SA_S6_PS5_21rocsparse_index_base_b
		.amdhsa_group_segment_fixed_size 0
		.amdhsa_private_segment_fixed_size 0
		.amdhsa_kernarg_size 72
		.amdhsa_user_sgpr_count 6
		.amdhsa_user_sgpr_private_segment_buffer 1
		.amdhsa_user_sgpr_dispatch_ptr 0
		.amdhsa_user_sgpr_queue_ptr 0
		.amdhsa_user_sgpr_kernarg_segment_ptr 1
		.amdhsa_user_sgpr_dispatch_id 0
		.amdhsa_user_sgpr_flat_scratch_init 0
		.amdhsa_user_sgpr_private_segment_size 0
		.amdhsa_wavefront_size32 1
		.amdhsa_uses_dynamic_stack 0
		.amdhsa_system_sgpr_private_segment_wavefront_offset 0
		.amdhsa_system_sgpr_workgroup_id_x 1
		.amdhsa_system_sgpr_workgroup_id_y 0
		.amdhsa_system_sgpr_workgroup_id_z 0
		.amdhsa_system_sgpr_workgroup_info 0
		.amdhsa_system_vgpr_workitem_id 0
		.amdhsa_next_free_vgpr 38
		.amdhsa_next_free_sgpr 13
		.amdhsa_reserve_vcc 1
		.amdhsa_reserve_flat_scratch 0
		.amdhsa_float_round_mode_32 0
		.amdhsa_float_round_mode_16_64 0
		.amdhsa_float_denorm_mode_32 3
		.amdhsa_float_denorm_mode_16_64 3
		.amdhsa_dx10_clamp 1
		.amdhsa_ieee_mode 1
		.amdhsa_fp16_overflow 0
		.amdhsa_workgroup_processor_mode 1
		.amdhsa_memory_ordered 1
		.amdhsa_forward_progress 1
		.amdhsa_shared_vgpr_count 0
		.amdhsa_exception_fp_ieee_invalid_op 0
		.amdhsa_exception_fp_denorm_src 0
		.amdhsa_exception_fp_ieee_div_zero 0
		.amdhsa_exception_fp_ieee_overflow 0
		.amdhsa_exception_fp_ieee_underflow 0
		.amdhsa_exception_fp_ieee_inexact 0
		.amdhsa_exception_int_div_zero 0
	.end_amdhsa_kernel
	.section	.text._ZN9rocsparseL19gebsrmvn_1xn_kernelILj128ELj6ELj8E21rocsparse_complex_numIfEEEvi20rocsparse_direction_NS_24const_host_device_scalarIT2_EEPKiS8_PKS5_SA_S6_PS5_21rocsparse_index_base_b,"axG",@progbits,_ZN9rocsparseL19gebsrmvn_1xn_kernelILj128ELj6ELj8E21rocsparse_complex_numIfEEEvi20rocsparse_direction_NS_24const_host_device_scalarIT2_EEPKiS8_PKS5_SA_S6_PS5_21rocsparse_index_base_b,comdat
.Lfunc_end173:
	.size	_ZN9rocsparseL19gebsrmvn_1xn_kernelILj128ELj6ELj8E21rocsparse_complex_numIfEEEvi20rocsparse_direction_NS_24const_host_device_scalarIT2_EEPKiS8_PKS5_SA_S6_PS5_21rocsparse_index_base_b, .Lfunc_end173-_ZN9rocsparseL19gebsrmvn_1xn_kernelILj128ELj6ELj8E21rocsparse_complex_numIfEEEvi20rocsparse_direction_NS_24const_host_device_scalarIT2_EEPKiS8_PKS5_SA_S6_PS5_21rocsparse_index_base_b
                                        ; -- End function
	.set _ZN9rocsparseL19gebsrmvn_1xn_kernelILj128ELj6ELj8E21rocsparse_complex_numIfEEEvi20rocsparse_direction_NS_24const_host_device_scalarIT2_EEPKiS8_PKS5_SA_S6_PS5_21rocsparse_index_base_b.num_vgpr, 38
	.set _ZN9rocsparseL19gebsrmvn_1xn_kernelILj128ELj6ELj8E21rocsparse_complex_numIfEEEvi20rocsparse_direction_NS_24const_host_device_scalarIT2_EEPKiS8_PKS5_SA_S6_PS5_21rocsparse_index_base_b.num_agpr, 0
	.set _ZN9rocsparseL19gebsrmvn_1xn_kernelILj128ELj6ELj8E21rocsparse_complex_numIfEEEvi20rocsparse_direction_NS_24const_host_device_scalarIT2_EEPKiS8_PKS5_SA_S6_PS5_21rocsparse_index_base_b.numbered_sgpr, 13
	.set _ZN9rocsparseL19gebsrmvn_1xn_kernelILj128ELj6ELj8E21rocsparse_complex_numIfEEEvi20rocsparse_direction_NS_24const_host_device_scalarIT2_EEPKiS8_PKS5_SA_S6_PS5_21rocsparse_index_base_b.num_named_barrier, 0
	.set _ZN9rocsparseL19gebsrmvn_1xn_kernelILj128ELj6ELj8E21rocsparse_complex_numIfEEEvi20rocsparse_direction_NS_24const_host_device_scalarIT2_EEPKiS8_PKS5_SA_S6_PS5_21rocsparse_index_base_b.private_seg_size, 0
	.set _ZN9rocsparseL19gebsrmvn_1xn_kernelILj128ELj6ELj8E21rocsparse_complex_numIfEEEvi20rocsparse_direction_NS_24const_host_device_scalarIT2_EEPKiS8_PKS5_SA_S6_PS5_21rocsparse_index_base_b.uses_vcc, 1
	.set _ZN9rocsparseL19gebsrmvn_1xn_kernelILj128ELj6ELj8E21rocsparse_complex_numIfEEEvi20rocsparse_direction_NS_24const_host_device_scalarIT2_EEPKiS8_PKS5_SA_S6_PS5_21rocsparse_index_base_b.uses_flat_scratch, 0
	.set _ZN9rocsparseL19gebsrmvn_1xn_kernelILj128ELj6ELj8E21rocsparse_complex_numIfEEEvi20rocsparse_direction_NS_24const_host_device_scalarIT2_EEPKiS8_PKS5_SA_S6_PS5_21rocsparse_index_base_b.has_dyn_sized_stack, 0
	.set _ZN9rocsparseL19gebsrmvn_1xn_kernelILj128ELj6ELj8E21rocsparse_complex_numIfEEEvi20rocsparse_direction_NS_24const_host_device_scalarIT2_EEPKiS8_PKS5_SA_S6_PS5_21rocsparse_index_base_b.has_recursion, 0
	.set _ZN9rocsparseL19gebsrmvn_1xn_kernelILj128ELj6ELj8E21rocsparse_complex_numIfEEEvi20rocsparse_direction_NS_24const_host_device_scalarIT2_EEPKiS8_PKS5_SA_S6_PS5_21rocsparse_index_base_b.has_indirect_call, 0
	.section	.AMDGPU.csdata,"",@progbits
; Kernel info:
; codeLenInByte = 1180
; TotalNumSgprs: 15
; NumVgprs: 38
; ScratchSize: 0
; MemoryBound: 0
; FloatMode: 240
; IeeeMode: 1
; LDSByteSize: 0 bytes/workgroup (compile time only)
; SGPRBlocks: 0
; VGPRBlocks: 4
; NumSGPRsForWavesPerEU: 15
; NumVGPRsForWavesPerEU: 38
; Occupancy: 16
; WaveLimiterHint : 1
; COMPUTE_PGM_RSRC2:SCRATCH_EN: 0
; COMPUTE_PGM_RSRC2:USER_SGPR: 6
; COMPUTE_PGM_RSRC2:TRAP_HANDLER: 0
; COMPUTE_PGM_RSRC2:TGID_X_EN: 1
; COMPUTE_PGM_RSRC2:TGID_Y_EN: 0
; COMPUTE_PGM_RSRC2:TGID_Z_EN: 0
; COMPUTE_PGM_RSRC2:TIDIG_COMP_CNT: 0
	.section	.text._ZN9rocsparseL19gebsrmvn_1xn_kernelILj128ELj6ELj16E21rocsparse_complex_numIfEEEvi20rocsparse_direction_NS_24const_host_device_scalarIT2_EEPKiS8_PKS5_SA_S6_PS5_21rocsparse_index_base_b,"axG",@progbits,_ZN9rocsparseL19gebsrmvn_1xn_kernelILj128ELj6ELj16E21rocsparse_complex_numIfEEEvi20rocsparse_direction_NS_24const_host_device_scalarIT2_EEPKiS8_PKS5_SA_S6_PS5_21rocsparse_index_base_b,comdat
	.globl	_ZN9rocsparseL19gebsrmvn_1xn_kernelILj128ELj6ELj16E21rocsparse_complex_numIfEEEvi20rocsparse_direction_NS_24const_host_device_scalarIT2_EEPKiS8_PKS5_SA_S6_PS5_21rocsparse_index_base_b ; -- Begin function _ZN9rocsparseL19gebsrmvn_1xn_kernelILj128ELj6ELj16E21rocsparse_complex_numIfEEEvi20rocsparse_direction_NS_24const_host_device_scalarIT2_EEPKiS8_PKS5_SA_S6_PS5_21rocsparse_index_base_b
	.p2align	8
	.type	_ZN9rocsparseL19gebsrmvn_1xn_kernelILj128ELj6ELj16E21rocsparse_complex_numIfEEEvi20rocsparse_direction_NS_24const_host_device_scalarIT2_EEPKiS8_PKS5_SA_S6_PS5_21rocsparse_index_base_b,@function
_ZN9rocsparseL19gebsrmvn_1xn_kernelILj128ELj6ELj16E21rocsparse_complex_numIfEEEvi20rocsparse_direction_NS_24const_host_device_scalarIT2_EEPKiS8_PKS5_SA_S6_PS5_21rocsparse_index_base_b: ; @_ZN9rocsparseL19gebsrmvn_1xn_kernelILj128ELj6ELj16E21rocsparse_complex_numIfEEEvi20rocsparse_direction_NS_24const_host_device_scalarIT2_EEPKiS8_PKS5_SA_S6_PS5_21rocsparse_index_base_b
; %bb.0:
	s_clause 0x2
	s_load_dwordx2 s[8:9], s[4:5], 0x40
	s_load_dwordx2 s[0:1], s[4:5], 0x8
	;; [unrolled: 1-line block ×3, first 2 shown]
	s_add_u32 s7, s4, 8
	s_addc_u32 s10, s5, 0
	s_add_u32 s11, s4, 48
	s_addc_u32 s12, s5, 0
	s_waitcnt lgkmcnt(0)
	s_bitcmp1_b32 s9, 0
	s_cselect_b32 s0, s7, s0
	s_cselect_b32 s1, s10, s1
	v_mov_b32_e32 v1, s0
	v_mov_b32_e32 v2, s1
	s_cselect_b32 s0, s11, s2
	s_cselect_b32 s1, s12, s3
	flat_load_dwordx2 v[3:4], v[1:2]
	v_mov_b32_e32 v1, s0
	v_mov_b32_e32 v2, s1
	flat_load_dwordx2 v[1:2], v[1:2]
	s_waitcnt vmcnt(1) lgkmcnt(1)
	v_cmp_eq_f32_e32 vcc_lo, 0, v3
	v_cmp_eq_f32_e64 s0, 0, v4
	s_and_b32 s2, vcc_lo, s0
	s_mov_b32 s0, -1
	s_and_saveexec_b32 s1, s2
	s_cbranch_execz .LBB174_2
; %bb.1:
	s_waitcnt vmcnt(0) lgkmcnt(0)
	v_cmp_neq_f32_e32 vcc_lo, 1.0, v1
	v_cmp_neq_f32_e64 s0, 0, v2
	s_or_b32 s0, vcc_lo, s0
	s_orn2_b32 s0, s0, exec_lo
.LBB174_2:
	s_or_b32 exec_lo, exec_lo, s1
	s_and_saveexec_b32 s1, s0
	s_cbranch_execz .LBB174_13
; %bb.3:
	s_load_dword s0, s[4:5], 0x0
	v_lshrrev_b32_e32 v5, 4, v0
	v_lshl_or_b32 v5, s6, 3, v5
	s_waitcnt lgkmcnt(0)
	v_cmp_gt_i32_e32 vcc_lo, s0, v5
	s_and_b32 exec_lo, exec_lo, vcc_lo
	s_cbranch_execz .LBB174_13
; %bb.4:
	s_clause 0x1
	s_load_dwordx2 s[0:1], s[4:5], 0x10
	s_load_dwordx2 s[6:7], s[4:5], 0x38
	v_ashrrev_i32_e32 v6, 31, v5
	v_and_b32_e32 v0, 15, v0
	v_mov_b32_e32 v13, 0
	v_mov_b32_e32 v15, 0
	s_mov_b32 s9, exec_lo
	v_lshlrev_b64 v[7:8], 2, v[5:6]
	v_subrev_nc_u32_e32 v9, s8, v0
	s_waitcnt lgkmcnt(0)
	v_add_co_u32 v7, vcc_lo, s0, v7
	v_add_co_ci_u32_e64 v8, null, s1, v8, vcc_lo
	global_load_dwordx2 v[7:8], v[7:8], off
	s_waitcnt vmcnt(0)
	v_subrev_nc_u32_e32 v14, s8, v8
	v_add_nc_u32_e32 v7, v7, v9
	v_cmpx_lt_i32_e64 v7, v14
	s_cbranch_execz .LBB174_8
; %bb.5:
	s_clause 0x1
	s_load_dwordx4 s[0:3], s[4:5], 0x18
	s_load_dwordx2 s[4:5], s[4:5], 0x28
	v_mad_u64_u32 v[9:10], null, v7, 6, 5
	v_mov_b32_e32 v12, 0
	v_mov_b32_e32 v13, 0
	;; [unrolled: 1-line block ×3, first 2 shown]
	s_mov_b32 s10, 0
.LBB174_6:                              ; =>This Inner Loop Header: Depth=1
	v_ashrrev_i32_e32 v8, 31, v7
	v_mov_b32_e32 v25, v12
	v_lshlrev_b64 v[10:11], 2, v[7:8]
	v_add_nc_u32_e32 v7, 16, v7
	s_waitcnt lgkmcnt(0)
	v_add_co_u32 v10, vcc_lo, s0, v10
	v_add_co_ci_u32_e64 v11, null, s1, v11, vcc_lo
	global_load_dword v8, v[10:11], off
	v_add_nc_u32_e32 v11, -5, v9
	v_mov_b32_e32 v10, v12
	v_lshlrev_b64 v[16:17], 3, v[11:12]
	v_add_nc_u32_e32 v11, -3, v9
	v_lshlrev_b64 v[20:21], 3, v[11:12]
	v_add_co_u32 v16, vcc_lo, s2, v16
	v_add_co_ci_u32_e64 v17, null, s3, v17, vcc_lo
	v_add_co_u32 v20, vcc_lo, s2, v20
	v_add_co_ci_u32_e64 v21, null, s3, v21, vcc_lo
	s_clause 0x1
	global_load_dwordx4 v[16:19], v[16:17], off
	global_load_dwordx2 v[32:33], v[20:21], off
	s_waitcnt vmcnt(2)
	v_subrev_nc_u32_e32 v8, s8, v8
	v_mul_lo_u32 v24, v8, 6
	v_lshlrev_b64 v[22:23], 3, v[24:25]
	v_add_nc_u32_e32 v11, 2, v24
	v_lshlrev_b64 v[25:26], 3, v[11:12]
	v_add_co_u32 v20, vcc_lo, s4, v22
	v_add_co_ci_u32_e64 v21, null, s5, v23, vcc_lo
	v_add_nc_u32_e32 v11, -2, v9
	v_add_co_u32 v25, vcc_lo, s4, v25
	global_load_dwordx4 v[20:23], v[20:21], off
	v_add_co_ci_u32_e64 v26, null, s5, v26, vcc_lo
	v_lshlrev_b64 v[28:29], 3, v[11:12]
	v_add_nc_u32_e32 v11, -1, v9
	v_lshlrev_b64 v[30:31], 3, v[11:12]
	v_add_nc_u32_e32 v11, 4, v24
	global_load_dwordx4 v[24:27], v[25:26], off
	v_add_co_u32 v28, vcc_lo, s2, v28
	v_add_co_ci_u32_e64 v29, null, s3, v29, vcc_lo
	v_lshlrev_b64 v[34:35], 3, v[11:12]
	v_lshlrev_b64 v[10:11], 3, v[9:10]
	v_add_nc_u32_e32 v9, 0x60, v9
	global_load_dwordx2 v[36:37], v[28:29], off
	v_add_co_u32 v28, vcc_lo, s2, v30
	v_add_co_ci_u32_e64 v29, null, s3, v31, vcc_lo
	v_add_co_u32 v30, vcc_lo, s4, v34
	v_add_co_ci_u32_e64 v31, null, s5, v35, vcc_lo
	global_load_dwordx2 v[34:35], v[28:29], off
	global_load_dwordx4 v[28:31], v[30:31], off
	v_add_co_u32 v10, vcc_lo, s2, v10
	v_add_co_ci_u32_e64 v11, null, s3, v11, vcc_lo
	v_cmp_ge_i32_e32 vcc_lo, v7, v14
	global_load_dwordx2 v[10:11], v[10:11], off
	s_or_b32 s10, vcc_lo, s10
	s_waitcnt vmcnt(5)
	v_fmac_f32_e32 v15, v16, v20
	v_fmac_f32_e32 v13, v17, v20
	v_fma_f32 v8, -v17, v21, v15
	v_fmac_f32_e32 v13, v16, v21
	v_fmac_f32_e32 v8, v18, v22
	;; [unrolled: 1-line block ×3, first 2 shown]
	v_fma_f32 v8, -v19, v23, v8
	v_fmac_f32_e32 v13, v18, v23
	s_waitcnt vmcnt(4)
	v_fmac_f32_e32 v8, v32, v24
	v_fmac_f32_e32 v13, v33, v24
	v_fma_f32 v8, -v33, v25, v8
	v_fmac_f32_e32 v13, v32, v25
	s_waitcnt vmcnt(3)
	v_fmac_f32_e32 v8, v36, v26
	v_fmac_f32_e32 v13, v37, v26
	;; [unrolled: 5-line block ×4, first 2 shown]
	v_fma_f32 v15, -v11, v31, v8
	v_fmac_f32_e32 v13, v10, v31
	s_andn2_b32 exec_lo, exec_lo, s10
	s_cbranch_execnz .LBB174_6
; %bb.7:
	s_or_b32 exec_lo, exec_lo, s10
.LBB174_8:
	s_or_b32 exec_lo, exec_lo, s9
	v_mbcnt_lo_u32_b32 v7, -1, 0
	v_xor_b32_e32 v8, 8, v7
	v_xor_b32_e32 v10, 4, v7
	;; [unrolled: 1-line block ×3, first 2 shown]
	v_cmp_gt_i32_e32 vcc_lo, 32, v8
	v_cndmask_b32_e32 v8, v7, v8, vcc_lo
	v_cmp_gt_i32_e32 vcc_lo, 32, v10
	v_lshlrev_b32_e32 v8, 2, v8
	v_cndmask_b32_e32 v10, v7, v10, vcc_lo
	v_cmp_gt_i32_e32 vcc_lo, 32, v12
	ds_bpermute_b32 v9, v8, v15
	ds_bpermute_b32 v8, v8, v13
	v_lshlrev_b32_e32 v10, 2, v10
	v_cndmask_b32_e32 v12, v7, v12, vcc_lo
	v_lshlrev_b32_e32 v12, 2, v12
	s_waitcnt lgkmcnt(1)
	v_add_f32_e32 v9, v15, v9
	s_waitcnt lgkmcnt(0)
	v_add_f32_e32 v8, v13, v8
	ds_bpermute_b32 v11, v10, v9
	ds_bpermute_b32 v10, v10, v8
	s_waitcnt lgkmcnt(1)
	v_add_f32_e32 v9, v9, v11
	s_waitcnt lgkmcnt(0)
	v_add_f32_e32 v8, v8, v10
	ds_bpermute_b32 v10, v12, v9
	ds_bpermute_b32 v11, v12, v8
	v_xor_b32_e32 v12, 1, v7
	v_cmp_gt_i32_e32 vcc_lo, 32, v12
	v_cndmask_b32_e32 v7, v7, v12, vcc_lo
	v_cmp_eq_u32_e32 vcc_lo, 15, v0
	v_lshlrev_b32_e32 v12, 2, v7
	s_waitcnt lgkmcnt(1)
	v_add_f32_e32 v7, v9, v10
	s_waitcnt lgkmcnt(0)
	v_add_f32_e32 v9, v8, v11
	ds_bpermute_b32 v8, v12, v7
	ds_bpermute_b32 v10, v12, v9
	s_and_b32 exec_lo, exec_lo, vcc_lo
	s_cbranch_execz .LBB174_13
; %bb.9:
	s_waitcnt lgkmcnt(0)
	v_add_f32_e32 v0, v9, v10
	v_add_f32_e32 v9, v7, v8
	v_cmp_eq_f32_e32 vcc_lo, 0, v1
	v_cmp_eq_f32_e64 s0, 0, v2
	v_lshlrev_b64 v[5:6], 3, v[5:6]
	v_mul_f32_e64 v7, v0, -v4
	v_mul_f32_e32 v8, v3, v0
	s_and_b32 s0, vcc_lo, s0
	v_fmac_f32_e32 v7, v3, v9
	v_fmac_f32_e32 v8, v4, v9
	s_and_saveexec_b32 s1, s0
	s_xor_b32 s0, exec_lo, s1
	s_cbranch_execz .LBB174_11
; %bb.10:
	v_add_co_u32 v0, vcc_lo, s6, v5
	v_add_co_ci_u32_e64 v1, null, s7, v6, vcc_lo
                                        ; implicit-def: $vgpr5_vgpr6
	global_store_dwordx2 v[0:1], v[7:8], off
                                        ; implicit-def: $vgpr1_vgpr2
                                        ; implicit-def: $vgpr7
.LBB174_11:
	s_andn2_saveexec_b32 s0, s0
	s_cbranch_execz .LBB174_13
; %bb.12:
	v_add_co_u32 v3, vcc_lo, s6, v5
	v_add_co_ci_u32_e64 v4, null, s7, v6, vcc_lo
	global_load_dwordx2 v[5:6], v[3:4], off
	s_waitcnt vmcnt(0)
	v_fmac_f32_e32 v7, v1, v5
	v_fmac_f32_e32 v8, v2, v5
	v_fma_f32 v7, -v2, v6, v7
	v_fmac_f32_e32 v8, v1, v6
	global_store_dwordx2 v[3:4], v[7:8], off
.LBB174_13:
	s_endpgm
	.section	.rodata,"a",@progbits
	.p2align	6, 0x0
	.amdhsa_kernel _ZN9rocsparseL19gebsrmvn_1xn_kernelILj128ELj6ELj16E21rocsparse_complex_numIfEEEvi20rocsparse_direction_NS_24const_host_device_scalarIT2_EEPKiS8_PKS5_SA_S6_PS5_21rocsparse_index_base_b
		.amdhsa_group_segment_fixed_size 0
		.amdhsa_private_segment_fixed_size 0
		.amdhsa_kernarg_size 72
		.amdhsa_user_sgpr_count 6
		.amdhsa_user_sgpr_private_segment_buffer 1
		.amdhsa_user_sgpr_dispatch_ptr 0
		.amdhsa_user_sgpr_queue_ptr 0
		.amdhsa_user_sgpr_kernarg_segment_ptr 1
		.amdhsa_user_sgpr_dispatch_id 0
		.amdhsa_user_sgpr_flat_scratch_init 0
		.amdhsa_user_sgpr_private_segment_size 0
		.amdhsa_wavefront_size32 1
		.amdhsa_uses_dynamic_stack 0
		.amdhsa_system_sgpr_private_segment_wavefront_offset 0
		.amdhsa_system_sgpr_workgroup_id_x 1
		.amdhsa_system_sgpr_workgroup_id_y 0
		.amdhsa_system_sgpr_workgroup_id_z 0
		.amdhsa_system_sgpr_workgroup_info 0
		.amdhsa_system_vgpr_workitem_id 0
		.amdhsa_next_free_vgpr 38
		.amdhsa_next_free_sgpr 13
		.amdhsa_reserve_vcc 1
		.amdhsa_reserve_flat_scratch 0
		.amdhsa_float_round_mode_32 0
		.amdhsa_float_round_mode_16_64 0
		.amdhsa_float_denorm_mode_32 3
		.amdhsa_float_denorm_mode_16_64 3
		.amdhsa_dx10_clamp 1
		.amdhsa_ieee_mode 1
		.amdhsa_fp16_overflow 0
		.amdhsa_workgroup_processor_mode 1
		.amdhsa_memory_ordered 1
		.amdhsa_forward_progress 1
		.amdhsa_shared_vgpr_count 0
		.amdhsa_exception_fp_ieee_invalid_op 0
		.amdhsa_exception_fp_denorm_src 0
		.amdhsa_exception_fp_ieee_div_zero 0
		.amdhsa_exception_fp_ieee_overflow 0
		.amdhsa_exception_fp_ieee_underflow 0
		.amdhsa_exception_fp_ieee_inexact 0
		.amdhsa_exception_int_div_zero 0
	.end_amdhsa_kernel
	.section	.text._ZN9rocsparseL19gebsrmvn_1xn_kernelILj128ELj6ELj16E21rocsparse_complex_numIfEEEvi20rocsparse_direction_NS_24const_host_device_scalarIT2_EEPKiS8_PKS5_SA_S6_PS5_21rocsparse_index_base_b,"axG",@progbits,_ZN9rocsparseL19gebsrmvn_1xn_kernelILj128ELj6ELj16E21rocsparse_complex_numIfEEEvi20rocsparse_direction_NS_24const_host_device_scalarIT2_EEPKiS8_PKS5_SA_S6_PS5_21rocsparse_index_base_b,comdat
.Lfunc_end174:
	.size	_ZN9rocsparseL19gebsrmvn_1xn_kernelILj128ELj6ELj16E21rocsparse_complex_numIfEEEvi20rocsparse_direction_NS_24const_host_device_scalarIT2_EEPKiS8_PKS5_SA_S6_PS5_21rocsparse_index_base_b, .Lfunc_end174-_ZN9rocsparseL19gebsrmvn_1xn_kernelILj128ELj6ELj16E21rocsparse_complex_numIfEEEvi20rocsparse_direction_NS_24const_host_device_scalarIT2_EEPKiS8_PKS5_SA_S6_PS5_21rocsparse_index_base_b
                                        ; -- End function
	.set _ZN9rocsparseL19gebsrmvn_1xn_kernelILj128ELj6ELj16E21rocsparse_complex_numIfEEEvi20rocsparse_direction_NS_24const_host_device_scalarIT2_EEPKiS8_PKS5_SA_S6_PS5_21rocsparse_index_base_b.num_vgpr, 38
	.set _ZN9rocsparseL19gebsrmvn_1xn_kernelILj128ELj6ELj16E21rocsparse_complex_numIfEEEvi20rocsparse_direction_NS_24const_host_device_scalarIT2_EEPKiS8_PKS5_SA_S6_PS5_21rocsparse_index_base_b.num_agpr, 0
	.set _ZN9rocsparseL19gebsrmvn_1xn_kernelILj128ELj6ELj16E21rocsparse_complex_numIfEEEvi20rocsparse_direction_NS_24const_host_device_scalarIT2_EEPKiS8_PKS5_SA_S6_PS5_21rocsparse_index_base_b.numbered_sgpr, 13
	.set _ZN9rocsparseL19gebsrmvn_1xn_kernelILj128ELj6ELj16E21rocsparse_complex_numIfEEEvi20rocsparse_direction_NS_24const_host_device_scalarIT2_EEPKiS8_PKS5_SA_S6_PS5_21rocsparse_index_base_b.num_named_barrier, 0
	.set _ZN9rocsparseL19gebsrmvn_1xn_kernelILj128ELj6ELj16E21rocsparse_complex_numIfEEEvi20rocsparse_direction_NS_24const_host_device_scalarIT2_EEPKiS8_PKS5_SA_S6_PS5_21rocsparse_index_base_b.private_seg_size, 0
	.set _ZN9rocsparseL19gebsrmvn_1xn_kernelILj128ELj6ELj16E21rocsparse_complex_numIfEEEvi20rocsparse_direction_NS_24const_host_device_scalarIT2_EEPKiS8_PKS5_SA_S6_PS5_21rocsparse_index_base_b.uses_vcc, 1
	.set _ZN9rocsparseL19gebsrmvn_1xn_kernelILj128ELj6ELj16E21rocsparse_complex_numIfEEEvi20rocsparse_direction_NS_24const_host_device_scalarIT2_EEPKiS8_PKS5_SA_S6_PS5_21rocsparse_index_base_b.uses_flat_scratch, 0
	.set _ZN9rocsparseL19gebsrmvn_1xn_kernelILj128ELj6ELj16E21rocsparse_complex_numIfEEEvi20rocsparse_direction_NS_24const_host_device_scalarIT2_EEPKiS8_PKS5_SA_S6_PS5_21rocsparse_index_base_b.has_dyn_sized_stack, 0
	.set _ZN9rocsparseL19gebsrmvn_1xn_kernelILj128ELj6ELj16E21rocsparse_complex_numIfEEEvi20rocsparse_direction_NS_24const_host_device_scalarIT2_EEPKiS8_PKS5_SA_S6_PS5_21rocsparse_index_base_b.has_recursion, 0
	.set _ZN9rocsparseL19gebsrmvn_1xn_kernelILj128ELj6ELj16E21rocsparse_complex_numIfEEEvi20rocsparse_direction_NS_24const_host_device_scalarIT2_EEPKiS8_PKS5_SA_S6_PS5_21rocsparse_index_base_b.has_indirect_call, 0
	.section	.AMDGPU.csdata,"",@progbits
; Kernel info:
; codeLenInByte = 1232
; TotalNumSgprs: 15
; NumVgprs: 38
; ScratchSize: 0
; MemoryBound: 0
; FloatMode: 240
; IeeeMode: 1
; LDSByteSize: 0 bytes/workgroup (compile time only)
; SGPRBlocks: 0
; VGPRBlocks: 4
; NumSGPRsForWavesPerEU: 15
; NumVGPRsForWavesPerEU: 38
; Occupancy: 16
; WaveLimiterHint : 1
; COMPUTE_PGM_RSRC2:SCRATCH_EN: 0
; COMPUTE_PGM_RSRC2:USER_SGPR: 6
; COMPUTE_PGM_RSRC2:TRAP_HANDLER: 0
; COMPUTE_PGM_RSRC2:TGID_X_EN: 1
; COMPUTE_PGM_RSRC2:TGID_Y_EN: 0
; COMPUTE_PGM_RSRC2:TGID_Z_EN: 0
; COMPUTE_PGM_RSRC2:TIDIG_COMP_CNT: 0
	.section	.text._ZN9rocsparseL19gebsrmvn_1xn_kernelILj128ELj6ELj32E21rocsparse_complex_numIfEEEvi20rocsparse_direction_NS_24const_host_device_scalarIT2_EEPKiS8_PKS5_SA_S6_PS5_21rocsparse_index_base_b,"axG",@progbits,_ZN9rocsparseL19gebsrmvn_1xn_kernelILj128ELj6ELj32E21rocsparse_complex_numIfEEEvi20rocsparse_direction_NS_24const_host_device_scalarIT2_EEPKiS8_PKS5_SA_S6_PS5_21rocsparse_index_base_b,comdat
	.globl	_ZN9rocsparseL19gebsrmvn_1xn_kernelILj128ELj6ELj32E21rocsparse_complex_numIfEEEvi20rocsparse_direction_NS_24const_host_device_scalarIT2_EEPKiS8_PKS5_SA_S6_PS5_21rocsparse_index_base_b ; -- Begin function _ZN9rocsparseL19gebsrmvn_1xn_kernelILj128ELj6ELj32E21rocsparse_complex_numIfEEEvi20rocsparse_direction_NS_24const_host_device_scalarIT2_EEPKiS8_PKS5_SA_S6_PS5_21rocsparse_index_base_b
	.p2align	8
	.type	_ZN9rocsparseL19gebsrmvn_1xn_kernelILj128ELj6ELj32E21rocsparse_complex_numIfEEEvi20rocsparse_direction_NS_24const_host_device_scalarIT2_EEPKiS8_PKS5_SA_S6_PS5_21rocsparse_index_base_b,@function
_ZN9rocsparseL19gebsrmvn_1xn_kernelILj128ELj6ELj32E21rocsparse_complex_numIfEEEvi20rocsparse_direction_NS_24const_host_device_scalarIT2_EEPKiS8_PKS5_SA_S6_PS5_21rocsparse_index_base_b: ; @_ZN9rocsparseL19gebsrmvn_1xn_kernelILj128ELj6ELj32E21rocsparse_complex_numIfEEEvi20rocsparse_direction_NS_24const_host_device_scalarIT2_EEPKiS8_PKS5_SA_S6_PS5_21rocsparse_index_base_b
; %bb.0:
	s_clause 0x2
	s_load_dwordx2 s[8:9], s[4:5], 0x40
	s_load_dwordx2 s[0:1], s[4:5], 0x8
	s_load_dwordx2 s[2:3], s[4:5], 0x30
	s_add_u32 s7, s4, 8
	s_addc_u32 s10, s5, 0
	s_add_u32 s11, s4, 48
	s_addc_u32 s12, s5, 0
	s_waitcnt lgkmcnt(0)
	s_bitcmp1_b32 s9, 0
	s_cselect_b32 s0, s7, s0
	s_cselect_b32 s1, s10, s1
	v_mov_b32_e32 v1, s0
	v_mov_b32_e32 v2, s1
	s_cselect_b32 s0, s11, s2
	s_cselect_b32 s1, s12, s3
	flat_load_dwordx2 v[3:4], v[1:2]
	v_mov_b32_e32 v1, s0
	v_mov_b32_e32 v2, s1
	flat_load_dwordx2 v[1:2], v[1:2]
	s_waitcnt vmcnt(1) lgkmcnt(1)
	v_cmp_eq_f32_e32 vcc_lo, 0, v3
	v_cmp_eq_f32_e64 s0, 0, v4
	s_and_b32 s2, vcc_lo, s0
	s_mov_b32 s0, -1
	s_and_saveexec_b32 s1, s2
	s_cbranch_execz .LBB175_2
; %bb.1:
	s_waitcnt vmcnt(0) lgkmcnt(0)
	v_cmp_neq_f32_e32 vcc_lo, 1.0, v1
	v_cmp_neq_f32_e64 s0, 0, v2
	s_or_b32 s0, vcc_lo, s0
	s_orn2_b32 s0, s0, exec_lo
.LBB175_2:
	s_or_b32 exec_lo, exec_lo, s1
	s_and_saveexec_b32 s1, s0
	s_cbranch_execz .LBB175_13
; %bb.3:
	s_load_dword s0, s[4:5], 0x0
	v_lshrrev_b32_e32 v5, 5, v0
	v_lshl_or_b32 v5, s6, 2, v5
	s_waitcnt lgkmcnt(0)
	v_cmp_gt_i32_e32 vcc_lo, s0, v5
	s_and_b32 exec_lo, exec_lo, vcc_lo
	s_cbranch_execz .LBB175_13
; %bb.4:
	s_clause 0x1
	s_load_dwordx2 s[0:1], s[4:5], 0x10
	s_load_dwordx2 s[6:7], s[4:5], 0x38
	v_ashrrev_i32_e32 v6, 31, v5
	v_and_b32_e32 v0, 31, v0
	v_mov_b32_e32 v13, 0
	v_mov_b32_e32 v15, 0
	s_mov_b32 s9, exec_lo
	v_lshlrev_b64 v[7:8], 2, v[5:6]
	v_subrev_nc_u32_e32 v9, s8, v0
	s_waitcnt lgkmcnt(0)
	v_add_co_u32 v7, vcc_lo, s0, v7
	v_add_co_ci_u32_e64 v8, null, s1, v8, vcc_lo
	global_load_dwordx2 v[7:8], v[7:8], off
	s_waitcnt vmcnt(0)
	v_subrev_nc_u32_e32 v14, s8, v8
	v_add_nc_u32_e32 v7, v7, v9
	v_cmpx_lt_i32_e64 v7, v14
	s_cbranch_execz .LBB175_8
; %bb.5:
	s_clause 0x1
	s_load_dwordx4 s[0:3], s[4:5], 0x18
	s_load_dwordx2 s[4:5], s[4:5], 0x28
	v_mad_u64_u32 v[9:10], null, v7, 6, 5
	v_mov_b32_e32 v12, 0
	v_mov_b32_e32 v13, 0
	;; [unrolled: 1-line block ×3, first 2 shown]
	s_mov_b32 s10, 0
.LBB175_6:                              ; =>This Inner Loop Header: Depth=1
	v_ashrrev_i32_e32 v8, 31, v7
	v_mov_b32_e32 v25, v12
	v_lshlrev_b64 v[10:11], 2, v[7:8]
	v_add_nc_u32_e32 v7, 32, v7
	s_waitcnt lgkmcnt(0)
	v_add_co_u32 v10, vcc_lo, s0, v10
	v_add_co_ci_u32_e64 v11, null, s1, v11, vcc_lo
	global_load_dword v8, v[10:11], off
	v_add_nc_u32_e32 v11, -5, v9
	v_mov_b32_e32 v10, v12
	v_lshlrev_b64 v[16:17], 3, v[11:12]
	v_add_nc_u32_e32 v11, -3, v9
	v_lshlrev_b64 v[20:21], 3, v[11:12]
	v_add_co_u32 v16, vcc_lo, s2, v16
	v_add_co_ci_u32_e64 v17, null, s3, v17, vcc_lo
	v_add_co_u32 v20, vcc_lo, s2, v20
	v_add_co_ci_u32_e64 v21, null, s3, v21, vcc_lo
	s_clause 0x1
	global_load_dwordx4 v[16:19], v[16:17], off
	global_load_dwordx2 v[32:33], v[20:21], off
	s_waitcnt vmcnt(2)
	v_subrev_nc_u32_e32 v8, s8, v8
	v_mul_lo_u32 v24, v8, 6
	v_lshlrev_b64 v[22:23], 3, v[24:25]
	v_add_nc_u32_e32 v11, 2, v24
	v_lshlrev_b64 v[25:26], 3, v[11:12]
	v_add_co_u32 v20, vcc_lo, s4, v22
	v_add_co_ci_u32_e64 v21, null, s5, v23, vcc_lo
	v_add_nc_u32_e32 v11, -2, v9
	v_add_co_u32 v25, vcc_lo, s4, v25
	global_load_dwordx4 v[20:23], v[20:21], off
	v_add_co_ci_u32_e64 v26, null, s5, v26, vcc_lo
	v_lshlrev_b64 v[28:29], 3, v[11:12]
	v_add_nc_u32_e32 v11, -1, v9
	v_lshlrev_b64 v[30:31], 3, v[11:12]
	v_add_nc_u32_e32 v11, 4, v24
	global_load_dwordx4 v[24:27], v[25:26], off
	v_add_co_u32 v28, vcc_lo, s2, v28
	v_add_co_ci_u32_e64 v29, null, s3, v29, vcc_lo
	v_lshlrev_b64 v[34:35], 3, v[11:12]
	v_lshlrev_b64 v[10:11], 3, v[9:10]
	v_add_nc_u32_e32 v9, 0xc0, v9
	global_load_dwordx2 v[36:37], v[28:29], off
	v_add_co_u32 v28, vcc_lo, s2, v30
	v_add_co_ci_u32_e64 v29, null, s3, v31, vcc_lo
	v_add_co_u32 v30, vcc_lo, s4, v34
	v_add_co_ci_u32_e64 v31, null, s5, v35, vcc_lo
	global_load_dwordx2 v[34:35], v[28:29], off
	global_load_dwordx4 v[28:31], v[30:31], off
	v_add_co_u32 v10, vcc_lo, s2, v10
	v_add_co_ci_u32_e64 v11, null, s3, v11, vcc_lo
	v_cmp_ge_i32_e32 vcc_lo, v7, v14
	global_load_dwordx2 v[10:11], v[10:11], off
	s_or_b32 s10, vcc_lo, s10
	s_waitcnt vmcnt(5)
	v_fmac_f32_e32 v15, v16, v20
	v_fmac_f32_e32 v13, v17, v20
	v_fma_f32 v8, -v17, v21, v15
	v_fmac_f32_e32 v13, v16, v21
	v_fmac_f32_e32 v8, v18, v22
	v_fmac_f32_e32 v13, v19, v22
	v_fma_f32 v8, -v19, v23, v8
	v_fmac_f32_e32 v13, v18, v23
	s_waitcnt vmcnt(4)
	v_fmac_f32_e32 v8, v32, v24
	v_fmac_f32_e32 v13, v33, v24
	v_fma_f32 v8, -v33, v25, v8
	v_fmac_f32_e32 v13, v32, v25
	s_waitcnt vmcnt(3)
	v_fmac_f32_e32 v8, v36, v26
	v_fmac_f32_e32 v13, v37, v26
	;; [unrolled: 5-line block ×4, first 2 shown]
	v_fma_f32 v15, -v11, v31, v8
	v_fmac_f32_e32 v13, v10, v31
	s_andn2_b32 exec_lo, exec_lo, s10
	s_cbranch_execnz .LBB175_6
; %bb.7:
	s_or_b32 exec_lo, exec_lo, s10
.LBB175_8:
	s_or_b32 exec_lo, exec_lo, s9
	v_mbcnt_lo_u32_b32 v7, -1, 0
	v_xor_b32_e32 v8, 16, v7
	v_xor_b32_e32 v10, 8, v7
	;; [unrolled: 1-line block ×3, first 2 shown]
	v_cmp_gt_i32_e32 vcc_lo, 32, v8
	v_cndmask_b32_e32 v8, v7, v8, vcc_lo
	v_cmp_gt_i32_e32 vcc_lo, 32, v10
	v_lshlrev_b32_e32 v8, 2, v8
	v_cndmask_b32_e32 v10, v7, v10, vcc_lo
	v_cmp_gt_i32_e32 vcc_lo, 32, v12
	ds_bpermute_b32 v9, v8, v15
	ds_bpermute_b32 v8, v8, v13
	v_lshlrev_b32_e32 v10, 2, v10
	v_cndmask_b32_e32 v12, v7, v12, vcc_lo
	v_lshlrev_b32_e32 v12, 2, v12
	s_waitcnt lgkmcnt(1)
	v_add_f32_e32 v9, v15, v9
	s_waitcnt lgkmcnt(0)
	v_add_f32_e32 v8, v13, v8
	ds_bpermute_b32 v11, v10, v9
	ds_bpermute_b32 v10, v10, v8
	s_waitcnt lgkmcnt(1)
	v_add_f32_e32 v9, v9, v11
	s_waitcnt lgkmcnt(0)
	v_add_f32_e32 v8, v8, v10
	ds_bpermute_b32 v10, v12, v9
	ds_bpermute_b32 v11, v12, v8
	v_xor_b32_e32 v12, 2, v7
	v_cmp_gt_i32_e32 vcc_lo, 32, v12
	v_cndmask_b32_e32 v12, v7, v12, vcc_lo
	v_lshlrev_b32_e32 v12, 2, v12
	s_waitcnt lgkmcnt(1)
	v_add_f32_e32 v9, v9, v10
	s_waitcnt lgkmcnt(0)
	v_add_f32_e32 v8, v8, v11
	ds_bpermute_b32 v10, v12, v9
	ds_bpermute_b32 v11, v12, v8
	v_xor_b32_e32 v12, 1, v7
	v_cmp_gt_i32_e32 vcc_lo, 32, v12
	v_cndmask_b32_e32 v7, v7, v12, vcc_lo
	v_cmp_eq_u32_e32 vcc_lo, 31, v0
	v_lshlrev_b32_e32 v12, 2, v7
	s_waitcnt lgkmcnt(1)
	v_add_f32_e32 v7, v9, v10
	s_waitcnt lgkmcnt(0)
	v_add_f32_e32 v9, v8, v11
	ds_bpermute_b32 v8, v12, v7
	ds_bpermute_b32 v10, v12, v9
	s_and_b32 exec_lo, exec_lo, vcc_lo
	s_cbranch_execz .LBB175_13
; %bb.9:
	s_waitcnt lgkmcnt(0)
	v_add_f32_e32 v0, v9, v10
	v_add_f32_e32 v9, v7, v8
	v_cmp_eq_f32_e32 vcc_lo, 0, v1
	v_cmp_eq_f32_e64 s0, 0, v2
	v_lshlrev_b64 v[5:6], 3, v[5:6]
	v_mul_f32_e64 v7, v0, -v4
	v_mul_f32_e32 v8, v3, v0
	s_and_b32 s0, vcc_lo, s0
	v_fmac_f32_e32 v7, v3, v9
	v_fmac_f32_e32 v8, v4, v9
	s_and_saveexec_b32 s1, s0
	s_xor_b32 s0, exec_lo, s1
	s_cbranch_execz .LBB175_11
; %bb.10:
	v_add_co_u32 v0, vcc_lo, s6, v5
	v_add_co_ci_u32_e64 v1, null, s7, v6, vcc_lo
                                        ; implicit-def: $vgpr5_vgpr6
	global_store_dwordx2 v[0:1], v[7:8], off
                                        ; implicit-def: $vgpr1_vgpr2
                                        ; implicit-def: $vgpr7
.LBB175_11:
	s_andn2_saveexec_b32 s0, s0
	s_cbranch_execz .LBB175_13
; %bb.12:
	v_add_co_u32 v3, vcc_lo, s6, v5
	v_add_co_ci_u32_e64 v4, null, s7, v6, vcc_lo
	global_load_dwordx2 v[5:6], v[3:4], off
	s_waitcnt vmcnt(0)
	v_fmac_f32_e32 v7, v1, v5
	v_fmac_f32_e32 v8, v2, v5
	v_fma_f32 v7, -v2, v6, v7
	v_fmac_f32_e32 v8, v1, v6
	global_store_dwordx2 v[3:4], v[7:8], off
.LBB175_13:
	s_endpgm
	.section	.rodata,"a",@progbits
	.p2align	6, 0x0
	.amdhsa_kernel _ZN9rocsparseL19gebsrmvn_1xn_kernelILj128ELj6ELj32E21rocsparse_complex_numIfEEEvi20rocsparse_direction_NS_24const_host_device_scalarIT2_EEPKiS8_PKS5_SA_S6_PS5_21rocsparse_index_base_b
		.amdhsa_group_segment_fixed_size 0
		.amdhsa_private_segment_fixed_size 0
		.amdhsa_kernarg_size 72
		.amdhsa_user_sgpr_count 6
		.amdhsa_user_sgpr_private_segment_buffer 1
		.amdhsa_user_sgpr_dispatch_ptr 0
		.amdhsa_user_sgpr_queue_ptr 0
		.amdhsa_user_sgpr_kernarg_segment_ptr 1
		.amdhsa_user_sgpr_dispatch_id 0
		.amdhsa_user_sgpr_flat_scratch_init 0
		.amdhsa_user_sgpr_private_segment_size 0
		.amdhsa_wavefront_size32 1
		.amdhsa_uses_dynamic_stack 0
		.amdhsa_system_sgpr_private_segment_wavefront_offset 0
		.amdhsa_system_sgpr_workgroup_id_x 1
		.amdhsa_system_sgpr_workgroup_id_y 0
		.amdhsa_system_sgpr_workgroup_id_z 0
		.amdhsa_system_sgpr_workgroup_info 0
		.amdhsa_system_vgpr_workitem_id 0
		.amdhsa_next_free_vgpr 38
		.amdhsa_next_free_sgpr 13
		.amdhsa_reserve_vcc 1
		.amdhsa_reserve_flat_scratch 0
		.amdhsa_float_round_mode_32 0
		.amdhsa_float_round_mode_16_64 0
		.amdhsa_float_denorm_mode_32 3
		.amdhsa_float_denorm_mode_16_64 3
		.amdhsa_dx10_clamp 1
		.amdhsa_ieee_mode 1
		.amdhsa_fp16_overflow 0
		.amdhsa_workgroup_processor_mode 1
		.amdhsa_memory_ordered 1
		.amdhsa_forward_progress 1
		.amdhsa_shared_vgpr_count 0
		.amdhsa_exception_fp_ieee_invalid_op 0
		.amdhsa_exception_fp_denorm_src 0
		.amdhsa_exception_fp_ieee_div_zero 0
		.amdhsa_exception_fp_ieee_overflow 0
		.amdhsa_exception_fp_ieee_underflow 0
		.amdhsa_exception_fp_ieee_inexact 0
		.amdhsa_exception_int_div_zero 0
	.end_amdhsa_kernel
	.section	.text._ZN9rocsparseL19gebsrmvn_1xn_kernelILj128ELj6ELj32E21rocsparse_complex_numIfEEEvi20rocsparse_direction_NS_24const_host_device_scalarIT2_EEPKiS8_PKS5_SA_S6_PS5_21rocsparse_index_base_b,"axG",@progbits,_ZN9rocsparseL19gebsrmvn_1xn_kernelILj128ELj6ELj32E21rocsparse_complex_numIfEEEvi20rocsparse_direction_NS_24const_host_device_scalarIT2_EEPKiS8_PKS5_SA_S6_PS5_21rocsparse_index_base_b,comdat
.Lfunc_end175:
	.size	_ZN9rocsparseL19gebsrmvn_1xn_kernelILj128ELj6ELj32E21rocsparse_complex_numIfEEEvi20rocsparse_direction_NS_24const_host_device_scalarIT2_EEPKiS8_PKS5_SA_S6_PS5_21rocsparse_index_base_b, .Lfunc_end175-_ZN9rocsparseL19gebsrmvn_1xn_kernelILj128ELj6ELj32E21rocsparse_complex_numIfEEEvi20rocsparse_direction_NS_24const_host_device_scalarIT2_EEPKiS8_PKS5_SA_S6_PS5_21rocsparse_index_base_b
                                        ; -- End function
	.set _ZN9rocsparseL19gebsrmvn_1xn_kernelILj128ELj6ELj32E21rocsparse_complex_numIfEEEvi20rocsparse_direction_NS_24const_host_device_scalarIT2_EEPKiS8_PKS5_SA_S6_PS5_21rocsparse_index_base_b.num_vgpr, 38
	.set _ZN9rocsparseL19gebsrmvn_1xn_kernelILj128ELj6ELj32E21rocsparse_complex_numIfEEEvi20rocsparse_direction_NS_24const_host_device_scalarIT2_EEPKiS8_PKS5_SA_S6_PS5_21rocsparse_index_base_b.num_agpr, 0
	.set _ZN9rocsparseL19gebsrmvn_1xn_kernelILj128ELj6ELj32E21rocsparse_complex_numIfEEEvi20rocsparse_direction_NS_24const_host_device_scalarIT2_EEPKiS8_PKS5_SA_S6_PS5_21rocsparse_index_base_b.numbered_sgpr, 13
	.set _ZN9rocsparseL19gebsrmvn_1xn_kernelILj128ELj6ELj32E21rocsparse_complex_numIfEEEvi20rocsparse_direction_NS_24const_host_device_scalarIT2_EEPKiS8_PKS5_SA_S6_PS5_21rocsparse_index_base_b.num_named_barrier, 0
	.set _ZN9rocsparseL19gebsrmvn_1xn_kernelILj128ELj6ELj32E21rocsparse_complex_numIfEEEvi20rocsparse_direction_NS_24const_host_device_scalarIT2_EEPKiS8_PKS5_SA_S6_PS5_21rocsparse_index_base_b.private_seg_size, 0
	.set _ZN9rocsparseL19gebsrmvn_1xn_kernelILj128ELj6ELj32E21rocsparse_complex_numIfEEEvi20rocsparse_direction_NS_24const_host_device_scalarIT2_EEPKiS8_PKS5_SA_S6_PS5_21rocsparse_index_base_b.uses_vcc, 1
	.set _ZN9rocsparseL19gebsrmvn_1xn_kernelILj128ELj6ELj32E21rocsparse_complex_numIfEEEvi20rocsparse_direction_NS_24const_host_device_scalarIT2_EEPKiS8_PKS5_SA_S6_PS5_21rocsparse_index_base_b.uses_flat_scratch, 0
	.set _ZN9rocsparseL19gebsrmvn_1xn_kernelILj128ELj6ELj32E21rocsparse_complex_numIfEEEvi20rocsparse_direction_NS_24const_host_device_scalarIT2_EEPKiS8_PKS5_SA_S6_PS5_21rocsparse_index_base_b.has_dyn_sized_stack, 0
	.set _ZN9rocsparseL19gebsrmvn_1xn_kernelILj128ELj6ELj32E21rocsparse_complex_numIfEEEvi20rocsparse_direction_NS_24const_host_device_scalarIT2_EEPKiS8_PKS5_SA_S6_PS5_21rocsparse_index_base_b.has_recursion, 0
	.set _ZN9rocsparseL19gebsrmvn_1xn_kernelILj128ELj6ELj32E21rocsparse_complex_numIfEEEvi20rocsparse_direction_NS_24const_host_device_scalarIT2_EEPKiS8_PKS5_SA_S6_PS5_21rocsparse_index_base_b.has_indirect_call, 0
	.section	.AMDGPU.csdata,"",@progbits
; Kernel info:
; codeLenInByte = 1280
; TotalNumSgprs: 15
; NumVgprs: 38
; ScratchSize: 0
; MemoryBound: 0
; FloatMode: 240
; IeeeMode: 1
; LDSByteSize: 0 bytes/workgroup (compile time only)
; SGPRBlocks: 0
; VGPRBlocks: 4
; NumSGPRsForWavesPerEU: 15
; NumVGPRsForWavesPerEU: 38
; Occupancy: 16
; WaveLimiterHint : 1
; COMPUTE_PGM_RSRC2:SCRATCH_EN: 0
; COMPUTE_PGM_RSRC2:USER_SGPR: 6
; COMPUTE_PGM_RSRC2:TRAP_HANDLER: 0
; COMPUTE_PGM_RSRC2:TGID_X_EN: 1
; COMPUTE_PGM_RSRC2:TGID_Y_EN: 0
; COMPUTE_PGM_RSRC2:TGID_Z_EN: 0
; COMPUTE_PGM_RSRC2:TIDIG_COMP_CNT: 0
	.section	.text._ZN9rocsparseL19gebsrmvn_1xn_kernelILj128ELj6ELj64E21rocsparse_complex_numIfEEEvi20rocsparse_direction_NS_24const_host_device_scalarIT2_EEPKiS8_PKS5_SA_S6_PS5_21rocsparse_index_base_b,"axG",@progbits,_ZN9rocsparseL19gebsrmvn_1xn_kernelILj128ELj6ELj64E21rocsparse_complex_numIfEEEvi20rocsparse_direction_NS_24const_host_device_scalarIT2_EEPKiS8_PKS5_SA_S6_PS5_21rocsparse_index_base_b,comdat
	.globl	_ZN9rocsparseL19gebsrmvn_1xn_kernelILj128ELj6ELj64E21rocsparse_complex_numIfEEEvi20rocsparse_direction_NS_24const_host_device_scalarIT2_EEPKiS8_PKS5_SA_S6_PS5_21rocsparse_index_base_b ; -- Begin function _ZN9rocsparseL19gebsrmvn_1xn_kernelILj128ELj6ELj64E21rocsparse_complex_numIfEEEvi20rocsparse_direction_NS_24const_host_device_scalarIT2_EEPKiS8_PKS5_SA_S6_PS5_21rocsparse_index_base_b
	.p2align	8
	.type	_ZN9rocsparseL19gebsrmvn_1xn_kernelILj128ELj6ELj64E21rocsparse_complex_numIfEEEvi20rocsparse_direction_NS_24const_host_device_scalarIT2_EEPKiS8_PKS5_SA_S6_PS5_21rocsparse_index_base_b,@function
_ZN9rocsparseL19gebsrmvn_1xn_kernelILj128ELj6ELj64E21rocsparse_complex_numIfEEEvi20rocsparse_direction_NS_24const_host_device_scalarIT2_EEPKiS8_PKS5_SA_S6_PS5_21rocsparse_index_base_b: ; @_ZN9rocsparseL19gebsrmvn_1xn_kernelILj128ELj6ELj64E21rocsparse_complex_numIfEEEvi20rocsparse_direction_NS_24const_host_device_scalarIT2_EEPKiS8_PKS5_SA_S6_PS5_21rocsparse_index_base_b
; %bb.0:
	s_clause 0x2
	s_load_dwordx2 s[8:9], s[4:5], 0x40
	s_load_dwordx2 s[0:1], s[4:5], 0x8
	;; [unrolled: 1-line block ×3, first 2 shown]
	s_add_u32 s7, s4, 8
	s_addc_u32 s10, s5, 0
	s_add_u32 s11, s4, 48
	s_addc_u32 s12, s5, 0
	s_waitcnt lgkmcnt(0)
	s_bitcmp1_b32 s9, 0
	s_cselect_b32 s0, s7, s0
	s_cselect_b32 s1, s10, s1
	v_mov_b32_e32 v1, s0
	v_mov_b32_e32 v2, s1
	s_cselect_b32 s0, s11, s2
	s_cselect_b32 s1, s12, s3
	flat_load_dwordx2 v[3:4], v[1:2]
	v_mov_b32_e32 v1, s0
	v_mov_b32_e32 v2, s1
	flat_load_dwordx2 v[1:2], v[1:2]
	s_waitcnt vmcnt(1) lgkmcnt(1)
	v_cmp_eq_f32_e32 vcc_lo, 0, v3
	v_cmp_eq_f32_e64 s0, 0, v4
	s_and_b32 s2, vcc_lo, s0
	s_mov_b32 s0, -1
	s_and_saveexec_b32 s1, s2
	s_cbranch_execz .LBB176_2
; %bb.1:
	s_waitcnt vmcnt(0) lgkmcnt(0)
	v_cmp_neq_f32_e32 vcc_lo, 1.0, v1
	v_cmp_neq_f32_e64 s0, 0, v2
	s_or_b32 s0, vcc_lo, s0
	s_orn2_b32 s0, s0, exec_lo
.LBB176_2:
	s_or_b32 exec_lo, exec_lo, s1
	s_and_saveexec_b32 s1, s0
	s_cbranch_execz .LBB176_13
; %bb.3:
	s_load_dword s0, s[4:5], 0x0
	v_lshrrev_b32_e32 v5, 6, v0
	v_lshl_or_b32 v5, s6, 1, v5
	s_waitcnt lgkmcnt(0)
	v_cmp_gt_i32_e32 vcc_lo, s0, v5
	s_and_b32 exec_lo, exec_lo, vcc_lo
	s_cbranch_execz .LBB176_13
; %bb.4:
	s_clause 0x1
	s_load_dwordx2 s[0:1], s[4:5], 0x10
	s_load_dwordx2 s[6:7], s[4:5], 0x38
	v_ashrrev_i32_e32 v6, 31, v5
	v_and_b32_e32 v0, 63, v0
	v_mov_b32_e32 v13, 0
	v_mov_b32_e32 v14, 0
	s_mov_b32 s9, exec_lo
	v_lshlrev_b64 v[7:8], 2, v[5:6]
	v_subrev_nc_u32_e32 v9, s8, v0
	s_waitcnt lgkmcnt(0)
	v_add_co_u32 v7, vcc_lo, s0, v7
	v_add_co_ci_u32_e64 v8, null, s1, v8, vcc_lo
	global_load_dwordx2 v[7:8], v[7:8], off
	s_waitcnt vmcnt(0)
	v_subrev_nc_u32_e32 v15, s8, v8
	v_add_nc_u32_e32 v7, v7, v9
	v_cmpx_lt_i32_e64 v7, v15
	s_cbranch_execz .LBB176_8
; %bb.5:
	s_clause 0x1
	s_load_dwordx4 s[0:3], s[4:5], 0x18
	s_load_dwordx2 s[4:5], s[4:5], 0x28
	v_mad_u64_u32 v[9:10], null, v7, 6, 5
	v_mov_b32_e32 v12, 0
	v_mov_b32_e32 v13, 0
	;; [unrolled: 1-line block ×3, first 2 shown]
	s_mov_b32 s10, 0
.LBB176_6:                              ; =>This Inner Loop Header: Depth=1
	v_ashrrev_i32_e32 v8, 31, v7
	v_mov_b32_e32 v25, v12
	v_lshlrev_b64 v[10:11], 2, v[7:8]
	v_add_nc_u32_e32 v7, 64, v7
	s_waitcnt lgkmcnt(0)
	v_add_co_u32 v10, vcc_lo, s0, v10
	v_add_co_ci_u32_e64 v11, null, s1, v11, vcc_lo
	global_load_dword v8, v[10:11], off
	v_add_nc_u32_e32 v11, -5, v9
	v_mov_b32_e32 v10, v12
	v_lshlrev_b64 v[16:17], 3, v[11:12]
	v_add_nc_u32_e32 v11, -3, v9
	v_lshlrev_b64 v[20:21], 3, v[11:12]
	v_add_co_u32 v16, vcc_lo, s2, v16
	v_add_co_ci_u32_e64 v17, null, s3, v17, vcc_lo
	v_add_co_u32 v20, vcc_lo, s2, v20
	v_add_co_ci_u32_e64 v21, null, s3, v21, vcc_lo
	s_clause 0x1
	global_load_dwordx4 v[16:19], v[16:17], off
	global_load_dwordx2 v[32:33], v[20:21], off
	s_waitcnt vmcnt(2)
	v_subrev_nc_u32_e32 v8, s8, v8
	v_mul_lo_u32 v24, v8, 6
	v_lshlrev_b64 v[22:23], 3, v[24:25]
	v_add_nc_u32_e32 v11, 2, v24
	v_lshlrev_b64 v[25:26], 3, v[11:12]
	v_add_co_u32 v20, vcc_lo, s4, v22
	v_add_co_ci_u32_e64 v21, null, s5, v23, vcc_lo
	v_add_nc_u32_e32 v11, -2, v9
	v_add_co_u32 v25, vcc_lo, s4, v25
	global_load_dwordx4 v[20:23], v[20:21], off
	v_add_co_ci_u32_e64 v26, null, s5, v26, vcc_lo
	v_lshlrev_b64 v[28:29], 3, v[11:12]
	v_add_nc_u32_e32 v11, -1, v9
	v_lshlrev_b64 v[30:31], 3, v[11:12]
	v_add_nc_u32_e32 v11, 4, v24
	global_load_dwordx4 v[24:27], v[25:26], off
	v_add_co_u32 v28, vcc_lo, s2, v28
	v_add_co_ci_u32_e64 v29, null, s3, v29, vcc_lo
	v_lshlrev_b64 v[34:35], 3, v[11:12]
	v_lshlrev_b64 v[10:11], 3, v[9:10]
	v_add_nc_u32_e32 v9, 0x180, v9
	global_load_dwordx2 v[36:37], v[28:29], off
	v_add_co_u32 v28, vcc_lo, s2, v30
	v_add_co_ci_u32_e64 v29, null, s3, v31, vcc_lo
	v_add_co_u32 v30, vcc_lo, s4, v34
	v_add_co_ci_u32_e64 v31, null, s5, v35, vcc_lo
	global_load_dwordx2 v[34:35], v[28:29], off
	global_load_dwordx4 v[28:31], v[30:31], off
	v_add_co_u32 v10, vcc_lo, s2, v10
	v_add_co_ci_u32_e64 v11, null, s3, v11, vcc_lo
	v_cmp_ge_i32_e32 vcc_lo, v7, v15
	global_load_dwordx2 v[10:11], v[10:11], off
	s_or_b32 s10, vcc_lo, s10
	s_waitcnt vmcnt(5)
	v_fmac_f32_e32 v14, v16, v20
	v_fmac_f32_e32 v13, v17, v20
	v_fma_f32 v8, -v17, v21, v14
	v_fmac_f32_e32 v13, v16, v21
	v_fmac_f32_e32 v8, v18, v22
	;; [unrolled: 1-line block ×3, first 2 shown]
	v_fma_f32 v8, -v19, v23, v8
	v_fmac_f32_e32 v13, v18, v23
	s_waitcnt vmcnt(4)
	v_fmac_f32_e32 v8, v32, v24
	v_fmac_f32_e32 v13, v33, v24
	v_fma_f32 v8, -v33, v25, v8
	v_fmac_f32_e32 v13, v32, v25
	s_waitcnt vmcnt(3)
	v_fmac_f32_e32 v8, v36, v26
	v_fmac_f32_e32 v13, v37, v26
	;; [unrolled: 5-line block ×4, first 2 shown]
	v_fma_f32 v14, -v11, v31, v8
	v_fmac_f32_e32 v13, v10, v31
	s_andn2_b32 exec_lo, exec_lo, s10
	s_cbranch_execnz .LBB176_6
; %bb.7:
	s_or_b32 exec_lo, exec_lo, s10
.LBB176_8:
	s_or_b32 exec_lo, exec_lo, s9
	v_mbcnt_lo_u32_b32 v7, -1, 0
	v_or_b32_e32 v8, 32, v7
	v_xor_b32_e32 v10, 16, v7
	v_xor_b32_e32 v12, 8, v7
	v_cmp_gt_i32_e32 vcc_lo, 32, v8
	v_cndmask_b32_e32 v8, v7, v8, vcc_lo
	v_cmp_gt_i32_e32 vcc_lo, 32, v10
	v_lshlrev_b32_e32 v8, 2, v8
	v_cndmask_b32_e32 v10, v7, v10, vcc_lo
	v_cmp_gt_i32_e32 vcc_lo, 32, v12
	ds_bpermute_b32 v9, v8, v14
	ds_bpermute_b32 v8, v8, v13
	v_lshlrev_b32_e32 v10, 2, v10
	v_cndmask_b32_e32 v12, v7, v12, vcc_lo
	v_lshlrev_b32_e32 v12, 2, v12
	s_waitcnt lgkmcnt(1)
	v_add_f32_e32 v9, v14, v9
	s_waitcnt lgkmcnt(0)
	v_add_f32_e32 v8, v13, v8
	ds_bpermute_b32 v11, v10, v9
	ds_bpermute_b32 v10, v10, v8
	s_waitcnt lgkmcnt(1)
	v_add_f32_e32 v9, v9, v11
	s_waitcnt lgkmcnt(0)
	v_add_f32_e32 v8, v8, v10
	ds_bpermute_b32 v10, v12, v9
	ds_bpermute_b32 v11, v12, v8
	v_xor_b32_e32 v12, 4, v7
	v_cmp_gt_i32_e32 vcc_lo, 32, v12
	v_cndmask_b32_e32 v12, v7, v12, vcc_lo
	v_lshlrev_b32_e32 v12, 2, v12
	s_waitcnt lgkmcnt(1)
	v_add_f32_e32 v9, v9, v10
	s_waitcnt lgkmcnt(0)
	v_add_f32_e32 v8, v8, v11
	ds_bpermute_b32 v10, v12, v9
	ds_bpermute_b32 v11, v12, v8
	v_xor_b32_e32 v12, 2, v7
	v_cmp_gt_i32_e32 vcc_lo, 32, v12
	v_cndmask_b32_e32 v12, v7, v12, vcc_lo
	v_lshlrev_b32_e32 v12, 2, v12
	s_waitcnt lgkmcnt(1)
	v_add_f32_e32 v9, v9, v10
	s_waitcnt lgkmcnt(0)
	v_add_f32_e32 v8, v8, v11
	ds_bpermute_b32 v10, v12, v9
	ds_bpermute_b32 v11, v12, v8
	v_xor_b32_e32 v12, 1, v7
	v_cmp_gt_i32_e32 vcc_lo, 32, v12
	v_cndmask_b32_e32 v7, v7, v12, vcc_lo
	v_cmp_eq_u32_e32 vcc_lo, 63, v0
	v_lshlrev_b32_e32 v12, 2, v7
	s_waitcnt lgkmcnt(1)
	v_add_f32_e32 v7, v9, v10
	s_waitcnt lgkmcnt(0)
	v_add_f32_e32 v9, v8, v11
	ds_bpermute_b32 v8, v12, v7
	ds_bpermute_b32 v10, v12, v9
	s_and_b32 exec_lo, exec_lo, vcc_lo
	s_cbranch_execz .LBB176_13
; %bb.9:
	s_waitcnt lgkmcnt(0)
	v_add_f32_e32 v0, v9, v10
	v_add_f32_e32 v9, v7, v8
	v_cmp_eq_f32_e32 vcc_lo, 0, v1
	v_cmp_eq_f32_e64 s0, 0, v2
	v_lshlrev_b64 v[5:6], 3, v[5:6]
	v_mul_f32_e64 v7, v0, -v4
	v_mul_f32_e32 v8, v3, v0
	s_and_b32 s0, vcc_lo, s0
	v_fmac_f32_e32 v7, v3, v9
	v_fmac_f32_e32 v8, v4, v9
	s_and_saveexec_b32 s1, s0
	s_xor_b32 s0, exec_lo, s1
	s_cbranch_execz .LBB176_11
; %bb.10:
	v_add_co_u32 v0, vcc_lo, s6, v5
	v_add_co_ci_u32_e64 v1, null, s7, v6, vcc_lo
                                        ; implicit-def: $vgpr5_vgpr6
	global_store_dwordx2 v[0:1], v[7:8], off
                                        ; implicit-def: $vgpr1_vgpr2
                                        ; implicit-def: $vgpr7
.LBB176_11:
	s_andn2_saveexec_b32 s0, s0
	s_cbranch_execz .LBB176_13
; %bb.12:
	v_add_co_u32 v3, vcc_lo, s6, v5
	v_add_co_ci_u32_e64 v4, null, s7, v6, vcc_lo
	global_load_dwordx2 v[5:6], v[3:4], off
	s_waitcnt vmcnt(0)
	v_fmac_f32_e32 v7, v1, v5
	v_fmac_f32_e32 v8, v2, v5
	v_fma_f32 v7, -v2, v6, v7
	v_fmac_f32_e32 v8, v1, v6
	global_store_dwordx2 v[3:4], v[7:8], off
.LBB176_13:
	s_endpgm
	.section	.rodata,"a",@progbits
	.p2align	6, 0x0
	.amdhsa_kernel _ZN9rocsparseL19gebsrmvn_1xn_kernelILj128ELj6ELj64E21rocsparse_complex_numIfEEEvi20rocsparse_direction_NS_24const_host_device_scalarIT2_EEPKiS8_PKS5_SA_S6_PS5_21rocsparse_index_base_b
		.amdhsa_group_segment_fixed_size 0
		.amdhsa_private_segment_fixed_size 0
		.amdhsa_kernarg_size 72
		.amdhsa_user_sgpr_count 6
		.amdhsa_user_sgpr_private_segment_buffer 1
		.amdhsa_user_sgpr_dispatch_ptr 0
		.amdhsa_user_sgpr_queue_ptr 0
		.amdhsa_user_sgpr_kernarg_segment_ptr 1
		.amdhsa_user_sgpr_dispatch_id 0
		.amdhsa_user_sgpr_flat_scratch_init 0
		.amdhsa_user_sgpr_private_segment_size 0
		.amdhsa_wavefront_size32 1
		.amdhsa_uses_dynamic_stack 0
		.amdhsa_system_sgpr_private_segment_wavefront_offset 0
		.amdhsa_system_sgpr_workgroup_id_x 1
		.amdhsa_system_sgpr_workgroup_id_y 0
		.amdhsa_system_sgpr_workgroup_id_z 0
		.amdhsa_system_sgpr_workgroup_info 0
		.amdhsa_system_vgpr_workitem_id 0
		.amdhsa_next_free_vgpr 38
		.amdhsa_next_free_sgpr 13
		.amdhsa_reserve_vcc 1
		.amdhsa_reserve_flat_scratch 0
		.amdhsa_float_round_mode_32 0
		.amdhsa_float_round_mode_16_64 0
		.amdhsa_float_denorm_mode_32 3
		.amdhsa_float_denorm_mode_16_64 3
		.amdhsa_dx10_clamp 1
		.amdhsa_ieee_mode 1
		.amdhsa_fp16_overflow 0
		.amdhsa_workgroup_processor_mode 1
		.amdhsa_memory_ordered 1
		.amdhsa_forward_progress 1
		.amdhsa_shared_vgpr_count 0
		.amdhsa_exception_fp_ieee_invalid_op 0
		.amdhsa_exception_fp_denorm_src 0
		.amdhsa_exception_fp_ieee_div_zero 0
		.amdhsa_exception_fp_ieee_overflow 0
		.amdhsa_exception_fp_ieee_underflow 0
		.amdhsa_exception_fp_ieee_inexact 0
		.amdhsa_exception_int_div_zero 0
	.end_amdhsa_kernel
	.section	.text._ZN9rocsparseL19gebsrmvn_1xn_kernelILj128ELj6ELj64E21rocsparse_complex_numIfEEEvi20rocsparse_direction_NS_24const_host_device_scalarIT2_EEPKiS8_PKS5_SA_S6_PS5_21rocsparse_index_base_b,"axG",@progbits,_ZN9rocsparseL19gebsrmvn_1xn_kernelILj128ELj6ELj64E21rocsparse_complex_numIfEEEvi20rocsparse_direction_NS_24const_host_device_scalarIT2_EEPKiS8_PKS5_SA_S6_PS5_21rocsparse_index_base_b,comdat
.Lfunc_end176:
	.size	_ZN9rocsparseL19gebsrmvn_1xn_kernelILj128ELj6ELj64E21rocsparse_complex_numIfEEEvi20rocsparse_direction_NS_24const_host_device_scalarIT2_EEPKiS8_PKS5_SA_S6_PS5_21rocsparse_index_base_b, .Lfunc_end176-_ZN9rocsparseL19gebsrmvn_1xn_kernelILj128ELj6ELj64E21rocsparse_complex_numIfEEEvi20rocsparse_direction_NS_24const_host_device_scalarIT2_EEPKiS8_PKS5_SA_S6_PS5_21rocsparse_index_base_b
                                        ; -- End function
	.set _ZN9rocsparseL19gebsrmvn_1xn_kernelILj128ELj6ELj64E21rocsparse_complex_numIfEEEvi20rocsparse_direction_NS_24const_host_device_scalarIT2_EEPKiS8_PKS5_SA_S6_PS5_21rocsparse_index_base_b.num_vgpr, 38
	.set _ZN9rocsparseL19gebsrmvn_1xn_kernelILj128ELj6ELj64E21rocsparse_complex_numIfEEEvi20rocsparse_direction_NS_24const_host_device_scalarIT2_EEPKiS8_PKS5_SA_S6_PS5_21rocsparse_index_base_b.num_agpr, 0
	.set _ZN9rocsparseL19gebsrmvn_1xn_kernelILj128ELj6ELj64E21rocsparse_complex_numIfEEEvi20rocsparse_direction_NS_24const_host_device_scalarIT2_EEPKiS8_PKS5_SA_S6_PS5_21rocsparse_index_base_b.numbered_sgpr, 13
	.set _ZN9rocsparseL19gebsrmvn_1xn_kernelILj128ELj6ELj64E21rocsparse_complex_numIfEEEvi20rocsparse_direction_NS_24const_host_device_scalarIT2_EEPKiS8_PKS5_SA_S6_PS5_21rocsparse_index_base_b.num_named_barrier, 0
	.set _ZN9rocsparseL19gebsrmvn_1xn_kernelILj128ELj6ELj64E21rocsparse_complex_numIfEEEvi20rocsparse_direction_NS_24const_host_device_scalarIT2_EEPKiS8_PKS5_SA_S6_PS5_21rocsparse_index_base_b.private_seg_size, 0
	.set _ZN9rocsparseL19gebsrmvn_1xn_kernelILj128ELj6ELj64E21rocsparse_complex_numIfEEEvi20rocsparse_direction_NS_24const_host_device_scalarIT2_EEPKiS8_PKS5_SA_S6_PS5_21rocsparse_index_base_b.uses_vcc, 1
	.set _ZN9rocsparseL19gebsrmvn_1xn_kernelILj128ELj6ELj64E21rocsparse_complex_numIfEEEvi20rocsparse_direction_NS_24const_host_device_scalarIT2_EEPKiS8_PKS5_SA_S6_PS5_21rocsparse_index_base_b.uses_flat_scratch, 0
	.set _ZN9rocsparseL19gebsrmvn_1xn_kernelILj128ELj6ELj64E21rocsparse_complex_numIfEEEvi20rocsparse_direction_NS_24const_host_device_scalarIT2_EEPKiS8_PKS5_SA_S6_PS5_21rocsparse_index_base_b.has_dyn_sized_stack, 0
	.set _ZN9rocsparseL19gebsrmvn_1xn_kernelILj128ELj6ELj64E21rocsparse_complex_numIfEEEvi20rocsparse_direction_NS_24const_host_device_scalarIT2_EEPKiS8_PKS5_SA_S6_PS5_21rocsparse_index_base_b.has_recursion, 0
	.set _ZN9rocsparseL19gebsrmvn_1xn_kernelILj128ELj6ELj64E21rocsparse_complex_numIfEEEvi20rocsparse_direction_NS_24const_host_device_scalarIT2_EEPKiS8_PKS5_SA_S6_PS5_21rocsparse_index_base_b.has_indirect_call, 0
	.section	.AMDGPU.csdata,"",@progbits
; Kernel info:
; codeLenInByte = 1328
; TotalNumSgprs: 15
; NumVgprs: 38
; ScratchSize: 0
; MemoryBound: 0
; FloatMode: 240
; IeeeMode: 1
; LDSByteSize: 0 bytes/workgroup (compile time only)
; SGPRBlocks: 0
; VGPRBlocks: 4
; NumSGPRsForWavesPerEU: 15
; NumVGPRsForWavesPerEU: 38
; Occupancy: 16
; WaveLimiterHint : 1
; COMPUTE_PGM_RSRC2:SCRATCH_EN: 0
; COMPUTE_PGM_RSRC2:USER_SGPR: 6
; COMPUTE_PGM_RSRC2:TRAP_HANDLER: 0
; COMPUTE_PGM_RSRC2:TGID_X_EN: 1
; COMPUTE_PGM_RSRC2:TGID_Y_EN: 0
; COMPUTE_PGM_RSRC2:TGID_Z_EN: 0
; COMPUTE_PGM_RSRC2:TIDIG_COMP_CNT: 0
	.section	.text._ZN9rocsparseL19gebsrmvn_1xn_kernelILj128ELj7ELj4E21rocsparse_complex_numIfEEEvi20rocsparse_direction_NS_24const_host_device_scalarIT2_EEPKiS8_PKS5_SA_S6_PS5_21rocsparse_index_base_b,"axG",@progbits,_ZN9rocsparseL19gebsrmvn_1xn_kernelILj128ELj7ELj4E21rocsparse_complex_numIfEEEvi20rocsparse_direction_NS_24const_host_device_scalarIT2_EEPKiS8_PKS5_SA_S6_PS5_21rocsparse_index_base_b,comdat
	.globl	_ZN9rocsparseL19gebsrmvn_1xn_kernelILj128ELj7ELj4E21rocsparse_complex_numIfEEEvi20rocsparse_direction_NS_24const_host_device_scalarIT2_EEPKiS8_PKS5_SA_S6_PS5_21rocsparse_index_base_b ; -- Begin function _ZN9rocsparseL19gebsrmvn_1xn_kernelILj128ELj7ELj4E21rocsparse_complex_numIfEEEvi20rocsparse_direction_NS_24const_host_device_scalarIT2_EEPKiS8_PKS5_SA_S6_PS5_21rocsparse_index_base_b
	.p2align	8
	.type	_ZN9rocsparseL19gebsrmvn_1xn_kernelILj128ELj7ELj4E21rocsparse_complex_numIfEEEvi20rocsparse_direction_NS_24const_host_device_scalarIT2_EEPKiS8_PKS5_SA_S6_PS5_21rocsparse_index_base_b,@function
_ZN9rocsparseL19gebsrmvn_1xn_kernelILj128ELj7ELj4E21rocsparse_complex_numIfEEEvi20rocsparse_direction_NS_24const_host_device_scalarIT2_EEPKiS8_PKS5_SA_S6_PS5_21rocsparse_index_base_b: ; @_ZN9rocsparseL19gebsrmvn_1xn_kernelILj128ELj7ELj4E21rocsparse_complex_numIfEEEvi20rocsparse_direction_NS_24const_host_device_scalarIT2_EEPKiS8_PKS5_SA_S6_PS5_21rocsparse_index_base_b
; %bb.0:
	s_clause 0x2
	s_load_dwordx2 s[8:9], s[4:5], 0x40
	s_load_dwordx2 s[0:1], s[4:5], 0x8
	;; [unrolled: 1-line block ×3, first 2 shown]
	s_add_u32 s7, s4, 8
	s_addc_u32 s10, s5, 0
	s_add_u32 s11, s4, 48
	s_addc_u32 s12, s5, 0
	s_waitcnt lgkmcnt(0)
	s_bitcmp1_b32 s9, 0
	s_cselect_b32 s0, s7, s0
	s_cselect_b32 s1, s10, s1
	v_mov_b32_e32 v1, s0
	v_mov_b32_e32 v2, s1
	s_cselect_b32 s0, s11, s2
	s_cselect_b32 s1, s12, s3
	flat_load_dwordx2 v[3:4], v[1:2]
	v_mov_b32_e32 v1, s0
	v_mov_b32_e32 v2, s1
	flat_load_dwordx2 v[1:2], v[1:2]
	s_waitcnt vmcnt(1) lgkmcnt(1)
	v_cmp_eq_f32_e32 vcc_lo, 0, v3
	v_cmp_eq_f32_e64 s0, 0, v4
	s_and_b32 s2, vcc_lo, s0
	s_mov_b32 s0, -1
	s_and_saveexec_b32 s1, s2
	s_cbranch_execz .LBB177_2
; %bb.1:
	s_waitcnt vmcnt(0) lgkmcnt(0)
	v_cmp_neq_f32_e32 vcc_lo, 1.0, v1
	v_cmp_neq_f32_e64 s0, 0, v2
	s_or_b32 s0, vcc_lo, s0
	s_orn2_b32 s0, s0, exec_lo
.LBB177_2:
	s_or_b32 exec_lo, exec_lo, s1
	s_and_saveexec_b32 s1, s0
	s_cbranch_execz .LBB177_13
; %bb.3:
	s_load_dword s0, s[4:5], 0x0
	v_lshrrev_b32_e32 v5, 2, v0
	v_lshl_or_b32 v5, s6, 5, v5
	s_waitcnt lgkmcnt(0)
	v_cmp_gt_i32_e32 vcc_lo, s0, v5
	s_and_b32 exec_lo, exec_lo, vcc_lo
	s_cbranch_execz .LBB177_13
; %bb.4:
	s_clause 0x1
	s_load_dwordx2 s[0:1], s[4:5], 0x10
	s_load_dwordx2 s[6:7], s[4:5], 0x38
	v_ashrrev_i32_e32 v6, 31, v5
	v_and_b32_e32 v0, 3, v0
	v_mov_b32_e32 v13, 0
	v_mov_b32_e32 v15, 0
	s_mov_b32 s9, exec_lo
	v_lshlrev_b64 v[7:8], 2, v[5:6]
	v_subrev_nc_u32_e32 v9, s8, v0
	s_waitcnt lgkmcnt(0)
	v_add_co_u32 v7, vcc_lo, s0, v7
	v_add_co_ci_u32_e64 v8, null, s1, v8, vcc_lo
	global_load_dwordx2 v[7:8], v[7:8], off
	s_waitcnt vmcnt(0)
	v_subrev_nc_u32_e32 v14, s8, v8
	v_add_nc_u32_e32 v7, v7, v9
	v_cmpx_lt_i32_e64 v7, v14
	s_cbranch_execz .LBB177_8
; %bb.5:
	s_clause 0x1
	s_load_dwordx4 s[0:3], s[4:5], 0x18
	s_load_dwordx2 s[4:5], s[4:5], 0x28
	v_mad_u64_u32 v[9:10], null, v7, 7, 6
	v_mov_b32_e32 v12, 0
	v_mov_b32_e32 v13, 0
	;; [unrolled: 1-line block ×3, first 2 shown]
	s_mov_b32 s10, 0
.LBB177_6:                              ; =>This Inner Loop Header: Depth=1
	v_ashrrev_i32_e32 v8, 31, v7
	v_mov_b32_e32 v17, v12
	v_lshlrev_b64 v[10:11], 2, v[7:8]
	v_add_nc_u32_e32 v7, 4, v7
	s_waitcnt lgkmcnt(0)
	v_add_co_u32 v10, vcc_lo, s0, v10
	v_add_co_ci_u32_e64 v11, null, s1, v11, vcc_lo
	global_load_dword v8, v[10:11], off
	v_add_nc_u32_e32 v11, -6, v9
	v_mov_b32_e32 v10, v12
	v_lshlrev_b64 v[18:19], 3, v[11:12]
	v_add_nc_u32_e32 v11, -5, v9
	v_lshlrev_b64 v[20:21], 3, v[9:10]
	v_lshlrev_b64 v[10:11], 3, v[11:12]
	v_add_co_u32 v18, vcc_lo, s2, v18
	v_add_co_ci_u32_e64 v19, null, s3, v19, vcc_lo
	v_add_co_u32 v20, vcc_lo, s2, v20
	v_add_co_ci_u32_e64 v21, null, s3, v21, vcc_lo
	;; [unrolled: 2-line block ×3, first 2 shown]
	s_clause 0x1
	global_load_dwordx2 v[18:19], v[18:19], off
	global_load_dwordx2 v[22:23], v[10:11], off
	s_waitcnt vmcnt(2)
	v_subrev_nc_u32_e32 v8, s8, v8
	v_mul_lo_u32 v16, v8, 7
	v_lshlrev_b64 v[24:25], 3, v[16:17]
	v_add_nc_u32_e32 v11, 1, v16
	v_lshlrev_b64 v[26:27], 3, v[11:12]
	v_add_co_u32 v24, vcc_lo, s4, v24
	v_add_co_ci_u32_e64 v25, null, s5, v25, vcc_lo
	v_add_nc_u32_e32 v11, -4, v9
	v_add_co_u32 v26, vcc_lo, s4, v26
	global_load_dwordx2 v[24:25], v[24:25], off
	v_add_co_ci_u32_e64 v27, null, s5, v27, vcc_lo
	v_lshlrev_b64 v[28:29], 3, v[11:12]
	v_add_nc_u32_e32 v11, 2, v16
	global_load_dwordx2 v[26:27], v[26:27], off
	v_lshlrev_b64 v[30:31], 3, v[11:12]
	v_add_nc_u32_e32 v11, -3, v9
	v_add_co_u32 v28, vcc_lo, s2, v28
	v_add_co_ci_u32_e64 v29, null, s3, v29, vcc_lo
	v_lshlrev_b64 v[32:33], 3, v[11:12]
	v_add_nc_u32_e32 v11, 3, v16
	v_add_co_u32 v30, vcc_lo, s4, v30
	v_add_co_ci_u32_e64 v31, null, s5, v31, vcc_lo
	v_lshlrev_b64 v[34:35], 3, v[11:12]
	v_add_nc_u32_e32 v11, -2, v9
	global_load_dwordx2 v[28:29], v[28:29], off
	global_load_dwordx2 v[30:31], v[30:31], off
	v_add_co_u32 v32, vcc_lo, s2, v32
	v_lshlrev_b64 v[36:37], 3, v[11:12]
	v_add_nc_u32_e32 v11, 4, v16
	v_add_co_ci_u32_e64 v33, null, s3, v33, vcc_lo
	v_add_co_u32 v34, vcc_lo, s4, v34
	v_add_co_ci_u32_e64 v35, null, s5, v35, vcc_lo
	v_lshlrev_b64 v[38:39], 3, v[11:12]
	v_add_nc_u32_e32 v11, -1, v9
	global_load_dwordx2 v[32:33], v[32:33], off
	global_load_dwordx2 v[34:35], v[34:35], off
	v_add_co_u32 v36, vcc_lo, s2, v36
	v_add_co_ci_u32_e64 v37, null, s3, v37, vcc_lo
	v_lshlrev_b64 v[40:41], 3, v[11:12]
	v_add_nc_u32_e32 v11, 5, v16
	v_add_co_u32 v38, vcc_lo, s4, v38
	v_add_co_ci_u32_e64 v39, null, s5, v39, vcc_lo
	v_lshlrev_b64 v[42:43], 3, v[11:12]
	global_load_dwordx2 v[36:37], v[36:37], off
	v_add_nc_u32_e32 v11, 6, v16
	global_load_dwordx2 v[16:17], v[38:39], off
	v_add_co_u32 v38, vcc_lo, s2, v40
	v_add_co_ci_u32_e64 v39, null, s3, v41, vcc_lo
	v_add_co_u32 v40, vcc_lo, s4, v42
	v_add_co_ci_u32_e64 v41, null, s5, v43, vcc_lo
	v_lshlrev_b64 v[10:11], 3, v[11:12]
	global_load_dwordx2 v[38:39], v[38:39], off
	global_load_dwordx2 v[40:41], v[40:41], off
	v_add_nc_u32_e32 v9, 28, v9
	v_add_co_u32 v10, vcc_lo, s4, v10
	v_add_co_ci_u32_e64 v11, null, s5, v11, vcc_lo
	global_load_dwordx2 v[20:21], v[20:21], off
	global_load_dwordx2 v[10:11], v[10:11], off
	v_cmp_ge_i32_e32 vcc_lo, v7, v14
	s_or_b32 s10, vcc_lo, s10
	s_waitcnt vmcnt(11)
	v_fmac_f32_e32 v15, v18, v24
	v_fmac_f32_e32 v13, v19, v24
	v_fma_f32 v8, -v19, v25, v15
	v_fmac_f32_e32 v13, v18, v25
	s_waitcnt vmcnt(10)
	v_fmac_f32_e32 v8, v22, v26
	v_fmac_f32_e32 v13, v23, v26
	v_fma_f32 v8, -v23, v27, v8
	v_fmac_f32_e32 v13, v22, v27
	;; [unrolled: 5-line block ×7, first 2 shown]
	s_andn2_b32 exec_lo, exec_lo, s10
	s_cbranch_execnz .LBB177_6
; %bb.7:
	s_or_b32 exec_lo, exec_lo, s10
.LBB177_8:
	s_or_b32 exec_lo, exec_lo, s9
	v_mbcnt_lo_u32_b32 v7, -1, 0
	v_xor_b32_e32 v8, 2, v7
	v_xor_b32_e32 v10, 1, v7
	v_cmp_gt_i32_e32 vcc_lo, 32, v8
	v_cndmask_b32_e32 v8, v7, v8, vcc_lo
	v_cmp_gt_i32_e32 vcc_lo, 32, v10
	v_lshlrev_b32_e32 v8, 2, v8
	v_cndmask_b32_e32 v7, v7, v10, vcc_lo
	v_cmp_eq_u32_e32 vcc_lo, 3, v0
	ds_bpermute_b32 v9, v8, v15
	ds_bpermute_b32 v8, v8, v13
	v_lshlrev_b32_e32 v10, 2, v7
	s_waitcnt lgkmcnt(1)
	v_add_f32_e32 v7, v15, v9
	s_waitcnt lgkmcnt(0)
	v_add_f32_e32 v9, v13, v8
	ds_bpermute_b32 v8, v10, v7
	ds_bpermute_b32 v10, v10, v9
	s_and_b32 exec_lo, exec_lo, vcc_lo
	s_cbranch_execz .LBB177_13
; %bb.9:
	s_waitcnt lgkmcnt(0)
	v_add_f32_e32 v0, v9, v10
	v_add_f32_e32 v9, v7, v8
	v_cmp_eq_f32_e32 vcc_lo, 0, v1
	v_cmp_eq_f32_e64 s0, 0, v2
	v_lshlrev_b64 v[5:6], 3, v[5:6]
	v_mul_f32_e64 v7, v0, -v4
	v_mul_f32_e32 v8, v3, v0
	s_and_b32 s0, vcc_lo, s0
	v_fmac_f32_e32 v7, v3, v9
	v_fmac_f32_e32 v8, v4, v9
	s_and_saveexec_b32 s1, s0
	s_xor_b32 s0, exec_lo, s1
	s_cbranch_execz .LBB177_11
; %bb.10:
	v_add_co_u32 v0, vcc_lo, s6, v5
	v_add_co_ci_u32_e64 v1, null, s7, v6, vcc_lo
                                        ; implicit-def: $vgpr5_vgpr6
	global_store_dwordx2 v[0:1], v[7:8], off
                                        ; implicit-def: $vgpr1_vgpr2
                                        ; implicit-def: $vgpr7
.LBB177_11:
	s_andn2_saveexec_b32 s0, s0
	s_cbranch_execz .LBB177_13
; %bb.12:
	v_add_co_u32 v3, vcc_lo, s6, v5
	v_add_co_ci_u32_e64 v4, null, s7, v6, vcc_lo
	global_load_dwordx2 v[5:6], v[3:4], off
	s_waitcnt vmcnt(0)
	v_fmac_f32_e32 v7, v1, v5
	v_fmac_f32_e32 v8, v2, v5
	v_fma_f32 v7, -v2, v6, v7
	v_fmac_f32_e32 v8, v1, v6
	global_store_dwordx2 v[3:4], v[7:8], off
.LBB177_13:
	s_endpgm
	.section	.rodata,"a",@progbits
	.p2align	6, 0x0
	.amdhsa_kernel _ZN9rocsparseL19gebsrmvn_1xn_kernelILj128ELj7ELj4E21rocsparse_complex_numIfEEEvi20rocsparse_direction_NS_24const_host_device_scalarIT2_EEPKiS8_PKS5_SA_S6_PS5_21rocsparse_index_base_b
		.amdhsa_group_segment_fixed_size 0
		.amdhsa_private_segment_fixed_size 0
		.amdhsa_kernarg_size 72
		.amdhsa_user_sgpr_count 6
		.amdhsa_user_sgpr_private_segment_buffer 1
		.amdhsa_user_sgpr_dispatch_ptr 0
		.amdhsa_user_sgpr_queue_ptr 0
		.amdhsa_user_sgpr_kernarg_segment_ptr 1
		.amdhsa_user_sgpr_dispatch_id 0
		.amdhsa_user_sgpr_flat_scratch_init 0
		.amdhsa_user_sgpr_private_segment_size 0
		.amdhsa_wavefront_size32 1
		.amdhsa_uses_dynamic_stack 0
		.amdhsa_system_sgpr_private_segment_wavefront_offset 0
		.amdhsa_system_sgpr_workgroup_id_x 1
		.amdhsa_system_sgpr_workgroup_id_y 0
		.amdhsa_system_sgpr_workgroup_id_z 0
		.amdhsa_system_sgpr_workgroup_info 0
		.amdhsa_system_vgpr_workitem_id 0
		.amdhsa_next_free_vgpr 44
		.amdhsa_next_free_sgpr 13
		.amdhsa_reserve_vcc 1
		.amdhsa_reserve_flat_scratch 0
		.amdhsa_float_round_mode_32 0
		.amdhsa_float_round_mode_16_64 0
		.amdhsa_float_denorm_mode_32 3
		.amdhsa_float_denorm_mode_16_64 3
		.amdhsa_dx10_clamp 1
		.amdhsa_ieee_mode 1
		.amdhsa_fp16_overflow 0
		.amdhsa_workgroup_processor_mode 1
		.amdhsa_memory_ordered 1
		.amdhsa_forward_progress 1
		.amdhsa_shared_vgpr_count 0
		.amdhsa_exception_fp_ieee_invalid_op 0
		.amdhsa_exception_fp_denorm_src 0
		.amdhsa_exception_fp_ieee_div_zero 0
		.amdhsa_exception_fp_ieee_overflow 0
		.amdhsa_exception_fp_ieee_underflow 0
		.amdhsa_exception_fp_ieee_inexact 0
		.amdhsa_exception_int_div_zero 0
	.end_amdhsa_kernel
	.section	.text._ZN9rocsparseL19gebsrmvn_1xn_kernelILj128ELj7ELj4E21rocsparse_complex_numIfEEEvi20rocsparse_direction_NS_24const_host_device_scalarIT2_EEPKiS8_PKS5_SA_S6_PS5_21rocsparse_index_base_b,"axG",@progbits,_ZN9rocsparseL19gebsrmvn_1xn_kernelILj128ELj7ELj4E21rocsparse_complex_numIfEEEvi20rocsparse_direction_NS_24const_host_device_scalarIT2_EEPKiS8_PKS5_SA_S6_PS5_21rocsparse_index_base_b,comdat
.Lfunc_end177:
	.size	_ZN9rocsparseL19gebsrmvn_1xn_kernelILj128ELj7ELj4E21rocsparse_complex_numIfEEEvi20rocsparse_direction_NS_24const_host_device_scalarIT2_EEPKiS8_PKS5_SA_S6_PS5_21rocsparse_index_base_b, .Lfunc_end177-_ZN9rocsparseL19gebsrmvn_1xn_kernelILj128ELj7ELj4E21rocsparse_complex_numIfEEEvi20rocsparse_direction_NS_24const_host_device_scalarIT2_EEPKiS8_PKS5_SA_S6_PS5_21rocsparse_index_base_b
                                        ; -- End function
	.set _ZN9rocsparseL19gebsrmvn_1xn_kernelILj128ELj7ELj4E21rocsparse_complex_numIfEEEvi20rocsparse_direction_NS_24const_host_device_scalarIT2_EEPKiS8_PKS5_SA_S6_PS5_21rocsparse_index_base_b.num_vgpr, 44
	.set _ZN9rocsparseL19gebsrmvn_1xn_kernelILj128ELj7ELj4E21rocsparse_complex_numIfEEEvi20rocsparse_direction_NS_24const_host_device_scalarIT2_EEPKiS8_PKS5_SA_S6_PS5_21rocsparse_index_base_b.num_agpr, 0
	.set _ZN9rocsparseL19gebsrmvn_1xn_kernelILj128ELj7ELj4E21rocsparse_complex_numIfEEEvi20rocsparse_direction_NS_24const_host_device_scalarIT2_EEPKiS8_PKS5_SA_S6_PS5_21rocsparse_index_base_b.numbered_sgpr, 13
	.set _ZN9rocsparseL19gebsrmvn_1xn_kernelILj128ELj7ELj4E21rocsparse_complex_numIfEEEvi20rocsparse_direction_NS_24const_host_device_scalarIT2_EEPKiS8_PKS5_SA_S6_PS5_21rocsparse_index_base_b.num_named_barrier, 0
	.set _ZN9rocsparseL19gebsrmvn_1xn_kernelILj128ELj7ELj4E21rocsparse_complex_numIfEEEvi20rocsparse_direction_NS_24const_host_device_scalarIT2_EEPKiS8_PKS5_SA_S6_PS5_21rocsparse_index_base_b.private_seg_size, 0
	.set _ZN9rocsparseL19gebsrmvn_1xn_kernelILj128ELj7ELj4E21rocsparse_complex_numIfEEEvi20rocsparse_direction_NS_24const_host_device_scalarIT2_EEPKiS8_PKS5_SA_S6_PS5_21rocsparse_index_base_b.uses_vcc, 1
	.set _ZN9rocsparseL19gebsrmvn_1xn_kernelILj128ELj7ELj4E21rocsparse_complex_numIfEEEvi20rocsparse_direction_NS_24const_host_device_scalarIT2_EEPKiS8_PKS5_SA_S6_PS5_21rocsparse_index_base_b.uses_flat_scratch, 0
	.set _ZN9rocsparseL19gebsrmvn_1xn_kernelILj128ELj7ELj4E21rocsparse_complex_numIfEEEvi20rocsparse_direction_NS_24const_host_device_scalarIT2_EEPKiS8_PKS5_SA_S6_PS5_21rocsparse_index_base_b.has_dyn_sized_stack, 0
	.set _ZN9rocsparseL19gebsrmvn_1xn_kernelILj128ELj7ELj4E21rocsparse_complex_numIfEEEvi20rocsparse_direction_NS_24const_host_device_scalarIT2_EEPKiS8_PKS5_SA_S6_PS5_21rocsparse_index_base_b.has_recursion, 0
	.set _ZN9rocsparseL19gebsrmvn_1xn_kernelILj128ELj7ELj4E21rocsparse_complex_numIfEEEvi20rocsparse_direction_NS_24const_host_device_scalarIT2_EEPKiS8_PKS5_SA_S6_PS5_21rocsparse_index_base_b.has_indirect_call, 0
	.section	.AMDGPU.csdata,"",@progbits
; Kernel info:
; codeLenInByte = 1376
; TotalNumSgprs: 15
; NumVgprs: 44
; ScratchSize: 0
; MemoryBound: 0
; FloatMode: 240
; IeeeMode: 1
; LDSByteSize: 0 bytes/workgroup (compile time only)
; SGPRBlocks: 0
; VGPRBlocks: 5
; NumSGPRsForWavesPerEU: 15
; NumVGPRsForWavesPerEU: 44
; Occupancy: 16
; WaveLimiterHint : 1
; COMPUTE_PGM_RSRC2:SCRATCH_EN: 0
; COMPUTE_PGM_RSRC2:USER_SGPR: 6
; COMPUTE_PGM_RSRC2:TRAP_HANDLER: 0
; COMPUTE_PGM_RSRC2:TGID_X_EN: 1
; COMPUTE_PGM_RSRC2:TGID_Y_EN: 0
; COMPUTE_PGM_RSRC2:TGID_Z_EN: 0
; COMPUTE_PGM_RSRC2:TIDIG_COMP_CNT: 0
	.section	.text._ZN9rocsparseL19gebsrmvn_1xn_kernelILj128ELj7ELj8E21rocsparse_complex_numIfEEEvi20rocsparse_direction_NS_24const_host_device_scalarIT2_EEPKiS8_PKS5_SA_S6_PS5_21rocsparse_index_base_b,"axG",@progbits,_ZN9rocsparseL19gebsrmvn_1xn_kernelILj128ELj7ELj8E21rocsparse_complex_numIfEEEvi20rocsparse_direction_NS_24const_host_device_scalarIT2_EEPKiS8_PKS5_SA_S6_PS5_21rocsparse_index_base_b,comdat
	.globl	_ZN9rocsparseL19gebsrmvn_1xn_kernelILj128ELj7ELj8E21rocsparse_complex_numIfEEEvi20rocsparse_direction_NS_24const_host_device_scalarIT2_EEPKiS8_PKS5_SA_S6_PS5_21rocsparse_index_base_b ; -- Begin function _ZN9rocsparseL19gebsrmvn_1xn_kernelILj128ELj7ELj8E21rocsparse_complex_numIfEEEvi20rocsparse_direction_NS_24const_host_device_scalarIT2_EEPKiS8_PKS5_SA_S6_PS5_21rocsparse_index_base_b
	.p2align	8
	.type	_ZN9rocsparseL19gebsrmvn_1xn_kernelILj128ELj7ELj8E21rocsparse_complex_numIfEEEvi20rocsparse_direction_NS_24const_host_device_scalarIT2_EEPKiS8_PKS5_SA_S6_PS5_21rocsparse_index_base_b,@function
_ZN9rocsparseL19gebsrmvn_1xn_kernelILj128ELj7ELj8E21rocsparse_complex_numIfEEEvi20rocsparse_direction_NS_24const_host_device_scalarIT2_EEPKiS8_PKS5_SA_S6_PS5_21rocsparse_index_base_b: ; @_ZN9rocsparseL19gebsrmvn_1xn_kernelILj128ELj7ELj8E21rocsparse_complex_numIfEEEvi20rocsparse_direction_NS_24const_host_device_scalarIT2_EEPKiS8_PKS5_SA_S6_PS5_21rocsparse_index_base_b
; %bb.0:
	s_clause 0x2
	s_load_dwordx2 s[8:9], s[4:5], 0x40
	s_load_dwordx2 s[0:1], s[4:5], 0x8
	;; [unrolled: 1-line block ×3, first 2 shown]
	s_add_u32 s7, s4, 8
	s_addc_u32 s10, s5, 0
	s_add_u32 s11, s4, 48
	s_addc_u32 s12, s5, 0
	s_waitcnt lgkmcnt(0)
	s_bitcmp1_b32 s9, 0
	s_cselect_b32 s0, s7, s0
	s_cselect_b32 s1, s10, s1
	v_mov_b32_e32 v1, s0
	v_mov_b32_e32 v2, s1
	s_cselect_b32 s0, s11, s2
	s_cselect_b32 s1, s12, s3
	flat_load_dwordx2 v[3:4], v[1:2]
	v_mov_b32_e32 v1, s0
	v_mov_b32_e32 v2, s1
	flat_load_dwordx2 v[1:2], v[1:2]
	s_waitcnt vmcnt(1) lgkmcnt(1)
	v_cmp_eq_f32_e32 vcc_lo, 0, v3
	v_cmp_eq_f32_e64 s0, 0, v4
	s_and_b32 s2, vcc_lo, s0
	s_mov_b32 s0, -1
	s_and_saveexec_b32 s1, s2
	s_cbranch_execz .LBB178_2
; %bb.1:
	s_waitcnt vmcnt(0) lgkmcnt(0)
	v_cmp_neq_f32_e32 vcc_lo, 1.0, v1
	v_cmp_neq_f32_e64 s0, 0, v2
	s_or_b32 s0, vcc_lo, s0
	s_orn2_b32 s0, s0, exec_lo
.LBB178_2:
	s_or_b32 exec_lo, exec_lo, s1
	s_and_saveexec_b32 s1, s0
	s_cbranch_execz .LBB178_13
; %bb.3:
	s_load_dword s0, s[4:5], 0x0
	v_lshrrev_b32_e32 v5, 3, v0
	v_lshl_or_b32 v5, s6, 4, v5
	s_waitcnt lgkmcnt(0)
	v_cmp_gt_i32_e32 vcc_lo, s0, v5
	s_and_b32 exec_lo, exec_lo, vcc_lo
	s_cbranch_execz .LBB178_13
; %bb.4:
	s_clause 0x1
	s_load_dwordx2 s[0:1], s[4:5], 0x10
	s_load_dwordx2 s[6:7], s[4:5], 0x38
	v_ashrrev_i32_e32 v6, 31, v5
	v_and_b32_e32 v0, 7, v0
	v_mov_b32_e32 v13, 0
	v_mov_b32_e32 v15, 0
	s_mov_b32 s9, exec_lo
	v_lshlrev_b64 v[7:8], 2, v[5:6]
	v_subrev_nc_u32_e32 v9, s8, v0
	s_waitcnt lgkmcnt(0)
	v_add_co_u32 v7, vcc_lo, s0, v7
	v_add_co_ci_u32_e64 v8, null, s1, v8, vcc_lo
	global_load_dwordx2 v[7:8], v[7:8], off
	s_waitcnt vmcnt(0)
	v_subrev_nc_u32_e32 v14, s8, v8
	v_add_nc_u32_e32 v7, v7, v9
	v_cmpx_lt_i32_e64 v7, v14
	s_cbranch_execz .LBB178_8
; %bb.5:
	s_clause 0x1
	s_load_dwordx4 s[0:3], s[4:5], 0x18
	s_load_dwordx2 s[4:5], s[4:5], 0x28
	v_mad_u64_u32 v[9:10], null, v7, 7, 6
	v_mov_b32_e32 v12, 0
	v_mov_b32_e32 v13, 0
	;; [unrolled: 1-line block ×3, first 2 shown]
	s_mov_b32 s10, 0
.LBB178_6:                              ; =>This Inner Loop Header: Depth=1
	v_ashrrev_i32_e32 v8, 31, v7
	v_mov_b32_e32 v17, v12
	v_lshlrev_b64 v[10:11], 2, v[7:8]
	v_add_nc_u32_e32 v7, 8, v7
	s_waitcnt lgkmcnt(0)
	v_add_co_u32 v10, vcc_lo, s0, v10
	v_add_co_ci_u32_e64 v11, null, s1, v11, vcc_lo
	global_load_dword v8, v[10:11], off
	v_add_nc_u32_e32 v11, -6, v9
	v_mov_b32_e32 v10, v12
	v_lshlrev_b64 v[18:19], 3, v[11:12]
	v_add_nc_u32_e32 v11, -5, v9
	v_lshlrev_b64 v[20:21], 3, v[9:10]
	v_lshlrev_b64 v[10:11], 3, v[11:12]
	v_add_co_u32 v18, vcc_lo, s2, v18
	v_add_co_ci_u32_e64 v19, null, s3, v19, vcc_lo
	v_add_co_u32 v20, vcc_lo, s2, v20
	v_add_co_ci_u32_e64 v21, null, s3, v21, vcc_lo
	;; [unrolled: 2-line block ×3, first 2 shown]
	s_clause 0x1
	global_load_dwordx2 v[18:19], v[18:19], off
	global_load_dwordx2 v[22:23], v[10:11], off
	s_waitcnt vmcnt(2)
	v_subrev_nc_u32_e32 v8, s8, v8
	v_mul_lo_u32 v16, v8, 7
	v_lshlrev_b64 v[24:25], 3, v[16:17]
	v_add_nc_u32_e32 v11, 1, v16
	v_lshlrev_b64 v[26:27], 3, v[11:12]
	v_add_co_u32 v24, vcc_lo, s4, v24
	v_add_co_ci_u32_e64 v25, null, s5, v25, vcc_lo
	v_add_nc_u32_e32 v11, -4, v9
	v_add_co_u32 v26, vcc_lo, s4, v26
	global_load_dwordx2 v[24:25], v[24:25], off
	v_add_co_ci_u32_e64 v27, null, s5, v27, vcc_lo
	v_lshlrev_b64 v[28:29], 3, v[11:12]
	v_add_nc_u32_e32 v11, 2, v16
	global_load_dwordx2 v[26:27], v[26:27], off
	v_lshlrev_b64 v[30:31], 3, v[11:12]
	v_add_nc_u32_e32 v11, -3, v9
	v_add_co_u32 v28, vcc_lo, s2, v28
	v_add_co_ci_u32_e64 v29, null, s3, v29, vcc_lo
	v_lshlrev_b64 v[32:33], 3, v[11:12]
	v_add_nc_u32_e32 v11, 3, v16
	v_add_co_u32 v30, vcc_lo, s4, v30
	v_add_co_ci_u32_e64 v31, null, s5, v31, vcc_lo
	v_lshlrev_b64 v[34:35], 3, v[11:12]
	v_add_nc_u32_e32 v11, -2, v9
	global_load_dwordx2 v[28:29], v[28:29], off
	global_load_dwordx2 v[30:31], v[30:31], off
	v_add_co_u32 v32, vcc_lo, s2, v32
	v_lshlrev_b64 v[36:37], 3, v[11:12]
	v_add_nc_u32_e32 v11, 4, v16
	v_add_co_ci_u32_e64 v33, null, s3, v33, vcc_lo
	v_add_co_u32 v34, vcc_lo, s4, v34
	v_add_co_ci_u32_e64 v35, null, s5, v35, vcc_lo
	v_lshlrev_b64 v[38:39], 3, v[11:12]
	v_add_nc_u32_e32 v11, -1, v9
	global_load_dwordx2 v[32:33], v[32:33], off
	global_load_dwordx2 v[34:35], v[34:35], off
	v_add_co_u32 v36, vcc_lo, s2, v36
	v_add_co_ci_u32_e64 v37, null, s3, v37, vcc_lo
	v_lshlrev_b64 v[40:41], 3, v[11:12]
	v_add_nc_u32_e32 v11, 5, v16
	v_add_co_u32 v38, vcc_lo, s4, v38
	v_add_co_ci_u32_e64 v39, null, s5, v39, vcc_lo
	v_lshlrev_b64 v[42:43], 3, v[11:12]
	global_load_dwordx2 v[36:37], v[36:37], off
	v_add_nc_u32_e32 v11, 6, v16
	global_load_dwordx2 v[16:17], v[38:39], off
	v_add_co_u32 v38, vcc_lo, s2, v40
	v_add_co_ci_u32_e64 v39, null, s3, v41, vcc_lo
	v_add_co_u32 v40, vcc_lo, s4, v42
	v_add_co_ci_u32_e64 v41, null, s5, v43, vcc_lo
	v_lshlrev_b64 v[10:11], 3, v[11:12]
	global_load_dwordx2 v[38:39], v[38:39], off
	global_load_dwordx2 v[40:41], v[40:41], off
	v_add_nc_u32_e32 v9, 56, v9
	v_add_co_u32 v10, vcc_lo, s4, v10
	v_add_co_ci_u32_e64 v11, null, s5, v11, vcc_lo
	global_load_dwordx2 v[20:21], v[20:21], off
	global_load_dwordx2 v[10:11], v[10:11], off
	v_cmp_ge_i32_e32 vcc_lo, v7, v14
	s_or_b32 s10, vcc_lo, s10
	s_waitcnt vmcnt(11)
	v_fmac_f32_e32 v15, v18, v24
	v_fmac_f32_e32 v13, v19, v24
	v_fma_f32 v8, -v19, v25, v15
	v_fmac_f32_e32 v13, v18, v25
	s_waitcnt vmcnt(10)
	v_fmac_f32_e32 v8, v22, v26
	v_fmac_f32_e32 v13, v23, v26
	v_fma_f32 v8, -v23, v27, v8
	v_fmac_f32_e32 v13, v22, v27
	;; [unrolled: 5-line block ×7, first 2 shown]
	s_andn2_b32 exec_lo, exec_lo, s10
	s_cbranch_execnz .LBB178_6
; %bb.7:
	s_or_b32 exec_lo, exec_lo, s10
.LBB178_8:
	s_or_b32 exec_lo, exec_lo, s9
	v_mbcnt_lo_u32_b32 v7, -1, 0
	v_xor_b32_e32 v8, 4, v7
	v_xor_b32_e32 v10, 2, v7
	;; [unrolled: 1-line block ×3, first 2 shown]
	v_cmp_gt_i32_e32 vcc_lo, 32, v8
	v_cndmask_b32_e32 v8, v7, v8, vcc_lo
	v_cmp_gt_i32_e32 vcc_lo, 32, v10
	v_lshlrev_b32_e32 v8, 2, v8
	v_cndmask_b32_e32 v10, v7, v10, vcc_lo
	v_cmp_gt_i32_e32 vcc_lo, 32, v12
	ds_bpermute_b32 v9, v8, v15
	ds_bpermute_b32 v8, v8, v13
	v_lshlrev_b32_e32 v10, 2, v10
	v_cndmask_b32_e32 v7, v7, v12, vcc_lo
	v_cmp_eq_u32_e32 vcc_lo, 7, v0
	v_lshlrev_b32_e32 v12, 2, v7
	s_waitcnt lgkmcnt(1)
	v_add_f32_e32 v9, v15, v9
	s_waitcnt lgkmcnt(0)
	v_add_f32_e32 v8, v13, v8
	ds_bpermute_b32 v11, v10, v9
	ds_bpermute_b32 v10, v10, v8
	s_waitcnt lgkmcnt(1)
	v_add_f32_e32 v7, v9, v11
	s_waitcnt lgkmcnt(0)
	v_add_f32_e32 v9, v8, v10
	ds_bpermute_b32 v8, v12, v7
	ds_bpermute_b32 v10, v12, v9
	s_and_b32 exec_lo, exec_lo, vcc_lo
	s_cbranch_execz .LBB178_13
; %bb.9:
	s_waitcnt lgkmcnt(0)
	v_add_f32_e32 v0, v9, v10
	v_add_f32_e32 v9, v7, v8
	v_cmp_eq_f32_e32 vcc_lo, 0, v1
	v_cmp_eq_f32_e64 s0, 0, v2
	v_lshlrev_b64 v[5:6], 3, v[5:6]
	v_mul_f32_e64 v7, v0, -v4
	v_mul_f32_e32 v8, v3, v0
	s_and_b32 s0, vcc_lo, s0
	v_fmac_f32_e32 v7, v3, v9
	v_fmac_f32_e32 v8, v4, v9
	s_and_saveexec_b32 s1, s0
	s_xor_b32 s0, exec_lo, s1
	s_cbranch_execz .LBB178_11
; %bb.10:
	v_add_co_u32 v0, vcc_lo, s6, v5
	v_add_co_ci_u32_e64 v1, null, s7, v6, vcc_lo
                                        ; implicit-def: $vgpr5_vgpr6
	global_store_dwordx2 v[0:1], v[7:8], off
                                        ; implicit-def: $vgpr1_vgpr2
                                        ; implicit-def: $vgpr7
.LBB178_11:
	s_andn2_saveexec_b32 s0, s0
	s_cbranch_execz .LBB178_13
; %bb.12:
	v_add_co_u32 v3, vcc_lo, s6, v5
	v_add_co_ci_u32_e64 v4, null, s7, v6, vcc_lo
	global_load_dwordx2 v[5:6], v[3:4], off
	s_waitcnt vmcnt(0)
	v_fmac_f32_e32 v7, v1, v5
	v_fmac_f32_e32 v8, v2, v5
	v_fma_f32 v7, -v2, v6, v7
	v_fmac_f32_e32 v8, v1, v6
	global_store_dwordx2 v[3:4], v[7:8], off
.LBB178_13:
	s_endpgm
	.section	.rodata,"a",@progbits
	.p2align	6, 0x0
	.amdhsa_kernel _ZN9rocsparseL19gebsrmvn_1xn_kernelILj128ELj7ELj8E21rocsparse_complex_numIfEEEvi20rocsparse_direction_NS_24const_host_device_scalarIT2_EEPKiS8_PKS5_SA_S6_PS5_21rocsparse_index_base_b
		.amdhsa_group_segment_fixed_size 0
		.amdhsa_private_segment_fixed_size 0
		.amdhsa_kernarg_size 72
		.amdhsa_user_sgpr_count 6
		.amdhsa_user_sgpr_private_segment_buffer 1
		.amdhsa_user_sgpr_dispatch_ptr 0
		.amdhsa_user_sgpr_queue_ptr 0
		.amdhsa_user_sgpr_kernarg_segment_ptr 1
		.amdhsa_user_sgpr_dispatch_id 0
		.amdhsa_user_sgpr_flat_scratch_init 0
		.amdhsa_user_sgpr_private_segment_size 0
		.amdhsa_wavefront_size32 1
		.amdhsa_uses_dynamic_stack 0
		.amdhsa_system_sgpr_private_segment_wavefront_offset 0
		.amdhsa_system_sgpr_workgroup_id_x 1
		.amdhsa_system_sgpr_workgroup_id_y 0
		.amdhsa_system_sgpr_workgroup_id_z 0
		.amdhsa_system_sgpr_workgroup_info 0
		.amdhsa_system_vgpr_workitem_id 0
		.amdhsa_next_free_vgpr 44
		.amdhsa_next_free_sgpr 13
		.amdhsa_reserve_vcc 1
		.amdhsa_reserve_flat_scratch 0
		.amdhsa_float_round_mode_32 0
		.amdhsa_float_round_mode_16_64 0
		.amdhsa_float_denorm_mode_32 3
		.amdhsa_float_denorm_mode_16_64 3
		.amdhsa_dx10_clamp 1
		.amdhsa_ieee_mode 1
		.amdhsa_fp16_overflow 0
		.amdhsa_workgroup_processor_mode 1
		.amdhsa_memory_ordered 1
		.amdhsa_forward_progress 1
		.amdhsa_shared_vgpr_count 0
		.amdhsa_exception_fp_ieee_invalid_op 0
		.amdhsa_exception_fp_denorm_src 0
		.amdhsa_exception_fp_ieee_div_zero 0
		.amdhsa_exception_fp_ieee_overflow 0
		.amdhsa_exception_fp_ieee_underflow 0
		.amdhsa_exception_fp_ieee_inexact 0
		.amdhsa_exception_int_div_zero 0
	.end_amdhsa_kernel
	.section	.text._ZN9rocsparseL19gebsrmvn_1xn_kernelILj128ELj7ELj8E21rocsparse_complex_numIfEEEvi20rocsparse_direction_NS_24const_host_device_scalarIT2_EEPKiS8_PKS5_SA_S6_PS5_21rocsparse_index_base_b,"axG",@progbits,_ZN9rocsparseL19gebsrmvn_1xn_kernelILj128ELj7ELj8E21rocsparse_complex_numIfEEEvi20rocsparse_direction_NS_24const_host_device_scalarIT2_EEPKiS8_PKS5_SA_S6_PS5_21rocsparse_index_base_b,comdat
.Lfunc_end178:
	.size	_ZN9rocsparseL19gebsrmvn_1xn_kernelILj128ELj7ELj8E21rocsparse_complex_numIfEEEvi20rocsparse_direction_NS_24const_host_device_scalarIT2_EEPKiS8_PKS5_SA_S6_PS5_21rocsparse_index_base_b, .Lfunc_end178-_ZN9rocsparseL19gebsrmvn_1xn_kernelILj128ELj7ELj8E21rocsparse_complex_numIfEEEvi20rocsparse_direction_NS_24const_host_device_scalarIT2_EEPKiS8_PKS5_SA_S6_PS5_21rocsparse_index_base_b
                                        ; -- End function
	.set _ZN9rocsparseL19gebsrmvn_1xn_kernelILj128ELj7ELj8E21rocsparse_complex_numIfEEEvi20rocsparse_direction_NS_24const_host_device_scalarIT2_EEPKiS8_PKS5_SA_S6_PS5_21rocsparse_index_base_b.num_vgpr, 44
	.set _ZN9rocsparseL19gebsrmvn_1xn_kernelILj128ELj7ELj8E21rocsparse_complex_numIfEEEvi20rocsparse_direction_NS_24const_host_device_scalarIT2_EEPKiS8_PKS5_SA_S6_PS5_21rocsparse_index_base_b.num_agpr, 0
	.set _ZN9rocsparseL19gebsrmvn_1xn_kernelILj128ELj7ELj8E21rocsparse_complex_numIfEEEvi20rocsparse_direction_NS_24const_host_device_scalarIT2_EEPKiS8_PKS5_SA_S6_PS5_21rocsparse_index_base_b.numbered_sgpr, 13
	.set _ZN9rocsparseL19gebsrmvn_1xn_kernelILj128ELj7ELj8E21rocsparse_complex_numIfEEEvi20rocsparse_direction_NS_24const_host_device_scalarIT2_EEPKiS8_PKS5_SA_S6_PS5_21rocsparse_index_base_b.num_named_barrier, 0
	.set _ZN9rocsparseL19gebsrmvn_1xn_kernelILj128ELj7ELj8E21rocsparse_complex_numIfEEEvi20rocsparse_direction_NS_24const_host_device_scalarIT2_EEPKiS8_PKS5_SA_S6_PS5_21rocsparse_index_base_b.private_seg_size, 0
	.set _ZN9rocsparseL19gebsrmvn_1xn_kernelILj128ELj7ELj8E21rocsparse_complex_numIfEEEvi20rocsparse_direction_NS_24const_host_device_scalarIT2_EEPKiS8_PKS5_SA_S6_PS5_21rocsparse_index_base_b.uses_vcc, 1
	.set _ZN9rocsparseL19gebsrmvn_1xn_kernelILj128ELj7ELj8E21rocsparse_complex_numIfEEEvi20rocsparse_direction_NS_24const_host_device_scalarIT2_EEPKiS8_PKS5_SA_S6_PS5_21rocsparse_index_base_b.uses_flat_scratch, 0
	.set _ZN9rocsparseL19gebsrmvn_1xn_kernelILj128ELj7ELj8E21rocsparse_complex_numIfEEEvi20rocsparse_direction_NS_24const_host_device_scalarIT2_EEPKiS8_PKS5_SA_S6_PS5_21rocsparse_index_base_b.has_dyn_sized_stack, 0
	.set _ZN9rocsparseL19gebsrmvn_1xn_kernelILj128ELj7ELj8E21rocsparse_complex_numIfEEEvi20rocsparse_direction_NS_24const_host_device_scalarIT2_EEPKiS8_PKS5_SA_S6_PS5_21rocsparse_index_base_b.has_recursion, 0
	.set _ZN9rocsparseL19gebsrmvn_1xn_kernelILj128ELj7ELj8E21rocsparse_complex_numIfEEEvi20rocsparse_direction_NS_24const_host_device_scalarIT2_EEPKiS8_PKS5_SA_S6_PS5_21rocsparse_index_base_b.has_indirect_call, 0
	.section	.AMDGPU.csdata,"",@progbits
; Kernel info:
; codeLenInByte = 1424
; TotalNumSgprs: 15
; NumVgprs: 44
; ScratchSize: 0
; MemoryBound: 0
; FloatMode: 240
; IeeeMode: 1
; LDSByteSize: 0 bytes/workgroup (compile time only)
; SGPRBlocks: 0
; VGPRBlocks: 5
; NumSGPRsForWavesPerEU: 15
; NumVGPRsForWavesPerEU: 44
; Occupancy: 16
; WaveLimiterHint : 1
; COMPUTE_PGM_RSRC2:SCRATCH_EN: 0
; COMPUTE_PGM_RSRC2:USER_SGPR: 6
; COMPUTE_PGM_RSRC2:TRAP_HANDLER: 0
; COMPUTE_PGM_RSRC2:TGID_X_EN: 1
; COMPUTE_PGM_RSRC2:TGID_Y_EN: 0
; COMPUTE_PGM_RSRC2:TGID_Z_EN: 0
; COMPUTE_PGM_RSRC2:TIDIG_COMP_CNT: 0
	.section	.text._ZN9rocsparseL19gebsrmvn_1xn_kernelILj128ELj7ELj16E21rocsparse_complex_numIfEEEvi20rocsparse_direction_NS_24const_host_device_scalarIT2_EEPKiS8_PKS5_SA_S6_PS5_21rocsparse_index_base_b,"axG",@progbits,_ZN9rocsparseL19gebsrmvn_1xn_kernelILj128ELj7ELj16E21rocsparse_complex_numIfEEEvi20rocsparse_direction_NS_24const_host_device_scalarIT2_EEPKiS8_PKS5_SA_S6_PS5_21rocsparse_index_base_b,comdat
	.globl	_ZN9rocsparseL19gebsrmvn_1xn_kernelILj128ELj7ELj16E21rocsparse_complex_numIfEEEvi20rocsparse_direction_NS_24const_host_device_scalarIT2_EEPKiS8_PKS5_SA_S6_PS5_21rocsparse_index_base_b ; -- Begin function _ZN9rocsparseL19gebsrmvn_1xn_kernelILj128ELj7ELj16E21rocsparse_complex_numIfEEEvi20rocsparse_direction_NS_24const_host_device_scalarIT2_EEPKiS8_PKS5_SA_S6_PS5_21rocsparse_index_base_b
	.p2align	8
	.type	_ZN9rocsparseL19gebsrmvn_1xn_kernelILj128ELj7ELj16E21rocsparse_complex_numIfEEEvi20rocsparse_direction_NS_24const_host_device_scalarIT2_EEPKiS8_PKS5_SA_S6_PS5_21rocsparse_index_base_b,@function
_ZN9rocsparseL19gebsrmvn_1xn_kernelILj128ELj7ELj16E21rocsparse_complex_numIfEEEvi20rocsparse_direction_NS_24const_host_device_scalarIT2_EEPKiS8_PKS5_SA_S6_PS5_21rocsparse_index_base_b: ; @_ZN9rocsparseL19gebsrmvn_1xn_kernelILj128ELj7ELj16E21rocsparse_complex_numIfEEEvi20rocsparse_direction_NS_24const_host_device_scalarIT2_EEPKiS8_PKS5_SA_S6_PS5_21rocsparse_index_base_b
; %bb.0:
	s_clause 0x2
	s_load_dwordx2 s[8:9], s[4:5], 0x40
	s_load_dwordx2 s[0:1], s[4:5], 0x8
	;; [unrolled: 1-line block ×3, first 2 shown]
	s_add_u32 s7, s4, 8
	s_addc_u32 s10, s5, 0
	s_add_u32 s11, s4, 48
	s_addc_u32 s12, s5, 0
	s_waitcnt lgkmcnt(0)
	s_bitcmp1_b32 s9, 0
	s_cselect_b32 s0, s7, s0
	s_cselect_b32 s1, s10, s1
	v_mov_b32_e32 v1, s0
	v_mov_b32_e32 v2, s1
	s_cselect_b32 s0, s11, s2
	s_cselect_b32 s1, s12, s3
	flat_load_dwordx2 v[3:4], v[1:2]
	v_mov_b32_e32 v1, s0
	v_mov_b32_e32 v2, s1
	flat_load_dwordx2 v[1:2], v[1:2]
	s_waitcnt vmcnt(1) lgkmcnt(1)
	v_cmp_eq_f32_e32 vcc_lo, 0, v3
	v_cmp_eq_f32_e64 s0, 0, v4
	s_and_b32 s2, vcc_lo, s0
	s_mov_b32 s0, -1
	s_and_saveexec_b32 s1, s2
	s_cbranch_execz .LBB179_2
; %bb.1:
	s_waitcnt vmcnt(0) lgkmcnt(0)
	v_cmp_neq_f32_e32 vcc_lo, 1.0, v1
	v_cmp_neq_f32_e64 s0, 0, v2
	s_or_b32 s0, vcc_lo, s0
	s_orn2_b32 s0, s0, exec_lo
.LBB179_2:
	s_or_b32 exec_lo, exec_lo, s1
	s_and_saveexec_b32 s1, s0
	s_cbranch_execz .LBB179_13
; %bb.3:
	s_load_dword s0, s[4:5], 0x0
	v_lshrrev_b32_e32 v5, 4, v0
	v_lshl_or_b32 v5, s6, 3, v5
	s_waitcnt lgkmcnt(0)
	v_cmp_gt_i32_e32 vcc_lo, s0, v5
	s_and_b32 exec_lo, exec_lo, vcc_lo
	s_cbranch_execz .LBB179_13
; %bb.4:
	s_clause 0x1
	s_load_dwordx2 s[0:1], s[4:5], 0x10
	s_load_dwordx2 s[6:7], s[4:5], 0x38
	v_ashrrev_i32_e32 v6, 31, v5
	v_and_b32_e32 v0, 15, v0
	v_mov_b32_e32 v13, 0
	v_mov_b32_e32 v15, 0
	s_mov_b32 s9, exec_lo
	v_lshlrev_b64 v[7:8], 2, v[5:6]
	v_subrev_nc_u32_e32 v9, s8, v0
	s_waitcnt lgkmcnt(0)
	v_add_co_u32 v7, vcc_lo, s0, v7
	v_add_co_ci_u32_e64 v8, null, s1, v8, vcc_lo
	global_load_dwordx2 v[7:8], v[7:8], off
	s_waitcnt vmcnt(0)
	v_subrev_nc_u32_e32 v14, s8, v8
	v_add_nc_u32_e32 v7, v7, v9
	v_cmpx_lt_i32_e64 v7, v14
	s_cbranch_execz .LBB179_8
; %bb.5:
	s_clause 0x1
	s_load_dwordx4 s[0:3], s[4:5], 0x18
	s_load_dwordx2 s[4:5], s[4:5], 0x28
	v_mad_u64_u32 v[9:10], null, v7, 7, 6
	v_mov_b32_e32 v12, 0
	v_mov_b32_e32 v13, 0
	;; [unrolled: 1-line block ×3, first 2 shown]
	s_mov_b32 s10, 0
.LBB179_6:                              ; =>This Inner Loop Header: Depth=1
	v_ashrrev_i32_e32 v8, 31, v7
	v_mov_b32_e32 v17, v12
	v_lshlrev_b64 v[10:11], 2, v[7:8]
	v_add_nc_u32_e32 v7, 16, v7
	s_waitcnt lgkmcnt(0)
	v_add_co_u32 v10, vcc_lo, s0, v10
	v_add_co_ci_u32_e64 v11, null, s1, v11, vcc_lo
	global_load_dword v8, v[10:11], off
	v_add_nc_u32_e32 v11, -6, v9
	v_mov_b32_e32 v10, v12
	v_lshlrev_b64 v[18:19], 3, v[11:12]
	v_add_nc_u32_e32 v11, -5, v9
	v_lshlrev_b64 v[20:21], 3, v[9:10]
	v_lshlrev_b64 v[10:11], 3, v[11:12]
	v_add_co_u32 v18, vcc_lo, s2, v18
	v_add_co_ci_u32_e64 v19, null, s3, v19, vcc_lo
	v_add_co_u32 v20, vcc_lo, s2, v20
	v_add_co_ci_u32_e64 v21, null, s3, v21, vcc_lo
	;; [unrolled: 2-line block ×3, first 2 shown]
	s_clause 0x1
	global_load_dwordx2 v[18:19], v[18:19], off
	global_load_dwordx2 v[22:23], v[10:11], off
	s_waitcnt vmcnt(2)
	v_subrev_nc_u32_e32 v8, s8, v8
	v_mul_lo_u32 v16, v8, 7
	v_lshlrev_b64 v[24:25], 3, v[16:17]
	v_add_nc_u32_e32 v11, 1, v16
	v_lshlrev_b64 v[26:27], 3, v[11:12]
	v_add_co_u32 v24, vcc_lo, s4, v24
	v_add_co_ci_u32_e64 v25, null, s5, v25, vcc_lo
	v_add_nc_u32_e32 v11, -4, v9
	v_add_co_u32 v26, vcc_lo, s4, v26
	global_load_dwordx2 v[24:25], v[24:25], off
	v_add_co_ci_u32_e64 v27, null, s5, v27, vcc_lo
	v_lshlrev_b64 v[28:29], 3, v[11:12]
	v_add_nc_u32_e32 v11, 2, v16
	global_load_dwordx2 v[26:27], v[26:27], off
	v_lshlrev_b64 v[30:31], 3, v[11:12]
	v_add_nc_u32_e32 v11, -3, v9
	v_add_co_u32 v28, vcc_lo, s2, v28
	v_add_co_ci_u32_e64 v29, null, s3, v29, vcc_lo
	v_lshlrev_b64 v[32:33], 3, v[11:12]
	v_add_nc_u32_e32 v11, 3, v16
	v_add_co_u32 v30, vcc_lo, s4, v30
	v_add_co_ci_u32_e64 v31, null, s5, v31, vcc_lo
	v_lshlrev_b64 v[34:35], 3, v[11:12]
	v_add_nc_u32_e32 v11, -2, v9
	global_load_dwordx2 v[28:29], v[28:29], off
	global_load_dwordx2 v[30:31], v[30:31], off
	v_add_co_u32 v32, vcc_lo, s2, v32
	v_lshlrev_b64 v[36:37], 3, v[11:12]
	v_add_nc_u32_e32 v11, 4, v16
	v_add_co_ci_u32_e64 v33, null, s3, v33, vcc_lo
	v_add_co_u32 v34, vcc_lo, s4, v34
	v_add_co_ci_u32_e64 v35, null, s5, v35, vcc_lo
	v_lshlrev_b64 v[38:39], 3, v[11:12]
	v_add_nc_u32_e32 v11, -1, v9
	global_load_dwordx2 v[32:33], v[32:33], off
	global_load_dwordx2 v[34:35], v[34:35], off
	v_add_co_u32 v36, vcc_lo, s2, v36
	v_add_co_ci_u32_e64 v37, null, s3, v37, vcc_lo
	v_lshlrev_b64 v[40:41], 3, v[11:12]
	v_add_nc_u32_e32 v11, 5, v16
	v_add_co_u32 v38, vcc_lo, s4, v38
	v_add_co_ci_u32_e64 v39, null, s5, v39, vcc_lo
	v_lshlrev_b64 v[42:43], 3, v[11:12]
	global_load_dwordx2 v[36:37], v[36:37], off
	v_add_nc_u32_e32 v11, 6, v16
	global_load_dwordx2 v[16:17], v[38:39], off
	v_add_co_u32 v38, vcc_lo, s2, v40
	v_add_co_ci_u32_e64 v39, null, s3, v41, vcc_lo
	v_add_co_u32 v40, vcc_lo, s4, v42
	v_add_co_ci_u32_e64 v41, null, s5, v43, vcc_lo
	v_lshlrev_b64 v[10:11], 3, v[11:12]
	global_load_dwordx2 v[38:39], v[38:39], off
	global_load_dwordx2 v[40:41], v[40:41], off
	v_add_nc_u32_e32 v9, 0x70, v9
	v_add_co_u32 v10, vcc_lo, s4, v10
	v_add_co_ci_u32_e64 v11, null, s5, v11, vcc_lo
	global_load_dwordx2 v[20:21], v[20:21], off
	global_load_dwordx2 v[10:11], v[10:11], off
	v_cmp_ge_i32_e32 vcc_lo, v7, v14
	s_or_b32 s10, vcc_lo, s10
	s_waitcnt vmcnt(11)
	v_fmac_f32_e32 v15, v18, v24
	v_fmac_f32_e32 v13, v19, v24
	v_fma_f32 v8, -v19, v25, v15
	v_fmac_f32_e32 v13, v18, v25
	s_waitcnt vmcnt(10)
	v_fmac_f32_e32 v8, v22, v26
	v_fmac_f32_e32 v13, v23, v26
	v_fma_f32 v8, -v23, v27, v8
	v_fmac_f32_e32 v13, v22, v27
	;; [unrolled: 5-line block ×7, first 2 shown]
	s_andn2_b32 exec_lo, exec_lo, s10
	s_cbranch_execnz .LBB179_6
; %bb.7:
	s_or_b32 exec_lo, exec_lo, s10
.LBB179_8:
	s_or_b32 exec_lo, exec_lo, s9
	v_mbcnt_lo_u32_b32 v7, -1, 0
	v_xor_b32_e32 v8, 8, v7
	v_xor_b32_e32 v10, 4, v7
	;; [unrolled: 1-line block ×3, first 2 shown]
	v_cmp_gt_i32_e32 vcc_lo, 32, v8
	v_cndmask_b32_e32 v8, v7, v8, vcc_lo
	v_cmp_gt_i32_e32 vcc_lo, 32, v10
	v_lshlrev_b32_e32 v8, 2, v8
	v_cndmask_b32_e32 v10, v7, v10, vcc_lo
	v_cmp_gt_i32_e32 vcc_lo, 32, v12
	ds_bpermute_b32 v9, v8, v15
	ds_bpermute_b32 v8, v8, v13
	v_lshlrev_b32_e32 v10, 2, v10
	v_cndmask_b32_e32 v12, v7, v12, vcc_lo
	v_lshlrev_b32_e32 v12, 2, v12
	s_waitcnt lgkmcnt(1)
	v_add_f32_e32 v9, v15, v9
	s_waitcnt lgkmcnt(0)
	v_add_f32_e32 v8, v13, v8
	ds_bpermute_b32 v11, v10, v9
	ds_bpermute_b32 v10, v10, v8
	s_waitcnt lgkmcnt(1)
	v_add_f32_e32 v9, v9, v11
	s_waitcnt lgkmcnt(0)
	v_add_f32_e32 v8, v8, v10
	ds_bpermute_b32 v10, v12, v9
	ds_bpermute_b32 v11, v12, v8
	v_xor_b32_e32 v12, 1, v7
	v_cmp_gt_i32_e32 vcc_lo, 32, v12
	v_cndmask_b32_e32 v7, v7, v12, vcc_lo
	v_cmp_eq_u32_e32 vcc_lo, 15, v0
	v_lshlrev_b32_e32 v12, 2, v7
	s_waitcnt lgkmcnt(1)
	v_add_f32_e32 v7, v9, v10
	s_waitcnt lgkmcnt(0)
	v_add_f32_e32 v9, v8, v11
	ds_bpermute_b32 v8, v12, v7
	ds_bpermute_b32 v10, v12, v9
	s_and_b32 exec_lo, exec_lo, vcc_lo
	s_cbranch_execz .LBB179_13
; %bb.9:
	s_waitcnt lgkmcnt(0)
	v_add_f32_e32 v0, v9, v10
	v_add_f32_e32 v9, v7, v8
	v_cmp_eq_f32_e32 vcc_lo, 0, v1
	v_cmp_eq_f32_e64 s0, 0, v2
	v_lshlrev_b64 v[5:6], 3, v[5:6]
	v_mul_f32_e64 v7, v0, -v4
	v_mul_f32_e32 v8, v3, v0
	s_and_b32 s0, vcc_lo, s0
	v_fmac_f32_e32 v7, v3, v9
	v_fmac_f32_e32 v8, v4, v9
	s_and_saveexec_b32 s1, s0
	s_xor_b32 s0, exec_lo, s1
	s_cbranch_execz .LBB179_11
; %bb.10:
	v_add_co_u32 v0, vcc_lo, s6, v5
	v_add_co_ci_u32_e64 v1, null, s7, v6, vcc_lo
                                        ; implicit-def: $vgpr5_vgpr6
	global_store_dwordx2 v[0:1], v[7:8], off
                                        ; implicit-def: $vgpr1_vgpr2
                                        ; implicit-def: $vgpr7
.LBB179_11:
	s_andn2_saveexec_b32 s0, s0
	s_cbranch_execz .LBB179_13
; %bb.12:
	v_add_co_u32 v3, vcc_lo, s6, v5
	v_add_co_ci_u32_e64 v4, null, s7, v6, vcc_lo
	global_load_dwordx2 v[5:6], v[3:4], off
	s_waitcnt vmcnt(0)
	v_fmac_f32_e32 v7, v1, v5
	v_fmac_f32_e32 v8, v2, v5
	v_fma_f32 v7, -v2, v6, v7
	v_fmac_f32_e32 v8, v1, v6
	global_store_dwordx2 v[3:4], v[7:8], off
.LBB179_13:
	s_endpgm
	.section	.rodata,"a",@progbits
	.p2align	6, 0x0
	.amdhsa_kernel _ZN9rocsparseL19gebsrmvn_1xn_kernelILj128ELj7ELj16E21rocsparse_complex_numIfEEEvi20rocsparse_direction_NS_24const_host_device_scalarIT2_EEPKiS8_PKS5_SA_S6_PS5_21rocsparse_index_base_b
		.amdhsa_group_segment_fixed_size 0
		.amdhsa_private_segment_fixed_size 0
		.amdhsa_kernarg_size 72
		.amdhsa_user_sgpr_count 6
		.amdhsa_user_sgpr_private_segment_buffer 1
		.amdhsa_user_sgpr_dispatch_ptr 0
		.amdhsa_user_sgpr_queue_ptr 0
		.amdhsa_user_sgpr_kernarg_segment_ptr 1
		.amdhsa_user_sgpr_dispatch_id 0
		.amdhsa_user_sgpr_flat_scratch_init 0
		.amdhsa_user_sgpr_private_segment_size 0
		.amdhsa_wavefront_size32 1
		.amdhsa_uses_dynamic_stack 0
		.amdhsa_system_sgpr_private_segment_wavefront_offset 0
		.amdhsa_system_sgpr_workgroup_id_x 1
		.amdhsa_system_sgpr_workgroup_id_y 0
		.amdhsa_system_sgpr_workgroup_id_z 0
		.amdhsa_system_sgpr_workgroup_info 0
		.amdhsa_system_vgpr_workitem_id 0
		.amdhsa_next_free_vgpr 44
		.amdhsa_next_free_sgpr 13
		.amdhsa_reserve_vcc 1
		.amdhsa_reserve_flat_scratch 0
		.amdhsa_float_round_mode_32 0
		.amdhsa_float_round_mode_16_64 0
		.amdhsa_float_denorm_mode_32 3
		.amdhsa_float_denorm_mode_16_64 3
		.amdhsa_dx10_clamp 1
		.amdhsa_ieee_mode 1
		.amdhsa_fp16_overflow 0
		.amdhsa_workgroup_processor_mode 1
		.amdhsa_memory_ordered 1
		.amdhsa_forward_progress 1
		.amdhsa_shared_vgpr_count 0
		.amdhsa_exception_fp_ieee_invalid_op 0
		.amdhsa_exception_fp_denorm_src 0
		.amdhsa_exception_fp_ieee_div_zero 0
		.amdhsa_exception_fp_ieee_overflow 0
		.amdhsa_exception_fp_ieee_underflow 0
		.amdhsa_exception_fp_ieee_inexact 0
		.amdhsa_exception_int_div_zero 0
	.end_amdhsa_kernel
	.section	.text._ZN9rocsparseL19gebsrmvn_1xn_kernelILj128ELj7ELj16E21rocsparse_complex_numIfEEEvi20rocsparse_direction_NS_24const_host_device_scalarIT2_EEPKiS8_PKS5_SA_S6_PS5_21rocsparse_index_base_b,"axG",@progbits,_ZN9rocsparseL19gebsrmvn_1xn_kernelILj128ELj7ELj16E21rocsparse_complex_numIfEEEvi20rocsparse_direction_NS_24const_host_device_scalarIT2_EEPKiS8_PKS5_SA_S6_PS5_21rocsparse_index_base_b,comdat
.Lfunc_end179:
	.size	_ZN9rocsparseL19gebsrmvn_1xn_kernelILj128ELj7ELj16E21rocsparse_complex_numIfEEEvi20rocsparse_direction_NS_24const_host_device_scalarIT2_EEPKiS8_PKS5_SA_S6_PS5_21rocsparse_index_base_b, .Lfunc_end179-_ZN9rocsparseL19gebsrmvn_1xn_kernelILj128ELj7ELj16E21rocsparse_complex_numIfEEEvi20rocsparse_direction_NS_24const_host_device_scalarIT2_EEPKiS8_PKS5_SA_S6_PS5_21rocsparse_index_base_b
                                        ; -- End function
	.set _ZN9rocsparseL19gebsrmvn_1xn_kernelILj128ELj7ELj16E21rocsparse_complex_numIfEEEvi20rocsparse_direction_NS_24const_host_device_scalarIT2_EEPKiS8_PKS5_SA_S6_PS5_21rocsparse_index_base_b.num_vgpr, 44
	.set _ZN9rocsparseL19gebsrmvn_1xn_kernelILj128ELj7ELj16E21rocsparse_complex_numIfEEEvi20rocsparse_direction_NS_24const_host_device_scalarIT2_EEPKiS8_PKS5_SA_S6_PS5_21rocsparse_index_base_b.num_agpr, 0
	.set _ZN9rocsparseL19gebsrmvn_1xn_kernelILj128ELj7ELj16E21rocsparse_complex_numIfEEEvi20rocsparse_direction_NS_24const_host_device_scalarIT2_EEPKiS8_PKS5_SA_S6_PS5_21rocsparse_index_base_b.numbered_sgpr, 13
	.set _ZN9rocsparseL19gebsrmvn_1xn_kernelILj128ELj7ELj16E21rocsparse_complex_numIfEEEvi20rocsparse_direction_NS_24const_host_device_scalarIT2_EEPKiS8_PKS5_SA_S6_PS5_21rocsparse_index_base_b.num_named_barrier, 0
	.set _ZN9rocsparseL19gebsrmvn_1xn_kernelILj128ELj7ELj16E21rocsparse_complex_numIfEEEvi20rocsparse_direction_NS_24const_host_device_scalarIT2_EEPKiS8_PKS5_SA_S6_PS5_21rocsparse_index_base_b.private_seg_size, 0
	.set _ZN9rocsparseL19gebsrmvn_1xn_kernelILj128ELj7ELj16E21rocsparse_complex_numIfEEEvi20rocsparse_direction_NS_24const_host_device_scalarIT2_EEPKiS8_PKS5_SA_S6_PS5_21rocsparse_index_base_b.uses_vcc, 1
	.set _ZN9rocsparseL19gebsrmvn_1xn_kernelILj128ELj7ELj16E21rocsparse_complex_numIfEEEvi20rocsparse_direction_NS_24const_host_device_scalarIT2_EEPKiS8_PKS5_SA_S6_PS5_21rocsparse_index_base_b.uses_flat_scratch, 0
	.set _ZN9rocsparseL19gebsrmvn_1xn_kernelILj128ELj7ELj16E21rocsparse_complex_numIfEEEvi20rocsparse_direction_NS_24const_host_device_scalarIT2_EEPKiS8_PKS5_SA_S6_PS5_21rocsparse_index_base_b.has_dyn_sized_stack, 0
	.set _ZN9rocsparseL19gebsrmvn_1xn_kernelILj128ELj7ELj16E21rocsparse_complex_numIfEEEvi20rocsparse_direction_NS_24const_host_device_scalarIT2_EEPKiS8_PKS5_SA_S6_PS5_21rocsparse_index_base_b.has_recursion, 0
	.set _ZN9rocsparseL19gebsrmvn_1xn_kernelILj128ELj7ELj16E21rocsparse_complex_numIfEEEvi20rocsparse_direction_NS_24const_host_device_scalarIT2_EEPKiS8_PKS5_SA_S6_PS5_21rocsparse_index_base_b.has_indirect_call, 0
	.section	.AMDGPU.csdata,"",@progbits
; Kernel info:
; codeLenInByte = 1476
; TotalNumSgprs: 15
; NumVgprs: 44
; ScratchSize: 0
; MemoryBound: 0
; FloatMode: 240
; IeeeMode: 1
; LDSByteSize: 0 bytes/workgroup (compile time only)
; SGPRBlocks: 0
; VGPRBlocks: 5
; NumSGPRsForWavesPerEU: 15
; NumVGPRsForWavesPerEU: 44
; Occupancy: 16
; WaveLimiterHint : 1
; COMPUTE_PGM_RSRC2:SCRATCH_EN: 0
; COMPUTE_PGM_RSRC2:USER_SGPR: 6
; COMPUTE_PGM_RSRC2:TRAP_HANDLER: 0
; COMPUTE_PGM_RSRC2:TGID_X_EN: 1
; COMPUTE_PGM_RSRC2:TGID_Y_EN: 0
; COMPUTE_PGM_RSRC2:TGID_Z_EN: 0
; COMPUTE_PGM_RSRC2:TIDIG_COMP_CNT: 0
	.section	.text._ZN9rocsparseL19gebsrmvn_1xn_kernelILj128ELj7ELj32E21rocsparse_complex_numIfEEEvi20rocsparse_direction_NS_24const_host_device_scalarIT2_EEPKiS8_PKS5_SA_S6_PS5_21rocsparse_index_base_b,"axG",@progbits,_ZN9rocsparseL19gebsrmvn_1xn_kernelILj128ELj7ELj32E21rocsparse_complex_numIfEEEvi20rocsparse_direction_NS_24const_host_device_scalarIT2_EEPKiS8_PKS5_SA_S6_PS5_21rocsparse_index_base_b,comdat
	.globl	_ZN9rocsparseL19gebsrmvn_1xn_kernelILj128ELj7ELj32E21rocsparse_complex_numIfEEEvi20rocsparse_direction_NS_24const_host_device_scalarIT2_EEPKiS8_PKS5_SA_S6_PS5_21rocsparse_index_base_b ; -- Begin function _ZN9rocsparseL19gebsrmvn_1xn_kernelILj128ELj7ELj32E21rocsparse_complex_numIfEEEvi20rocsparse_direction_NS_24const_host_device_scalarIT2_EEPKiS8_PKS5_SA_S6_PS5_21rocsparse_index_base_b
	.p2align	8
	.type	_ZN9rocsparseL19gebsrmvn_1xn_kernelILj128ELj7ELj32E21rocsparse_complex_numIfEEEvi20rocsparse_direction_NS_24const_host_device_scalarIT2_EEPKiS8_PKS5_SA_S6_PS5_21rocsparse_index_base_b,@function
_ZN9rocsparseL19gebsrmvn_1xn_kernelILj128ELj7ELj32E21rocsparse_complex_numIfEEEvi20rocsparse_direction_NS_24const_host_device_scalarIT2_EEPKiS8_PKS5_SA_S6_PS5_21rocsparse_index_base_b: ; @_ZN9rocsparseL19gebsrmvn_1xn_kernelILj128ELj7ELj32E21rocsparse_complex_numIfEEEvi20rocsparse_direction_NS_24const_host_device_scalarIT2_EEPKiS8_PKS5_SA_S6_PS5_21rocsparse_index_base_b
; %bb.0:
	s_clause 0x2
	s_load_dwordx2 s[8:9], s[4:5], 0x40
	s_load_dwordx2 s[0:1], s[4:5], 0x8
	;; [unrolled: 1-line block ×3, first 2 shown]
	s_add_u32 s7, s4, 8
	s_addc_u32 s10, s5, 0
	s_add_u32 s11, s4, 48
	s_addc_u32 s12, s5, 0
	s_waitcnt lgkmcnt(0)
	s_bitcmp1_b32 s9, 0
	s_cselect_b32 s0, s7, s0
	s_cselect_b32 s1, s10, s1
	v_mov_b32_e32 v1, s0
	v_mov_b32_e32 v2, s1
	s_cselect_b32 s0, s11, s2
	s_cselect_b32 s1, s12, s3
	flat_load_dwordx2 v[3:4], v[1:2]
	v_mov_b32_e32 v1, s0
	v_mov_b32_e32 v2, s1
	flat_load_dwordx2 v[1:2], v[1:2]
	s_waitcnt vmcnt(1) lgkmcnt(1)
	v_cmp_eq_f32_e32 vcc_lo, 0, v3
	v_cmp_eq_f32_e64 s0, 0, v4
	s_and_b32 s2, vcc_lo, s0
	s_mov_b32 s0, -1
	s_and_saveexec_b32 s1, s2
	s_cbranch_execz .LBB180_2
; %bb.1:
	s_waitcnt vmcnt(0) lgkmcnt(0)
	v_cmp_neq_f32_e32 vcc_lo, 1.0, v1
	v_cmp_neq_f32_e64 s0, 0, v2
	s_or_b32 s0, vcc_lo, s0
	s_orn2_b32 s0, s0, exec_lo
.LBB180_2:
	s_or_b32 exec_lo, exec_lo, s1
	s_and_saveexec_b32 s1, s0
	s_cbranch_execz .LBB180_13
; %bb.3:
	s_load_dword s0, s[4:5], 0x0
	v_lshrrev_b32_e32 v5, 5, v0
	v_lshl_or_b32 v5, s6, 2, v5
	s_waitcnt lgkmcnt(0)
	v_cmp_gt_i32_e32 vcc_lo, s0, v5
	s_and_b32 exec_lo, exec_lo, vcc_lo
	s_cbranch_execz .LBB180_13
; %bb.4:
	s_clause 0x1
	s_load_dwordx2 s[0:1], s[4:5], 0x10
	s_load_dwordx2 s[6:7], s[4:5], 0x38
	v_ashrrev_i32_e32 v6, 31, v5
	v_and_b32_e32 v0, 31, v0
	v_mov_b32_e32 v13, 0
	v_mov_b32_e32 v15, 0
	s_mov_b32 s9, exec_lo
	v_lshlrev_b64 v[7:8], 2, v[5:6]
	v_subrev_nc_u32_e32 v9, s8, v0
	s_waitcnt lgkmcnt(0)
	v_add_co_u32 v7, vcc_lo, s0, v7
	v_add_co_ci_u32_e64 v8, null, s1, v8, vcc_lo
	global_load_dwordx2 v[7:8], v[7:8], off
	s_waitcnt vmcnt(0)
	v_subrev_nc_u32_e32 v14, s8, v8
	v_add_nc_u32_e32 v7, v7, v9
	v_cmpx_lt_i32_e64 v7, v14
	s_cbranch_execz .LBB180_8
; %bb.5:
	s_clause 0x1
	s_load_dwordx4 s[0:3], s[4:5], 0x18
	s_load_dwordx2 s[4:5], s[4:5], 0x28
	v_mad_u64_u32 v[9:10], null, v7, 7, 6
	v_mov_b32_e32 v12, 0
	v_mov_b32_e32 v13, 0
	;; [unrolled: 1-line block ×3, first 2 shown]
	s_mov_b32 s10, 0
.LBB180_6:                              ; =>This Inner Loop Header: Depth=1
	v_ashrrev_i32_e32 v8, 31, v7
	v_mov_b32_e32 v17, v12
	v_lshlrev_b64 v[10:11], 2, v[7:8]
	v_add_nc_u32_e32 v7, 32, v7
	s_waitcnt lgkmcnt(0)
	v_add_co_u32 v10, vcc_lo, s0, v10
	v_add_co_ci_u32_e64 v11, null, s1, v11, vcc_lo
	global_load_dword v8, v[10:11], off
	v_add_nc_u32_e32 v11, -6, v9
	v_mov_b32_e32 v10, v12
	v_lshlrev_b64 v[18:19], 3, v[11:12]
	v_add_nc_u32_e32 v11, -5, v9
	v_lshlrev_b64 v[20:21], 3, v[9:10]
	v_lshlrev_b64 v[10:11], 3, v[11:12]
	v_add_co_u32 v18, vcc_lo, s2, v18
	v_add_co_ci_u32_e64 v19, null, s3, v19, vcc_lo
	v_add_co_u32 v20, vcc_lo, s2, v20
	v_add_co_ci_u32_e64 v21, null, s3, v21, vcc_lo
	;; [unrolled: 2-line block ×3, first 2 shown]
	s_clause 0x1
	global_load_dwordx2 v[18:19], v[18:19], off
	global_load_dwordx2 v[22:23], v[10:11], off
	s_waitcnt vmcnt(2)
	v_subrev_nc_u32_e32 v8, s8, v8
	v_mul_lo_u32 v16, v8, 7
	v_lshlrev_b64 v[24:25], 3, v[16:17]
	v_add_nc_u32_e32 v11, 1, v16
	v_lshlrev_b64 v[26:27], 3, v[11:12]
	v_add_co_u32 v24, vcc_lo, s4, v24
	v_add_co_ci_u32_e64 v25, null, s5, v25, vcc_lo
	v_add_nc_u32_e32 v11, -4, v9
	v_add_co_u32 v26, vcc_lo, s4, v26
	global_load_dwordx2 v[24:25], v[24:25], off
	v_add_co_ci_u32_e64 v27, null, s5, v27, vcc_lo
	v_lshlrev_b64 v[28:29], 3, v[11:12]
	v_add_nc_u32_e32 v11, 2, v16
	global_load_dwordx2 v[26:27], v[26:27], off
	v_lshlrev_b64 v[30:31], 3, v[11:12]
	v_add_nc_u32_e32 v11, -3, v9
	v_add_co_u32 v28, vcc_lo, s2, v28
	v_add_co_ci_u32_e64 v29, null, s3, v29, vcc_lo
	v_lshlrev_b64 v[32:33], 3, v[11:12]
	v_add_nc_u32_e32 v11, 3, v16
	v_add_co_u32 v30, vcc_lo, s4, v30
	v_add_co_ci_u32_e64 v31, null, s5, v31, vcc_lo
	v_lshlrev_b64 v[34:35], 3, v[11:12]
	v_add_nc_u32_e32 v11, -2, v9
	global_load_dwordx2 v[28:29], v[28:29], off
	global_load_dwordx2 v[30:31], v[30:31], off
	v_add_co_u32 v32, vcc_lo, s2, v32
	v_lshlrev_b64 v[36:37], 3, v[11:12]
	v_add_nc_u32_e32 v11, 4, v16
	v_add_co_ci_u32_e64 v33, null, s3, v33, vcc_lo
	v_add_co_u32 v34, vcc_lo, s4, v34
	v_add_co_ci_u32_e64 v35, null, s5, v35, vcc_lo
	v_lshlrev_b64 v[38:39], 3, v[11:12]
	v_add_nc_u32_e32 v11, -1, v9
	global_load_dwordx2 v[32:33], v[32:33], off
	global_load_dwordx2 v[34:35], v[34:35], off
	v_add_co_u32 v36, vcc_lo, s2, v36
	v_add_co_ci_u32_e64 v37, null, s3, v37, vcc_lo
	v_lshlrev_b64 v[40:41], 3, v[11:12]
	v_add_nc_u32_e32 v11, 5, v16
	v_add_co_u32 v38, vcc_lo, s4, v38
	v_add_co_ci_u32_e64 v39, null, s5, v39, vcc_lo
	v_lshlrev_b64 v[42:43], 3, v[11:12]
	global_load_dwordx2 v[36:37], v[36:37], off
	v_add_nc_u32_e32 v11, 6, v16
	global_load_dwordx2 v[16:17], v[38:39], off
	v_add_co_u32 v38, vcc_lo, s2, v40
	v_add_co_ci_u32_e64 v39, null, s3, v41, vcc_lo
	v_add_co_u32 v40, vcc_lo, s4, v42
	v_add_co_ci_u32_e64 v41, null, s5, v43, vcc_lo
	v_lshlrev_b64 v[10:11], 3, v[11:12]
	global_load_dwordx2 v[38:39], v[38:39], off
	global_load_dwordx2 v[40:41], v[40:41], off
	v_add_nc_u32_e32 v9, 0xe0, v9
	v_add_co_u32 v10, vcc_lo, s4, v10
	v_add_co_ci_u32_e64 v11, null, s5, v11, vcc_lo
	global_load_dwordx2 v[20:21], v[20:21], off
	global_load_dwordx2 v[10:11], v[10:11], off
	v_cmp_ge_i32_e32 vcc_lo, v7, v14
	s_or_b32 s10, vcc_lo, s10
	s_waitcnt vmcnt(11)
	v_fmac_f32_e32 v15, v18, v24
	v_fmac_f32_e32 v13, v19, v24
	v_fma_f32 v8, -v19, v25, v15
	v_fmac_f32_e32 v13, v18, v25
	s_waitcnt vmcnt(10)
	v_fmac_f32_e32 v8, v22, v26
	v_fmac_f32_e32 v13, v23, v26
	v_fma_f32 v8, -v23, v27, v8
	v_fmac_f32_e32 v13, v22, v27
	;; [unrolled: 5-line block ×7, first 2 shown]
	s_andn2_b32 exec_lo, exec_lo, s10
	s_cbranch_execnz .LBB180_6
; %bb.7:
	s_or_b32 exec_lo, exec_lo, s10
.LBB180_8:
	s_or_b32 exec_lo, exec_lo, s9
	v_mbcnt_lo_u32_b32 v7, -1, 0
	v_xor_b32_e32 v8, 16, v7
	v_xor_b32_e32 v10, 8, v7
	;; [unrolled: 1-line block ×3, first 2 shown]
	v_cmp_gt_i32_e32 vcc_lo, 32, v8
	v_cndmask_b32_e32 v8, v7, v8, vcc_lo
	v_cmp_gt_i32_e32 vcc_lo, 32, v10
	v_lshlrev_b32_e32 v8, 2, v8
	v_cndmask_b32_e32 v10, v7, v10, vcc_lo
	v_cmp_gt_i32_e32 vcc_lo, 32, v12
	ds_bpermute_b32 v9, v8, v15
	ds_bpermute_b32 v8, v8, v13
	v_lshlrev_b32_e32 v10, 2, v10
	v_cndmask_b32_e32 v12, v7, v12, vcc_lo
	v_lshlrev_b32_e32 v12, 2, v12
	s_waitcnt lgkmcnt(1)
	v_add_f32_e32 v9, v15, v9
	s_waitcnt lgkmcnt(0)
	v_add_f32_e32 v8, v13, v8
	ds_bpermute_b32 v11, v10, v9
	ds_bpermute_b32 v10, v10, v8
	s_waitcnt lgkmcnt(1)
	v_add_f32_e32 v9, v9, v11
	s_waitcnt lgkmcnt(0)
	v_add_f32_e32 v8, v8, v10
	ds_bpermute_b32 v10, v12, v9
	ds_bpermute_b32 v11, v12, v8
	v_xor_b32_e32 v12, 2, v7
	v_cmp_gt_i32_e32 vcc_lo, 32, v12
	v_cndmask_b32_e32 v12, v7, v12, vcc_lo
	v_lshlrev_b32_e32 v12, 2, v12
	s_waitcnt lgkmcnt(1)
	v_add_f32_e32 v9, v9, v10
	s_waitcnt lgkmcnt(0)
	v_add_f32_e32 v8, v8, v11
	ds_bpermute_b32 v10, v12, v9
	ds_bpermute_b32 v11, v12, v8
	v_xor_b32_e32 v12, 1, v7
	v_cmp_gt_i32_e32 vcc_lo, 32, v12
	v_cndmask_b32_e32 v7, v7, v12, vcc_lo
	v_cmp_eq_u32_e32 vcc_lo, 31, v0
	v_lshlrev_b32_e32 v12, 2, v7
	s_waitcnt lgkmcnt(1)
	v_add_f32_e32 v7, v9, v10
	s_waitcnt lgkmcnt(0)
	v_add_f32_e32 v9, v8, v11
	ds_bpermute_b32 v8, v12, v7
	ds_bpermute_b32 v10, v12, v9
	s_and_b32 exec_lo, exec_lo, vcc_lo
	s_cbranch_execz .LBB180_13
; %bb.9:
	s_waitcnt lgkmcnt(0)
	v_add_f32_e32 v0, v9, v10
	v_add_f32_e32 v9, v7, v8
	v_cmp_eq_f32_e32 vcc_lo, 0, v1
	v_cmp_eq_f32_e64 s0, 0, v2
	v_lshlrev_b64 v[5:6], 3, v[5:6]
	v_mul_f32_e64 v7, v0, -v4
	v_mul_f32_e32 v8, v3, v0
	s_and_b32 s0, vcc_lo, s0
	v_fmac_f32_e32 v7, v3, v9
	v_fmac_f32_e32 v8, v4, v9
	s_and_saveexec_b32 s1, s0
	s_xor_b32 s0, exec_lo, s1
	s_cbranch_execz .LBB180_11
; %bb.10:
	v_add_co_u32 v0, vcc_lo, s6, v5
	v_add_co_ci_u32_e64 v1, null, s7, v6, vcc_lo
                                        ; implicit-def: $vgpr5_vgpr6
	global_store_dwordx2 v[0:1], v[7:8], off
                                        ; implicit-def: $vgpr1_vgpr2
                                        ; implicit-def: $vgpr7
.LBB180_11:
	s_andn2_saveexec_b32 s0, s0
	s_cbranch_execz .LBB180_13
; %bb.12:
	v_add_co_u32 v3, vcc_lo, s6, v5
	v_add_co_ci_u32_e64 v4, null, s7, v6, vcc_lo
	global_load_dwordx2 v[5:6], v[3:4], off
	s_waitcnt vmcnt(0)
	v_fmac_f32_e32 v7, v1, v5
	v_fmac_f32_e32 v8, v2, v5
	v_fma_f32 v7, -v2, v6, v7
	v_fmac_f32_e32 v8, v1, v6
	global_store_dwordx2 v[3:4], v[7:8], off
.LBB180_13:
	s_endpgm
	.section	.rodata,"a",@progbits
	.p2align	6, 0x0
	.amdhsa_kernel _ZN9rocsparseL19gebsrmvn_1xn_kernelILj128ELj7ELj32E21rocsparse_complex_numIfEEEvi20rocsparse_direction_NS_24const_host_device_scalarIT2_EEPKiS8_PKS5_SA_S6_PS5_21rocsparse_index_base_b
		.amdhsa_group_segment_fixed_size 0
		.amdhsa_private_segment_fixed_size 0
		.amdhsa_kernarg_size 72
		.amdhsa_user_sgpr_count 6
		.amdhsa_user_sgpr_private_segment_buffer 1
		.amdhsa_user_sgpr_dispatch_ptr 0
		.amdhsa_user_sgpr_queue_ptr 0
		.amdhsa_user_sgpr_kernarg_segment_ptr 1
		.amdhsa_user_sgpr_dispatch_id 0
		.amdhsa_user_sgpr_flat_scratch_init 0
		.amdhsa_user_sgpr_private_segment_size 0
		.amdhsa_wavefront_size32 1
		.amdhsa_uses_dynamic_stack 0
		.amdhsa_system_sgpr_private_segment_wavefront_offset 0
		.amdhsa_system_sgpr_workgroup_id_x 1
		.amdhsa_system_sgpr_workgroup_id_y 0
		.amdhsa_system_sgpr_workgroup_id_z 0
		.amdhsa_system_sgpr_workgroup_info 0
		.amdhsa_system_vgpr_workitem_id 0
		.amdhsa_next_free_vgpr 44
		.amdhsa_next_free_sgpr 13
		.amdhsa_reserve_vcc 1
		.amdhsa_reserve_flat_scratch 0
		.amdhsa_float_round_mode_32 0
		.amdhsa_float_round_mode_16_64 0
		.amdhsa_float_denorm_mode_32 3
		.amdhsa_float_denorm_mode_16_64 3
		.amdhsa_dx10_clamp 1
		.amdhsa_ieee_mode 1
		.amdhsa_fp16_overflow 0
		.amdhsa_workgroup_processor_mode 1
		.amdhsa_memory_ordered 1
		.amdhsa_forward_progress 1
		.amdhsa_shared_vgpr_count 0
		.amdhsa_exception_fp_ieee_invalid_op 0
		.amdhsa_exception_fp_denorm_src 0
		.amdhsa_exception_fp_ieee_div_zero 0
		.amdhsa_exception_fp_ieee_overflow 0
		.amdhsa_exception_fp_ieee_underflow 0
		.amdhsa_exception_fp_ieee_inexact 0
		.amdhsa_exception_int_div_zero 0
	.end_amdhsa_kernel
	.section	.text._ZN9rocsparseL19gebsrmvn_1xn_kernelILj128ELj7ELj32E21rocsparse_complex_numIfEEEvi20rocsparse_direction_NS_24const_host_device_scalarIT2_EEPKiS8_PKS5_SA_S6_PS5_21rocsparse_index_base_b,"axG",@progbits,_ZN9rocsparseL19gebsrmvn_1xn_kernelILj128ELj7ELj32E21rocsparse_complex_numIfEEEvi20rocsparse_direction_NS_24const_host_device_scalarIT2_EEPKiS8_PKS5_SA_S6_PS5_21rocsparse_index_base_b,comdat
.Lfunc_end180:
	.size	_ZN9rocsparseL19gebsrmvn_1xn_kernelILj128ELj7ELj32E21rocsparse_complex_numIfEEEvi20rocsparse_direction_NS_24const_host_device_scalarIT2_EEPKiS8_PKS5_SA_S6_PS5_21rocsparse_index_base_b, .Lfunc_end180-_ZN9rocsparseL19gebsrmvn_1xn_kernelILj128ELj7ELj32E21rocsparse_complex_numIfEEEvi20rocsparse_direction_NS_24const_host_device_scalarIT2_EEPKiS8_PKS5_SA_S6_PS5_21rocsparse_index_base_b
                                        ; -- End function
	.set _ZN9rocsparseL19gebsrmvn_1xn_kernelILj128ELj7ELj32E21rocsparse_complex_numIfEEEvi20rocsparse_direction_NS_24const_host_device_scalarIT2_EEPKiS8_PKS5_SA_S6_PS5_21rocsparse_index_base_b.num_vgpr, 44
	.set _ZN9rocsparseL19gebsrmvn_1xn_kernelILj128ELj7ELj32E21rocsparse_complex_numIfEEEvi20rocsparse_direction_NS_24const_host_device_scalarIT2_EEPKiS8_PKS5_SA_S6_PS5_21rocsparse_index_base_b.num_agpr, 0
	.set _ZN9rocsparseL19gebsrmvn_1xn_kernelILj128ELj7ELj32E21rocsparse_complex_numIfEEEvi20rocsparse_direction_NS_24const_host_device_scalarIT2_EEPKiS8_PKS5_SA_S6_PS5_21rocsparse_index_base_b.numbered_sgpr, 13
	.set _ZN9rocsparseL19gebsrmvn_1xn_kernelILj128ELj7ELj32E21rocsparse_complex_numIfEEEvi20rocsparse_direction_NS_24const_host_device_scalarIT2_EEPKiS8_PKS5_SA_S6_PS5_21rocsparse_index_base_b.num_named_barrier, 0
	.set _ZN9rocsparseL19gebsrmvn_1xn_kernelILj128ELj7ELj32E21rocsparse_complex_numIfEEEvi20rocsparse_direction_NS_24const_host_device_scalarIT2_EEPKiS8_PKS5_SA_S6_PS5_21rocsparse_index_base_b.private_seg_size, 0
	.set _ZN9rocsparseL19gebsrmvn_1xn_kernelILj128ELj7ELj32E21rocsparse_complex_numIfEEEvi20rocsparse_direction_NS_24const_host_device_scalarIT2_EEPKiS8_PKS5_SA_S6_PS5_21rocsparse_index_base_b.uses_vcc, 1
	.set _ZN9rocsparseL19gebsrmvn_1xn_kernelILj128ELj7ELj32E21rocsparse_complex_numIfEEEvi20rocsparse_direction_NS_24const_host_device_scalarIT2_EEPKiS8_PKS5_SA_S6_PS5_21rocsparse_index_base_b.uses_flat_scratch, 0
	.set _ZN9rocsparseL19gebsrmvn_1xn_kernelILj128ELj7ELj32E21rocsparse_complex_numIfEEEvi20rocsparse_direction_NS_24const_host_device_scalarIT2_EEPKiS8_PKS5_SA_S6_PS5_21rocsparse_index_base_b.has_dyn_sized_stack, 0
	.set _ZN9rocsparseL19gebsrmvn_1xn_kernelILj128ELj7ELj32E21rocsparse_complex_numIfEEEvi20rocsparse_direction_NS_24const_host_device_scalarIT2_EEPKiS8_PKS5_SA_S6_PS5_21rocsparse_index_base_b.has_recursion, 0
	.set _ZN9rocsparseL19gebsrmvn_1xn_kernelILj128ELj7ELj32E21rocsparse_complex_numIfEEEvi20rocsparse_direction_NS_24const_host_device_scalarIT2_EEPKiS8_PKS5_SA_S6_PS5_21rocsparse_index_base_b.has_indirect_call, 0
	.section	.AMDGPU.csdata,"",@progbits
; Kernel info:
; codeLenInByte = 1524
; TotalNumSgprs: 15
; NumVgprs: 44
; ScratchSize: 0
; MemoryBound: 0
; FloatMode: 240
; IeeeMode: 1
; LDSByteSize: 0 bytes/workgroup (compile time only)
; SGPRBlocks: 0
; VGPRBlocks: 5
; NumSGPRsForWavesPerEU: 15
; NumVGPRsForWavesPerEU: 44
; Occupancy: 16
; WaveLimiterHint : 1
; COMPUTE_PGM_RSRC2:SCRATCH_EN: 0
; COMPUTE_PGM_RSRC2:USER_SGPR: 6
; COMPUTE_PGM_RSRC2:TRAP_HANDLER: 0
; COMPUTE_PGM_RSRC2:TGID_X_EN: 1
; COMPUTE_PGM_RSRC2:TGID_Y_EN: 0
; COMPUTE_PGM_RSRC2:TGID_Z_EN: 0
; COMPUTE_PGM_RSRC2:TIDIG_COMP_CNT: 0
	.section	.text._ZN9rocsparseL19gebsrmvn_1xn_kernelILj128ELj7ELj64E21rocsparse_complex_numIfEEEvi20rocsparse_direction_NS_24const_host_device_scalarIT2_EEPKiS8_PKS5_SA_S6_PS5_21rocsparse_index_base_b,"axG",@progbits,_ZN9rocsparseL19gebsrmvn_1xn_kernelILj128ELj7ELj64E21rocsparse_complex_numIfEEEvi20rocsparse_direction_NS_24const_host_device_scalarIT2_EEPKiS8_PKS5_SA_S6_PS5_21rocsparse_index_base_b,comdat
	.globl	_ZN9rocsparseL19gebsrmvn_1xn_kernelILj128ELj7ELj64E21rocsparse_complex_numIfEEEvi20rocsparse_direction_NS_24const_host_device_scalarIT2_EEPKiS8_PKS5_SA_S6_PS5_21rocsparse_index_base_b ; -- Begin function _ZN9rocsparseL19gebsrmvn_1xn_kernelILj128ELj7ELj64E21rocsparse_complex_numIfEEEvi20rocsparse_direction_NS_24const_host_device_scalarIT2_EEPKiS8_PKS5_SA_S6_PS5_21rocsparse_index_base_b
	.p2align	8
	.type	_ZN9rocsparseL19gebsrmvn_1xn_kernelILj128ELj7ELj64E21rocsparse_complex_numIfEEEvi20rocsparse_direction_NS_24const_host_device_scalarIT2_EEPKiS8_PKS5_SA_S6_PS5_21rocsparse_index_base_b,@function
_ZN9rocsparseL19gebsrmvn_1xn_kernelILj128ELj7ELj64E21rocsparse_complex_numIfEEEvi20rocsparse_direction_NS_24const_host_device_scalarIT2_EEPKiS8_PKS5_SA_S6_PS5_21rocsparse_index_base_b: ; @_ZN9rocsparseL19gebsrmvn_1xn_kernelILj128ELj7ELj64E21rocsparse_complex_numIfEEEvi20rocsparse_direction_NS_24const_host_device_scalarIT2_EEPKiS8_PKS5_SA_S6_PS5_21rocsparse_index_base_b
; %bb.0:
	s_clause 0x2
	s_load_dwordx2 s[8:9], s[4:5], 0x40
	s_load_dwordx2 s[0:1], s[4:5], 0x8
	;; [unrolled: 1-line block ×3, first 2 shown]
	s_add_u32 s7, s4, 8
	s_addc_u32 s10, s5, 0
	s_add_u32 s11, s4, 48
	s_addc_u32 s12, s5, 0
	s_waitcnt lgkmcnt(0)
	s_bitcmp1_b32 s9, 0
	s_cselect_b32 s0, s7, s0
	s_cselect_b32 s1, s10, s1
	v_mov_b32_e32 v1, s0
	v_mov_b32_e32 v2, s1
	s_cselect_b32 s0, s11, s2
	s_cselect_b32 s1, s12, s3
	flat_load_dwordx2 v[3:4], v[1:2]
	v_mov_b32_e32 v1, s0
	v_mov_b32_e32 v2, s1
	flat_load_dwordx2 v[1:2], v[1:2]
	s_waitcnt vmcnt(1) lgkmcnt(1)
	v_cmp_eq_f32_e32 vcc_lo, 0, v3
	v_cmp_eq_f32_e64 s0, 0, v4
	s_and_b32 s2, vcc_lo, s0
	s_mov_b32 s0, -1
	s_and_saveexec_b32 s1, s2
	s_cbranch_execz .LBB181_2
; %bb.1:
	s_waitcnt vmcnt(0) lgkmcnt(0)
	v_cmp_neq_f32_e32 vcc_lo, 1.0, v1
	v_cmp_neq_f32_e64 s0, 0, v2
	s_or_b32 s0, vcc_lo, s0
	s_orn2_b32 s0, s0, exec_lo
.LBB181_2:
	s_or_b32 exec_lo, exec_lo, s1
	s_and_saveexec_b32 s1, s0
	s_cbranch_execz .LBB181_13
; %bb.3:
	s_load_dword s0, s[4:5], 0x0
	v_lshrrev_b32_e32 v5, 6, v0
	v_lshl_or_b32 v5, s6, 1, v5
	s_waitcnt lgkmcnt(0)
	v_cmp_gt_i32_e32 vcc_lo, s0, v5
	s_and_b32 exec_lo, exec_lo, vcc_lo
	s_cbranch_execz .LBB181_13
; %bb.4:
	s_clause 0x1
	s_load_dwordx2 s[0:1], s[4:5], 0x10
	s_load_dwordx2 s[6:7], s[4:5], 0x38
	v_ashrrev_i32_e32 v6, 31, v5
	v_and_b32_e32 v0, 63, v0
	v_mov_b32_e32 v13, 0
	v_mov_b32_e32 v15, 0
	s_mov_b32 s9, exec_lo
	v_lshlrev_b64 v[7:8], 2, v[5:6]
	v_subrev_nc_u32_e32 v9, s8, v0
	s_waitcnt lgkmcnt(0)
	v_add_co_u32 v7, vcc_lo, s0, v7
	v_add_co_ci_u32_e64 v8, null, s1, v8, vcc_lo
	global_load_dwordx2 v[7:8], v[7:8], off
	s_waitcnt vmcnt(0)
	v_subrev_nc_u32_e32 v14, s8, v8
	v_add_nc_u32_e32 v7, v7, v9
	v_cmpx_lt_i32_e64 v7, v14
	s_cbranch_execz .LBB181_8
; %bb.5:
	s_clause 0x1
	s_load_dwordx4 s[0:3], s[4:5], 0x18
	s_load_dwordx2 s[4:5], s[4:5], 0x28
	v_mad_u64_u32 v[9:10], null, v7, 7, 6
	v_mov_b32_e32 v12, 0
	v_mov_b32_e32 v13, 0
	;; [unrolled: 1-line block ×3, first 2 shown]
	s_mov_b32 s10, 0
.LBB181_6:                              ; =>This Inner Loop Header: Depth=1
	v_ashrrev_i32_e32 v8, 31, v7
	v_mov_b32_e32 v17, v12
	v_lshlrev_b64 v[10:11], 2, v[7:8]
	v_add_nc_u32_e32 v7, 64, v7
	s_waitcnt lgkmcnt(0)
	v_add_co_u32 v10, vcc_lo, s0, v10
	v_add_co_ci_u32_e64 v11, null, s1, v11, vcc_lo
	global_load_dword v8, v[10:11], off
	v_add_nc_u32_e32 v11, -6, v9
	v_mov_b32_e32 v10, v12
	v_lshlrev_b64 v[18:19], 3, v[11:12]
	v_add_nc_u32_e32 v11, -5, v9
	v_lshlrev_b64 v[20:21], 3, v[9:10]
	v_lshlrev_b64 v[10:11], 3, v[11:12]
	v_add_co_u32 v18, vcc_lo, s2, v18
	v_add_co_ci_u32_e64 v19, null, s3, v19, vcc_lo
	v_add_co_u32 v20, vcc_lo, s2, v20
	v_add_co_ci_u32_e64 v21, null, s3, v21, vcc_lo
	;; [unrolled: 2-line block ×3, first 2 shown]
	s_clause 0x1
	global_load_dwordx2 v[18:19], v[18:19], off
	global_load_dwordx2 v[22:23], v[10:11], off
	s_waitcnt vmcnt(2)
	v_subrev_nc_u32_e32 v8, s8, v8
	v_mul_lo_u32 v16, v8, 7
	v_lshlrev_b64 v[24:25], 3, v[16:17]
	v_add_nc_u32_e32 v11, 1, v16
	v_lshlrev_b64 v[26:27], 3, v[11:12]
	v_add_co_u32 v24, vcc_lo, s4, v24
	v_add_co_ci_u32_e64 v25, null, s5, v25, vcc_lo
	v_add_nc_u32_e32 v11, -4, v9
	v_add_co_u32 v26, vcc_lo, s4, v26
	global_load_dwordx2 v[24:25], v[24:25], off
	v_add_co_ci_u32_e64 v27, null, s5, v27, vcc_lo
	v_lshlrev_b64 v[28:29], 3, v[11:12]
	v_add_nc_u32_e32 v11, 2, v16
	global_load_dwordx2 v[26:27], v[26:27], off
	v_lshlrev_b64 v[30:31], 3, v[11:12]
	v_add_nc_u32_e32 v11, -3, v9
	v_add_co_u32 v28, vcc_lo, s2, v28
	v_add_co_ci_u32_e64 v29, null, s3, v29, vcc_lo
	v_lshlrev_b64 v[32:33], 3, v[11:12]
	v_add_nc_u32_e32 v11, 3, v16
	v_add_co_u32 v30, vcc_lo, s4, v30
	v_add_co_ci_u32_e64 v31, null, s5, v31, vcc_lo
	v_lshlrev_b64 v[34:35], 3, v[11:12]
	v_add_nc_u32_e32 v11, -2, v9
	global_load_dwordx2 v[28:29], v[28:29], off
	global_load_dwordx2 v[30:31], v[30:31], off
	v_add_co_u32 v32, vcc_lo, s2, v32
	v_lshlrev_b64 v[36:37], 3, v[11:12]
	v_add_nc_u32_e32 v11, 4, v16
	v_add_co_ci_u32_e64 v33, null, s3, v33, vcc_lo
	v_add_co_u32 v34, vcc_lo, s4, v34
	v_add_co_ci_u32_e64 v35, null, s5, v35, vcc_lo
	v_lshlrev_b64 v[38:39], 3, v[11:12]
	v_add_nc_u32_e32 v11, -1, v9
	global_load_dwordx2 v[32:33], v[32:33], off
	global_load_dwordx2 v[34:35], v[34:35], off
	v_add_co_u32 v36, vcc_lo, s2, v36
	v_add_co_ci_u32_e64 v37, null, s3, v37, vcc_lo
	v_lshlrev_b64 v[40:41], 3, v[11:12]
	v_add_nc_u32_e32 v11, 5, v16
	v_add_co_u32 v38, vcc_lo, s4, v38
	v_add_co_ci_u32_e64 v39, null, s5, v39, vcc_lo
	v_lshlrev_b64 v[42:43], 3, v[11:12]
	global_load_dwordx2 v[36:37], v[36:37], off
	v_add_nc_u32_e32 v11, 6, v16
	global_load_dwordx2 v[16:17], v[38:39], off
	v_add_co_u32 v38, vcc_lo, s2, v40
	v_add_co_ci_u32_e64 v39, null, s3, v41, vcc_lo
	v_add_co_u32 v40, vcc_lo, s4, v42
	v_add_co_ci_u32_e64 v41, null, s5, v43, vcc_lo
	v_lshlrev_b64 v[10:11], 3, v[11:12]
	global_load_dwordx2 v[38:39], v[38:39], off
	global_load_dwordx2 v[40:41], v[40:41], off
	v_add_nc_u32_e32 v9, 0x1c0, v9
	v_add_co_u32 v10, vcc_lo, s4, v10
	v_add_co_ci_u32_e64 v11, null, s5, v11, vcc_lo
	global_load_dwordx2 v[20:21], v[20:21], off
	global_load_dwordx2 v[10:11], v[10:11], off
	v_cmp_ge_i32_e32 vcc_lo, v7, v14
	s_or_b32 s10, vcc_lo, s10
	s_waitcnt vmcnt(11)
	v_fmac_f32_e32 v15, v18, v24
	v_fmac_f32_e32 v13, v19, v24
	v_fma_f32 v8, -v19, v25, v15
	v_fmac_f32_e32 v13, v18, v25
	s_waitcnt vmcnt(10)
	v_fmac_f32_e32 v8, v22, v26
	v_fmac_f32_e32 v13, v23, v26
	v_fma_f32 v8, -v23, v27, v8
	v_fmac_f32_e32 v13, v22, v27
	;; [unrolled: 5-line block ×7, first 2 shown]
	s_andn2_b32 exec_lo, exec_lo, s10
	s_cbranch_execnz .LBB181_6
; %bb.7:
	s_or_b32 exec_lo, exec_lo, s10
.LBB181_8:
	s_or_b32 exec_lo, exec_lo, s9
	v_mbcnt_lo_u32_b32 v7, -1, 0
	v_or_b32_e32 v8, 32, v7
	v_xor_b32_e32 v10, 16, v7
	v_xor_b32_e32 v12, 8, v7
	v_cmp_gt_i32_e32 vcc_lo, 32, v8
	v_cndmask_b32_e32 v8, v7, v8, vcc_lo
	v_cmp_gt_i32_e32 vcc_lo, 32, v10
	v_lshlrev_b32_e32 v8, 2, v8
	v_cndmask_b32_e32 v10, v7, v10, vcc_lo
	v_cmp_gt_i32_e32 vcc_lo, 32, v12
	ds_bpermute_b32 v9, v8, v15
	ds_bpermute_b32 v8, v8, v13
	v_lshlrev_b32_e32 v10, 2, v10
	v_cndmask_b32_e32 v12, v7, v12, vcc_lo
	v_lshlrev_b32_e32 v12, 2, v12
	s_waitcnt lgkmcnt(1)
	v_add_f32_e32 v9, v15, v9
	s_waitcnt lgkmcnt(0)
	v_add_f32_e32 v8, v13, v8
	ds_bpermute_b32 v11, v10, v9
	ds_bpermute_b32 v10, v10, v8
	s_waitcnt lgkmcnt(1)
	v_add_f32_e32 v9, v9, v11
	s_waitcnt lgkmcnt(0)
	v_add_f32_e32 v8, v8, v10
	ds_bpermute_b32 v10, v12, v9
	ds_bpermute_b32 v11, v12, v8
	v_xor_b32_e32 v12, 4, v7
	v_cmp_gt_i32_e32 vcc_lo, 32, v12
	v_cndmask_b32_e32 v12, v7, v12, vcc_lo
	v_lshlrev_b32_e32 v12, 2, v12
	s_waitcnt lgkmcnt(1)
	v_add_f32_e32 v9, v9, v10
	s_waitcnt lgkmcnt(0)
	v_add_f32_e32 v8, v8, v11
	ds_bpermute_b32 v10, v12, v9
	ds_bpermute_b32 v11, v12, v8
	v_xor_b32_e32 v12, 2, v7
	v_cmp_gt_i32_e32 vcc_lo, 32, v12
	v_cndmask_b32_e32 v12, v7, v12, vcc_lo
	v_lshlrev_b32_e32 v12, 2, v12
	s_waitcnt lgkmcnt(1)
	v_add_f32_e32 v9, v9, v10
	s_waitcnt lgkmcnt(0)
	v_add_f32_e32 v8, v8, v11
	ds_bpermute_b32 v10, v12, v9
	ds_bpermute_b32 v11, v12, v8
	v_xor_b32_e32 v12, 1, v7
	v_cmp_gt_i32_e32 vcc_lo, 32, v12
	v_cndmask_b32_e32 v7, v7, v12, vcc_lo
	v_cmp_eq_u32_e32 vcc_lo, 63, v0
	v_lshlrev_b32_e32 v12, 2, v7
	s_waitcnt lgkmcnt(1)
	v_add_f32_e32 v7, v9, v10
	s_waitcnt lgkmcnt(0)
	v_add_f32_e32 v9, v8, v11
	ds_bpermute_b32 v8, v12, v7
	ds_bpermute_b32 v10, v12, v9
	s_and_b32 exec_lo, exec_lo, vcc_lo
	s_cbranch_execz .LBB181_13
; %bb.9:
	s_waitcnt lgkmcnt(0)
	v_add_f32_e32 v0, v9, v10
	v_add_f32_e32 v9, v7, v8
	v_cmp_eq_f32_e32 vcc_lo, 0, v1
	v_cmp_eq_f32_e64 s0, 0, v2
	v_lshlrev_b64 v[5:6], 3, v[5:6]
	v_mul_f32_e64 v7, v0, -v4
	v_mul_f32_e32 v8, v3, v0
	s_and_b32 s0, vcc_lo, s0
	v_fmac_f32_e32 v7, v3, v9
	v_fmac_f32_e32 v8, v4, v9
	s_and_saveexec_b32 s1, s0
	s_xor_b32 s0, exec_lo, s1
	s_cbranch_execz .LBB181_11
; %bb.10:
	v_add_co_u32 v0, vcc_lo, s6, v5
	v_add_co_ci_u32_e64 v1, null, s7, v6, vcc_lo
                                        ; implicit-def: $vgpr5_vgpr6
	global_store_dwordx2 v[0:1], v[7:8], off
                                        ; implicit-def: $vgpr1_vgpr2
                                        ; implicit-def: $vgpr7
.LBB181_11:
	s_andn2_saveexec_b32 s0, s0
	s_cbranch_execz .LBB181_13
; %bb.12:
	v_add_co_u32 v3, vcc_lo, s6, v5
	v_add_co_ci_u32_e64 v4, null, s7, v6, vcc_lo
	global_load_dwordx2 v[5:6], v[3:4], off
	s_waitcnt vmcnt(0)
	v_fmac_f32_e32 v7, v1, v5
	v_fmac_f32_e32 v8, v2, v5
	v_fma_f32 v7, -v2, v6, v7
	v_fmac_f32_e32 v8, v1, v6
	global_store_dwordx2 v[3:4], v[7:8], off
.LBB181_13:
	s_endpgm
	.section	.rodata,"a",@progbits
	.p2align	6, 0x0
	.amdhsa_kernel _ZN9rocsparseL19gebsrmvn_1xn_kernelILj128ELj7ELj64E21rocsparse_complex_numIfEEEvi20rocsparse_direction_NS_24const_host_device_scalarIT2_EEPKiS8_PKS5_SA_S6_PS5_21rocsparse_index_base_b
		.amdhsa_group_segment_fixed_size 0
		.amdhsa_private_segment_fixed_size 0
		.amdhsa_kernarg_size 72
		.amdhsa_user_sgpr_count 6
		.amdhsa_user_sgpr_private_segment_buffer 1
		.amdhsa_user_sgpr_dispatch_ptr 0
		.amdhsa_user_sgpr_queue_ptr 0
		.amdhsa_user_sgpr_kernarg_segment_ptr 1
		.amdhsa_user_sgpr_dispatch_id 0
		.amdhsa_user_sgpr_flat_scratch_init 0
		.amdhsa_user_sgpr_private_segment_size 0
		.amdhsa_wavefront_size32 1
		.amdhsa_uses_dynamic_stack 0
		.amdhsa_system_sgpr_private_segment_wavefront_offset 0
		.amdhsa_system_sgpr_workgroup_id_x 1
		.amdhsa_system_sgpr_workgroup_id_y 0
		.amdhsa_system_sgpr_workgroup_id_z 0
		.amdhsa_system_sgpr_workgroup_info 0
		.amdhsa_system_vgpr_workitem_id 0
		.amdhsa_next_free_vgpr 44
		.amdhsa_next_free_sgpr 13
		.amdhsa_reserve_vcc 1
		.amdhsa_reserve_flat_scratch 0
		.amdhsa_float_round_mode_32 0
		.amdhsa_float_round_mode_16_64 0
		.amdhsa_float_denorm_mode_32 3
		.amdhsa_float_denorm_mode_16_64 3
		.amdhsa_dx10_clamp 1
		.amdhsa_ieee_mode 1
		.amdhsa_fp16_overflow 0
		.amdhsa_workgroup_processor_mode 1
		.amdhsa_memory_ordered 1
		.amdhsa_forward_progress 1
		.amdhsa_shared_vgpr_count 0
		.amdhsa_exception_fp_ieee_invalid_op 0
		.amdhsa_exception_fp_denorm_src 0
		.amdhsa_exception_fp_ieee_div_zero 0
		.amdhsa_exception_fp_ieee_overflow 0
		.amdhsa_exception_fp_ieee_underflow 0
		.amdhsa_exception_fp_ieee_inexact 0
		.amdhsa_exception_int_div_zero 0
	.end_amdhsa_kernel
	.section	.text._ZN9rocsparseL19gebsrmvn_1xn_kernelILj128ELj7ELj64E21rocsparse_complex_numIfEEEvi20rocsparse_direction_NS_24const_host_device_scalarIT2_EEPKiS8_PKS5_SA_S6_PS5_21rocsparse_index_base_b,"axG",@progbits,_ZN9rocsparseL19gebsrmvn_1xn_kernelILj128ELj7ELj64E21rocsparse_complex_numIfEEEvi20rocsparse_direction_NS_24const_host_device_scalarIT2_EEPKiS8_PKS5_SA_S6_PS5_21rocsparse_index_base_b,comdat
.Lfunc_end181:
	.size	_ZN9rocsparseL19gebsrmvn_1xn_kernelILj128ELj7ELj64E21rocsparse_complex_numIfEEEvi20rocsparse_direction_NS_24const_host_device_scalarIT2_EEPKiS8_PKS5_SA_S6_PS5_21rocsparse_index_base_b, .Lfunc_end181-_ZN9rocsparseL19gebsrmvn_1xn_kernelILj128ELj7ELj64E21rocsparse_complex_numIfEEEvi20rocsparse_direction_NS_24const_host_device_scalarIT2_EEPKiS8_PKS5_SA_S6_PS5_21rocsparse_index_base_b
                                        ; -- End function
	.set _ZN9rocsparseL19gebsrmvn_1xn_kernelILj128ELj7ELj64E21rocsparse_complex_numIfEEEvi20rocsparse_direction_NS_24const_host_device_scalarIT2_EEPKiS8_PKS5_SA_S6_PS5_21rocsparse_index_base_b.num_vgpr, 44
	.set _ZN9rocsparseL19gebsrmvn_1xn_kernelILj128ELj7ELj64E21rocsparse_complex_numIfEEEvi20rocsparse_direction_NS_24const_host_device_scalarIT2_EEPKiS8_PKS5_SA_S6_PS5_21rocsparse_index_base_b.num_agpr, 0
	.set _ZN9rocsparseL19gebsrmvn_1xn_kernelILj128ELj7ELj64E21rocsparse_complex_numIfEEEvi20rocsparse_direction_NS_24const_host_device_scalarIT2_EEPKiS8_PKS5_SA_S6_PS5_21rocsparse_index_base_b.numbered_sgpr, 13
	.set _ZN9rocsparseL19gebsrmvn_1xn_kernelILj128ELj7ELj64E21rocsparse_complex_numIfEEEvi20rocsparse_direction_NS_24const_host_device_scalarIT2_EEPKiS8_PKS5_SA_S6_PS5_21rocsparse_index_base_b.num_named_barrier, 0
	.set _ZN9rocsparseL19gebsrmvn_1xn_kernelILj128ELj7ELj64E21rocsparse_complex_numIfEEEvi20rocsparse_direction_NS_24const_host_device_scalarIT2_EEPKiS8_PKS5_SA_S6_PS5_21rocsparse_index_base_b.private_seg_size, 0
	.set _ZN9rocsparseL19gebsrmvn_1xn_kernelILj128ELj7ELj64E21rocsparse_complex_numIfEEEvi20rocsparse_direction_NS_24const_host_device_scalarIT2_EEPKiS8_PKS5_SA_S6_PS5_21rocsparse_index_base_b.uses_vcc, 1
	.set _ZN9rocsparseL19gebsrmvn_1xn_kernelILj128ELj7ELj64E21rocsparse_complex_numIfEEEvi20rocsparse_direction_NS_24const_host_device_scalarIT2_EEPKiS8_PKS5_SA_S6_PS5_21rocsparse_index_base_b.uses_flat_scratch, 0
	.set _ZN9rocsparseL19gebsrmvn_1xn_kernelILj128ELj7ELj64E21rocsparse_complex_numIfEEEvi20rocsparse_direction_NS_24const_host_device_scalarIT2_EEPKiS8_PKS5_SA_S6_PS5_21rocsparse_index_base_b.has_dyn_sized_stack, 0
	.set _ZN9rocsparseL19gebsrmvn_1xn_kernelILj128ELj7ELj64E21rocsparse_complex_numIfEEEvi20rocsparse_direction_NS_24const_host_device_scalarIT2_EEPKiS8_PKS5_SA_S6_PS5_21rocsparse_index_base_b.has_recursion, 0
	.set _ZN9rocsparseL19gebsrmvn_1xn_kernelILj128ELj7ELj64E21rocsparse_complex_numIfEEEvi20rocsparse_direction_NS_24const_host_device_scalarIT2_EEPKiS8_PKS5_SA_S6_PS5_21rocsparse_index_base_b.has_indirect_call, 0
	.section	.AMDGPU.csdata,"",@progbits
; Kernel info:
; codeLenInByte = 1572
; TotalNumSgprs: 15
; NumVgprs: 44
; ScratchSize: 0
; MemoryBound: 0
; FloatMode: 240
; IeeeMode: 1
; LDSByteSize: 0 bytes/workgroup (compile time only)
; SGPRBlocks: 0
; VGPRBlocks: 5
; NumSGPRsForWavesPerEU: 15
; NumVGPRsForWavesPerEU: 44
; Occupancy: 16
; WaveLimiterHint : 1
; COMPUTE_PGM_RSRC2:SCRATCH_EN: 0
; COMPUTE_PGM_RSRC2:USER_SGPR: 6
; COMPUTE_PGM_RSRC2:TRAP_HANDLER: 0
; COMPUTE_PGM_RSRC2:TGID_X_EN: 1
; COMPUTE_PGM_RSRC2:TGID_Y_EN: 0
; COMPUTE_PGM_RSRC2:TGID_Z_EN: 0
; COMPUTE_PGM_RSRC2:TIDIG_COMP_CNT: 0
	.section	.text._ZN9rocsparseL19gebsrmvn_1xn_kernelILj128ELj8ELj4E21rocsparse_complex_numIfEEEvi20rocsparse_direction_NS_24const_host_device_scalarIT2_EEPKiS8_PKS5_SA_S6_PS5_21rocsparse_index_base_b,"axG",@progbits,_ZN9rocsparseL19gebsrmvn_1xn_kernelILj128ELj8ELj4E21rocsparse_complex_numIfEEEvi20rocsparse_direction_NS_24const_host_device_scalarIT2_EEPKiS8_PKS5_SA_S6_PS5_21rocsparse_index_base_b,comdat
	.globl	_ZN9rocsparseL19gebsrmvn_1xn_kernelILj128ELj8ELj4E21rocsparse_complex_numIfEEEvi20rocsparse_direction_NS_24const_host_device_scalarIT2_EEPKiS8_PKS5_SA_S6_PS5_21rocsparse_index_base_b ; -- Begin function _ZN9rocsparseL19gebsrmvn_1xn_kernelILj128ELj8ELj4E21rocsparse_complex_numIfEEEvi20rocsparse_direction_NS_24const_host_device_scalarIT2_EEPKiS8_PKS5_SA_S6_PS5_21rocsparse_index_base_b
	.p2align	8
	.type	_ZN9rocsparseL19gebsrmvn_1xn_kernelILj128ELj8ELj4E21rocsparse_complex_numIfEEEvi20rocsparse_direction_NS_24const_host_device_scalarIT2_EEPKiS8_PKS5_SA_S6_PS5_21rocsparse_index_base_b,@function
_ZN9rocsparseL19gebsrmvn_1xn_kernelILj128ELj8ELj4E21rocsparse_complex_numIfEEEvi20rocsparse_direction_NS_24const_host_device_scalarIT2_EEPKiS8_PKS5_SA_S6_PS5_21rocsparse_index_base_b: ; @_ZN9rocsparseL19gebsrmvn_1xn_kernelILj128ELj8ELj4E21rocsparse_complex_numIfEEEvi20rocsparse_direction_NS_24const_host_device_scalarIT2_EEPKiS8_PKS5_SA_S6_PS5_21rocsparse_index_base_b
; %bb.0:
	s_clause 0x2
	s_load_dwordx2 s[8:9], s[4:5], 0x40
	s_load_dwordx2 s[0:1], s[4:5], 0x8
	;; [unrolled: 1-line block ×3, first 2 shown]
	s_add_u32 s7, s4, 8
	s_addc_u32 s10, s5, 0
	s_add_u32 s11, s4, 48
	s_addc_u32 s12, s5, 0
	s_waitcnt lgkmcnt(0)
	s_bitcmp1_b32 s9, 0
	s_cselect_b32 s0, s7, s0
	s_cselect_b32 s1, s10, s1
	v_mov_b32_e32 v1, s0
	v_mov_b32_e32 v2, s1
	s_cselect_b32 s0, s11, s2
	s_cselect_b32 s1, s12, s3
	flat_load_dwordx2 v[3:4], v[1:2]
	v_mov_b32_e32 v1, s0
	v_mov_b32_e32 v2, s1
	flat_load_dwordx2 v[1:2], v[1:2]
	s_waitcnt vmcnt(1) lgkmcnt(1)
	v_cmp_eq_f32_e32 vcc_lo, 0, v3
	v_cmp_eq_f32_e64 s0, 0, v4
	s_and_b32 s2, vcc_lo, s0
	s_mov_b32 s0, -1
	s_and_saveexec_b32 s1, s2
	s_cbranch_execz .LBB182_2
; %bb.1:
	s_waitcnt vmcnt(0) lgkmcnt(0)
	v_cmp_neq_f32_e32 vcc_lo, 1.0, v1
	v_cmp_neq_f32_e64 s0, 0, v2
	s_or_b32 s0, vcc_lo, s0
	s_orn2_b32 s0, s0, exec_lo
.LBB182_2:
	s_or_b32 exec_lo, exec_lo, s1
	s_and_saveexec_b32 s1, s0
	s_cbranch_execz .LBB182_13
; %bb.3:
	s_load_dword s0, s[4:5], 0x0
	v_lshrrev_b32_e32 v5, 2, v0
	v_lshl_or_b32 v5, s6, 5, v5
	s_waitcnt lgkmcnt(0)
	v_cmp_gt_i32_e32 vcc_lo, s0, v5
	s_and_b32 exec_lo, exec_lo, vcc_lo
	s_cbranch_execz .LBB182_13
; %bb.4:
	s_clause 0x1
	s_load_dwordx2 s[0:1], s[4:5], 0x10
	s_load_dwordx2 s[6:7], s[4:5], 0x38
	v_ashrrev_i32_e32 v6, 31, v5
	v_and_b32_e32 v0, 3, v0
	v_mov_b32_e32 v11, 0
	v_mov_b32_e32 v13, 0
	s_mov_b32 s9, exec_lo
	v_lshlrev_b64 v[7:8], 2, v[5:6]
	v_subrev_nc_u32_e32 v9, s8, v0
	s_waitcnt lgkmcnt(0)
	v_add_co_u32 v7, vcc_lo, s0, v7
	v_add_co_ci_u32_e64 v8, null, s1, v8, vcc_lo
	global_load_dwordx2 v[7:8], v[7:8], off
	s_waitcnt vmcnt(0)
	v_subrev_nc_u32_e32 v12, s8, v8
	v_add_nc_u32_e32 v7, v7, v9
	v_cmpx_lt_i32_e64 v7, v12
	s_cbranch_execz .LBB182_8
; %bb.5:
	s_clause 0x1
	s_load_dwordx4 s[0:3], s[4:5], 0x18
	s_load_dwordx2 s[4:5], s[4:5], 0x28
	v_mov_b32_e32 v10, 0
	v_lshlrev_b32_e32 v9, 3, v7
	s_mov_b32 s10, 0
	v_mov_b32_e32 v11, v10
	v_mov_b32_e32 v13, v10
.LBB182_6:                              ; =>This Inner Loop Header: Depth=1
	v_ashrrev_i32_e32 v8, 31, v7
	v_mov_b32_e32 v17, v10
	v_lshlrev_b64 v[14:15], 2, v[7:8]
	v_add_nc_u32_e32 v7, 4, v7
	s_waitcnt lgkmcnt(0)
	v_add_co_u32 v14, vcc_lo, s0, v14
	v_add_co_ci_u32_e64 v15, null, s1, v15, vcc_lo
	global_load_dword v8, v[14:15], off
	v_lshlrev_b64 v[14:15], 3, v[9:10]
	v_add_nc_u32_e32 v9, 32, v9
	v_add_co_u32 v34, vcc_lo, s2, v14
	v_add_co_ci_u32_e64 v35, null, s3, v15, vcc_lo
	s_waitcnt vmcnt(0)
	v_subrev_nc_u32_e32 v8, s8, v8
	v_lshlrev_b32_e32 v16, 3, v8
	v_lshlrev_b64 v[16:17], 3, v[16:17]
	v_add_co_u32 v42, vcc_lo, s4, v16
	v_add_co_ci_u32_e64 v43, null, s5, v17, vcc_lo
	v_cmp_ge_i32_e32 vcc_lo, v7, v12
	s_clause 0x1
	global_load_dwordx4 v[14:17], v[34:35], off offset:16
	global_load_dwordx4 v[18:21], v[34:35], off
	s_clause 0x1
	global_load_dwordx4 v[22:25], v[42:43], off
	global_load_dwordx4 v[26:29], v[42:43], off offset:16
	s_clause 0x1
	global_load_dwordx4 v[30:33], v[34:35], off offset:48
	global_load_dwordx4 v[34:37], v[34:35], off offset:32
	s_clause 0x1
	global_load_dwordx4 v[38:41], v[42:43], off offset:32
	global_load_dwordx4 v[42:45], v[42:43], off offset:48
	s_or_b32 s10, vcc_lo, s10
	s_waitcnt vmcnt(5)
	v_fmac_f32_e32 v13, v18, v22
	v_fmac_f32_e32 v11, v19, v22
	v_fma_f32 v8, -v19, v23, v13
	v_fmac_f32_e32 v11, v18, v23
	v_fmac_f32_e32 v8, v20, v24
	v_fmac_f32_e32 v11, v21, v24
	v_fma_f32 v8, -v21, v25, v8
	v_fmac_f32_e32 v11, v20, v25
	s_waitcnt vmcnt(4)
	v_fmac_f32_e32 v8, v14, v26
	v_fmac_f32_e32 v11, v15, v26
	v_fma_f32 v8, -v15, v27, v8
	v_fmac_f32_e32 v11, v14, v27
	v_fmac_f32_e32 v8, v16, v28
	v_fmac_f32_e32 v11, v17, v28
	v_fma_f32 v8, -v17, v29, v8
	v_fmac_f32_e32 v11, v16, v29
	;; [unrolled: 9-line block ×4, first 2 shown]
	s_andn2_b32 exec_lo, exec_lo, s10
	s_cbranch_execnz .LBB182_6
; %bb.7:
	s_or_b32 exec_lo, exec_lo, s10
.LBB182_8:
	s_or_b32 exec_lo, exec_lo, s9
	v_mbcnt_lo_u32_b32 v7, -1, 0
	v_xor_b32_e32 v8, 2, v7
	v_xor_b32_e32 v10, 1, v7
	v_cmp_gt_i32_e32 vcc_lo, 32, v8
	v_cndmask_b32_e32 v8, v7, v8, vcc_lo
	v_cmp_gt_i32_e32 vcc_lo, 32, v10
	v_lshlrev_b32_e32 v8, 2, v8
	v_cndmask_b32_e32 v7, v7, v10, vcc_lo
	v_cmp_eq_u32_e32 vcc_lo, 3, v0
	ds_bpermute_b32 v9, v8, v13
	ds_bpermute_b32 v8, v8, v11
	v_lshlrev_b32_e32 v10, 2, v7
	s_waitcnt lgkmcnt(1)
	v_add_f32_e32 v7, v13, v9
	s_waitcnt lgkmcnt(0)
	v_add_f32_e32 v9, v11, v8
	ds_bpermute_b32 v8, v10, v7
	ds_bpermute_b32 v10, v10, v9
	s_and_b32 exec_lo, exec_lo, vcc_lo
	s_cbranch_execz .LBB182_13
; %bb.9:
	s_waitcnt lgkmcnt(0)
	v_add_f32_e32 v0, v9, v10
	v_add_f32_e32 v9, v7, v8
	v_cmp_eq_f32_e32 vcc_lo, 0, v1
	v_cmp_eq_f32_e64 s0, 0, v2
	v_lshlrev_b64 v[5:6], 3, v[5:6]
	v_mul_f32_e64 v7, v0, -v4
	v_mul_f32_e32 v8, v3, v0
	s_and_b32 s0, vcc_lo, s0
	v_fmac_f32_e32 v7, v3, v9
	v_fmac_f32_e32 v8, v4, v9
	s_and_saveexec_b32 s1, s0
	s_xor_b32 s0, exec_lo, s1
	s_cbranch_execz .LBB182_11
; %bb.10:
	v_add_co_u32 v0, vcc_lo, s6, v5
	v_add_co_ci_u32_e64 v1, null, s7, v6, vcc_lo
                                        ; implicit-def: $vgpr5_vgpr6
	global_store_dwordx2 v[0:1], v[7:8], off
                                        ; implicit-def: $vgpr1_vgpr2
                                        ; implicit-def: $vgpr7
.LBB182_11:
	s_andn2_saveexec_b32 s0, s0
	s_cbranch_execz .LBB182_13
; %bb.12:
	v_add_co_u32 v3, vcc_lo, s6, v5
	v_add_co_ci_u32_e64 v4, null, s7, v6, vcc_lo
	global_load_dwordx2 v[5:6], v[3:4], off
	s_waitcnt vmcnt(0)
	v_fmac_f32_e32 v7, v1, v5
	v_fmac_f32_e32 v8, v2, v5
	v_fma_f32 v7, -v2, v6, v7
	v_fmac_f32_e32 v8, v1, v6
	global_store_dwordx2 v[3:4], v[7:8], off
.LBB182_13:
	s_endpgm
	.section	.rodata,"a",@progbits
	.p2align	6, 0x0
	.amdhsa_kernel _ZN9rocsparseL19gebsrmvn_1xn_kernelILj128ELj8ELj4E21rocsparse_complex_numIfEEEvi20rocsparse_direction_NS_24const_host_device_scalarIT2_EEPKiS8_PKS5_SA_S6_PS5_21rocsparse_index_base_b
		.amdhsa_group_segment_fixed_size 0
		.amdhsa_private_segment_fixed_size 0
		.amdhsa_kernarg_size 72
		.amdhsa_user_sgpr_count 6
		.amdhsa_user_sgpr_private_segment_buffer 1
		.amdhsa_user_sgpr_dispatch_ptr 0
		.amdhsa_user_sgpr_queue_ptr 0
		.amdhsa_user_sgpr_kernarg_segment_ptr 1
		.amdhsa_user_sgpr_dispatch_id 0
		.amdhsa_user_sgpr_flat_scratch_init 0
		.amdhsa_user_sgpr_private_segment_size 0
		.amdhsa_wavefront_size32 1
		.amdhsa_uses_dynamic_stack 0
		.amdhsa_system_sgpr_private_segment_wavefront_offset 0
		.amdhsa_system_sgpr_workgroup_id_x 1
		.amdhsa_system_sgpr_workgroup_id_y 0
		.amdhsa_system_sgpr_workgroup_id_z 0
		.amdhsa_system_sgpr_workgroup_info 0
		.amdhsa_system_vgpr_workitem_id 0
		.amdhsa_next_free_vgpr 46
		.amdhsa_next_free_sgpr 13
		.amdhsa_reserve_vcc 1
		.amdhsa_reserve_flat_scratch 0
		.amdhsa_float_round_mode_32 0
		.amdhsa_float_round_mode_16_64 0
		.amdhsa_float_denorm_mode_32 3
		.amdhsa_float_denorm_mode_16_64 3
		.amdhsa_dx10_clamp 1
		.amdhsa_ieee_mode 1
		.amdhsa_fp16_overflow 0
		.amdhsa_workgroup_processor_mode 1
		.amdhsa_memory_ordered 1
		.amdhsa_forward_progress 1
		.amdhsa_shared_vgpr_count 0
		.amdhsa_exception_fp_ieee_invalid_op 0
		.amdhsa_exception_fp_denorm_src 0
		.amdhsa_exception_fp_ieee_div_zero 0
		.amdhsa_exception_fp_ieee_overflow 0
		.amdhsa_exception_fp_ieee_underflow 0
		.amdhsa_exception_fp_ieee_inexact 0
		.amdhsa_exception_int_div_zero 0
	.end_amdhsa_kernel
	.section	.text._ZN9rocsparseL19gebsrmvn_1xn_kernelILj128ELj8ELj4E21rocsparse_complex_numIfEEEvi20rocsparse_direction_NS_24const_host_device_scalarIT2_EEPKiS8_PKS5_SA_S6_PS5_21rocsparse_index_base_b,"axG",@progbits,_ZN9rocsparseL19gebsrmvn_1xn_kernelILj128ELj8ELj4E21rocsparse_complex_numIfEEEvi20rocsparse_direction_NS_24const_host_device_scalarIT2_EEPKiS8_PKS5_SA_S6_PS5_21rocsparse_index_base_b,comdat
.Lfunc_end182:
	.size	_ZN9rocsparseL19gebsrmvn_1xn_kernelILj128ELj8ELj4E21rocsparse_complex_numIfEEEvi20rocsparse_direction_NS_24const_host_device_scalarIT2_EEPKiS8_PKS5_SA_S6_PS5_21rocsparse_index_base_b, .Lfunc_end182-_ZN9rocsparseL19gebsrmvn_1xn_kernelILj128ELj8ELj4E21rocsparse_complex_numIfEEEvi20rocsparse_direction_NS_24const_host_device_scalarIT2_EEPKiS8_PKS5_SA_S6_PS5_21rocsparse_index_base_b
                                        ; -- End function
	.set _ZN9rocsparseL19gebsrmvn_1xn_kernelILj128ELj8ELj4E21rocsparse_complex_numIfEEEvi20rocsparse_direction_NS_24const_host_device_scalarIT2_EEPKiS8_PKS5_SA_S6_PS5_21rocsparse_index_base_b.num_vgpr, 46
	.set _ZN9rocsparseL19gebsrmvn_1xn_kernelILj128ELj8ELj4E21rocsparse_complex_numIfEEEvi20rocsparse_direction_NS_24const_host_device_scalarIT2_EEPKiS8_PKS5_SA_S6_PS5_21rocsparse_index_base_b.num_agpr, 0
	.set _ZN9rocsparseL19gebsrmvn_1xn_kernelILj128ELj8ELj4E21rocsparse_complex_numIfEEEvi20rocsparse_direction_NS_24const_host_device_scalarIT2_EEPKiS8_PKS5_SA_S6_PS5_21rocsparse_index_base_b.numbered_sgpr, 13
	.set _ZN9rocsparseL19gebsrmvn_1xn_kernelILj128ELj8ELj4E21rocsparse_complex_numIfEEEvi20rocsparse_direction_NS_24const_host_device_scalarIT2_EEPKiS8_PKS5_SA_S6_PS5_21rocsparse_index_base_b.num_named_barrier, 0
	.set _ZN9rocsparseL19gebsrmvn_1xn_kernelILj128ELj8ELj4E21rocsparse_complex_numIfEEEvi20rocsparse_direction_NS_24const_host_device_scalarIT2_EEPKiS8_PKS5_SA_S6_PS5_21rocsparse_index_base_b.private_seg_size, 0
	.set _ZN9rocsparseL19gebsrmvn_1xn_kernelILj128ELj8ELj4E21rocsparse_complex_numIfEEEvi20rocsparse_direction_NS_24const_host_device_scalarIT2_EEPKiS8_PKS5_SA_S6_PS5_21rocsparse_index_base_b.uses_vcc, 1
	.set _ZN9rocsparseL19gebsrmvn_1xn_kernelILj128ELj8ELj4E21rocsparse_complex_numIfEEEvi20rocsparse_direction_NS_24const_host_device_scalarIT2_EEPKiS8_PKS5_SA_S6_PS5_21rocsparse_index_base_b.uses_flat_scratch, 0
	.set _ZN9rocsparseL19gebsrmvn_1xn_kernelILj128ELj8ELj4E21rocsparse_complex_numIfEEEvi20rocsparse_direction_NS_24const_host_device_scalarIT2_EEPKiS8_PKS5_SA_S6_PS5_21rocsparse_index_base_b.has_dyn_sized_stack, 0
	.set _ZN9rocsparseL19gebsrmvn_1xn_kernelILj128ELj8ELj4E21rocsparse_complex_numIfEEEvi20rocsparse_direction_NS_24const_host_device_scalarIT2_EEPKiS8_PKS5_SA_S6_PS5_21rocsparse_index_base_b.has_recursion, 0
	.set _ZN9rocsparseL19gebsrmvn_1xn_kernelILj128ELj8ELj4E21rocsparse_complex_numIfEEEvi20rocsparse_direction_NS_24const_host_device_scalarIT2_EEPKiS8_PKS5_SA_S6_PS5_21rocsparse_index_base_b.has_indirect_call, 0
	.section	.AMDGPU.csdata,"",@progbits
; Kernel info:
; codeLenInByte = 1000
; TotalNumSgprs: 15
; NumVgprs: 46
; ScratchSize: 0
; MemoryBound: 0
; FloatMode: 240
; IeeeMode: 1
; LDSByteSize: 0 bytes/workgroup (compile time only)
; SGPRBlocks: 0
; VGPRBlocks: 5
; NumSGPRsForWavesPerEU: 15
; NumVGPRsForWavesPerEU: 46
; Occupancy: 16
; WaveLimiterHint : 1
; COMPUTE_PGM_RSRC2:SCRATCH_EN: 0
; COMPUTE_PGM_RSRC2:USER_SGPR: 6
; COMPUTE_PGM_RSRC2:TRAP_HANDLER: 0
; COMPUTE_PGM_RSRC2:TGID_X_EN: 1
; COMPUTE_PGM_RSRC2:TGID_Y_EN: 0
; COMPUTE_PGM_RSRC2:TGID_Z_EN: 0
; COMPUTE_PGM_RSRC2:TIDIG_COMP_CNT: 0
	.section	.text._ZN9rocsparseL19gebsrmvn_1xn_kernelILj128ELj8ELj8E21rocsparse_complex_numIfEEEvi20rocsparse_direction_NS_24const_host_device_scalarIT2_EEPKiS8_PKS5_SA_S6_PS5_21rocsparse_index_base_b,"axG",@progbits,_ZN9rocsparseL19gebsrmvn_1xn_kernelILj128ELj8ELj8E21rocsparse_complex_numIfEEEvi20rocsparse_direction_NS_24const_host_device_scalarIT2_EEPKiS8_PKS5_SA_S6_PS5_21rocsparse_index_base_b,comdat
	.globl	_ZN9rocsparseL19gebsrmvn_1xn_kernelILj128ELj8ELj8E21rocsparse_complex_numIfEEEvi20rocsparse_direction_NS_24const_host_device_scalarIT2_EEPKiS8_PKS5_SA_S6_PS5_21rocsparse_index_base_b ; -- Begin function _ZN9rocsparseL19gebsrmvn_1xn_kernelILj128ELj8ELj8E21rocsparse_complex_numIfEEEvi20rocsparse_direction_NS_24const_host_device_scalarIT2_EEPKiS8_PKS5_SA_S6_PS5_21rocsparse_index_base_b
	.p2align	8
	.type	_ZN9rocsparseL19gebsrmvn_1xn_kernelILj128ELj8ELj8E21rocsparse_complex_numIfEEEvi20rocsparse_direction_NS_24const_host_device_scalarIT2_EEPKiS8_PKS5_SA_S6_PS5_21rocsparse_index_base_b,@function
_ZN9rocsparseL19gebsrmvn_1xn_kernelILj128ELj8ELj8E21rocsparse_complex_numIfEEEvi20rocsparse_direction_NS_24const_host_device_scalarIT2_EEPKiS8_PKS5_SA_S6_PS5_21rocsparse_index_base_b: ; @_ZN9rocsparseL19gebsrmvn_1xn_kernelILj128ELj8ELj8E21rocsparse_complex_numIfEEEvi20rocsparse_direction_NS_24const_host_device_scalarIT2_EEPKiS8_PKS5_SA_S6_PS5_21rocsparse_index_base_b
; %bb.0:
	s_clause 0x2
	s_load_dwordx2 s[8:9], s[4:5], 0x40
	s_load_dwordx2 s[0:1], s[4:5], 0x8
	;; [unrolled: 1-line block ×3, first 2 shown]
	s_add_u32 s7, s4, 8
	s_addc_u32 s10, s5, 0
	s_add_u32 s11, s4, 48
	s_addc_u32 s12, s5, 0
	s_waitcnt lgkmcnt(0)
	s_bitcmp1_b32 s9, 0
	s_cselect_b32 s0, s7, s0
	s_cselect_b32 s1, s10, s1
	v_mov_b32_e32 v1, s0
	v_mov_b32_e32 v2, s1
	s_cselect_b32 s0, s11, s2
	s_cselect_b32 s1, s12, s3
	flat_load_dwordx2 v[3:4], v[1:2]
	v_mov_b32_e32 v1, s0
	v_mov_b32_e32 v2, s1
	flat_load_dwordx2 v[1:2], v[1:2]
	s_waitcnt vmcnt(1) lgkmcnt(1)
	v_cmp_eq_f32_e32 vcc_lo, 0, v3
	v_cmp_eq_f32_e64 s0, 0, v4
	s_and_b32 s2, vcc_lo, s0
	s_mov_b32 s0, -1
	s_and_saveexec_b32 s1, s2
	s_cbranch_execz .LBB183_2
; %bb.1:
	s_waitcnt vmcnt(0) lgkmcnt(0)
	v_cmp_neq_f32_e32 vcc_lo, 1.0, v1
	v_cmp_neq_f32_e64 s0, 0, v2
	s_or_b32 s0, vcc_lo, s0
	s_orn2_b32 s0, s0, exec_lo
.LBB183_2:
	s_or_b32 exec_lo, exec_lo, s1
	s_and_saveexec_b32 s1, s0
	s_cbranch_execz .LBB183_13
; %bb.3:
	s_load_dword s0, s[4:5], 0x0
	v_lshrrev_b32_e32 v5, 3, v0
	v_lshl_or_b32 v5, s6, 4, v5
	s_waitcnt lgkmcnt(0)
	v_cmp_gt_i32_e32 vcc_lo, s0, v5
	s_and_b32 exec_lo, exec_lo, vcc_lo
	s_cbranch_execz .LBB183_13
; %bb.4:
	s_clause 0x1
	s_load_dwordx2 s[0:1], s[4:5], 0x10
	s_load_dwordx2 s[6:7], s[4:5], 0x38
	v_ashrrev_i32_e32 v6, 31, v5
	v_and_b32_e32 v0, 7, v0
	v_mov_b32_e32 v11, 0
	v_mov_b32_e32 v13, 0
	s_mov_b32 s9, exec_lo
	v_lshlrev_b64 v[7:8], 2, v[5:6]
	v_subrev_nc_u32_e32 v9, s8, v0
	s_waitcnt lgkmcnt(0)
	v_add_co_u32 v7, vcc_lo, s0, v7
	v_add_co_ci_u32_e64 v8, null, s1, v8, vcc_lo
	global_load_dwordx2 v[7:8], v[7:8], off
	s_waitcnt vmcnt(0)
	v_subrev_nc_u32_e32 v12, s8, v8
	v_add_nc_u32_e32 v7, v7, v9
	v_cmpx_lt_i32_e64 v7, v12
	s_cbranch_execz .LBB183_8
; %bb.5:
	s_clause 0x1
	s_load_dwordx4 s[0:3], s[4:5], 0x18
	s_load_dwordx2 s[4:5], s[4:5], 0x28
	v_mov_b32_e32 v10, 0
	v_lshlrev_b32_e32 v9, 3, v7
	s_mov_b32 s10, 0
	v_mov_b32_e32 v11, v10
	v_mov_b32_e32 v13, v10
.LBB183_6:                              ; =>This Inner Loop Header: Depth=1
	v_ashrrev_i32_e32 v8, 31, v7
	v_mov_b32_e32 v17, v10
	v_lshlrev_b64 v[14:15], 2, v[7:8]
	v_add_nc_u32_e32 v7, 8, v7
	s_waitcnt lgkmcnt(0)
	v_add_co_u32 v14, vcc_lo, s0, v14
	v_add_co_ci_u32_e64 v15, null, s1, v15, vcc_lo
	global_load_dword v8, v[14:15], off
	v_lshlrev_b64 v[14:15], 3, v[9:10]
	v_add_nc_u32_e32 v9, 64, v9
	v_add_co_u32 v34, vcc_lo, s2, v14
	v_add_co_ci_u32_e64 v35, null, s3, v15, vcc_lo
	s_waitcnt vmcnt(0)
	v_subrev_nc_u32_e32 v8, s8, v8
	v_lshlrev_b32_e32 v16, 3, v8
	v_lshlrev_b64 v[16:17], 3, v[16:17]
	v_add_co_u32 v42, vcc_lo, s4, v16
	v_add_co_ci_u32_e64 v43, null, s5, v17, vcc_lo
	v_cmp_ge_i32_e32 vcc_lo, v7, v12
	s_clause 0x1
	global_load_dwordx4 v[14:17], v[34:35], off offset:16
	global_load_dwordx4 v[18:21], v[34:35], off
	s_clause 0x1
	global_load_dwordx4 v[22:25], v[42:43], off
	global_load_dwordx4 v[26:29], v[42:43], off offset:16
	s_clause 0x1
	global_load_dwordx4 v[30:33], v[34:35], off offset:48
	global_load_dwordx4 v[34:37], v[34:35], off offset:32
	s_clause 0x1
	global_load_dwordx4 v[38:41], v[42:43], off offset:32
	global_load_dwordx4 v[42:45], v[42:43], off offset:48
	s_or_b32 s10, vcc_lo, s10
	s_waitcnt vmcnt(5)
	v_fmac_f32_e32 v13, v18, v22
	v_fmac_f32_e32 v11, v19, v22
	v_fma_f32 v8, -v19, v23, v13
	v_fmac_f32_e32 v11, v18, v23
	v_fmac_f32_e32 v8, v20, v24
	v_fmac_f32_e32 v11, v21, v24
	v_fma_f32 v8, -v21, v25, v8
	v_fmac_f32_e32 v11, v20, v25
	s_waitcnt vmcnt(4)
	v_fmac_f32_e32 v8, v14, v26
	v_fmac_f32_e32 v11, v15, v26
	v_fma_f32 v8, -v15, v27, v8
	v_fmac_f32_e32 v11, v14, v27
	v_fmac_f32_e32 v8, v16, v28
	v_fmac_f32_e32 v11, v17, v28
	v_fma_f32 v8, -v17, v29, v8
	v_fmac_f32_e32 v11, v16, v29
	;; [unrolled: 9-line block ×4, first 2 shown]
	s_andn2_b32 exec_lo, exec_lo, s10
	s_cbranch_execnz .LBB183_6
; %bb.7:
	s_or_b32 exec_lo, exec_lo, s10
.LBB183_8:
	s_or_b32 exec_lo, exec_lo, s9
	v_mbcnt_lo_u32_b32 v7, -1, 0
	v_xor_b32_e32 v8, 4, v7
	v_xor_b32_e32 v10, 2, v7
	v_xor_b32_e32 v12, 1, v7
	v_cmp_gt_i32_e32 vcc_lo, 32, v8
	v_cndmask_b32_e32 v8, v7, v8, vcc_lo
	v_cmp_gt_i32_e32 vcc_lo, 32, v10
	v_lshlrev_b32_e32 v8, 2, v8
	v_cndmask_b32_e32 v10, v7, v10, vcc_lo
	v_cmp_gt_i32_e32 vcc_lo, 32, v12
	ds_bpermute_b32 v9, v8, v13
	ds_bpermute_b32 v8, v8, v11
	v_lshlrev_b32_e32 v10, 2, v10
	v_cndmask_b32_e32 v7, v7, v12, vcc_lo
	v_cmp_eq_u32_e32 vcc_lo, 7, v0
	v_lshlrev_b32_e32 v12, 2, v7
	s_waitcnt lgkmcnt(1)
	v_add_f32_e32 v9, v13, v9
	s_waitcnt lgkmcnt(0)
	v_add_f32_e32 v8, v11, v8
	ds_bpermute_b32 v11, v10, v9
	ds_bpermute_b32 v10, v10, v8
	s_waitcnt lgkmcnt(1)
	v_add_f32_e32 v7, v9, v11
	s_waitcnt lgkmcnt(0)
	v_add_f32_e32 v9, v8, v10
	ds_bpermute_b32 v8, v12, v7
	ds_bpermute_b32 v10, v12, v9
	s_and_b32 exec_lo, exec_lo, vcc_lo
	s_cbranch_execz .LBB183_13
; %bb.9:
	s_waitcnt lgkmcnt(0)
	v_add_f32_e32 v0, v9, v10
	v_add_f32_e32 v9, v7, v8
	v_cmp_eq_f32_e32 vcc_lo, 0, v1
	v_cmp_eq_f32_e64 s0, 0, v2
	v_lshlrev_b64 v[5:6], 3, v[5:6]
	v_mul_f32_e64 v7, v0, -v4
	v_mul_f32_e32 v8, v3, v0
	s_and_b32 s0, vcc_lo, s0
	v_fmac_f32_e32 v7, v3, v9
	v_fmac_f32_e32 v8, v4, v9
	s_and_saveexec_b32 s1, s0
	s_xor_b32 s0, exec_lo, s1
	s_cbranch_execz .LBB183_11
; %bb.10:
	v_add_co_u32 v0, vcc_lo, s6, v5
	v_add_co_ci_u32_e64 v1, null, s7, v6, vcc_lo
                                        ; implicit-def: $vgpr5_vgpr6
	global_store_dwordx2 v[0:1], v[7:8], off
                                        ; implicit-def: $vgpr1_vgpr2
                                        ; implicit-def: $vgpr7
.LBB183_11:
	s_andn2_saveexec_b32 s0, s0
	s_cbranch_execz .LBB183_13
; %bb.12:
	v_add_co_u32 v3, vcc_lo, s6, v5
	v_add_co_ci_u32_e64 v4, null, s7, v6, vcc_lo
	global_load_dwordx2 v[5:6], v[3:4], off
	s_waitcnt vmcnt(0)
	v_fmac_f32_e32 v7, v1, v5
	v_fmac_f32_e32 v8, v2, v5
	v_fma_f32 v7, -v2, v6, v7
	v_fmac_f32_e32 v8, v1, v6
	global_store_dwordx2 v[3:4], v[7:8], off
.LBB183_13:
	s_endpgm
	.section	.rodata,"a",@progbits
	.p2align	6, 0x0
	.amdhsa_kernel _ZN9rocsparseL19gebsrmvn_1xn_kernelILj128ELj8ELj8E21rocsparse_complex_numIfEEEvi20rocsparse_direction_NS_24const_host_device_scalarIT2_EEPKiS8_PKS5_SA_S6_PS5_21rocsparse_index_base_b
		.amdhsa_group_segment_fixed_size 0
		.amdhsa_private_segment_fixed_size 0
		.amdhsa_kernarg_size 72
		.amdhsa_user_sgpr_count 6
		.amdhsa_user_sgpr_private_segment_buffer 1
		.amdhsa_user_sgpr_dispatch_ptr 0
		.amdhsa_user_sgpr_queue_ptr 0
		.amdhsa_user_sgpr_kernarg_segment_ptr 1
		.amdhsa_user_sgpr_dispatch_id 0
		.amdhsa_user_sgpr_flat_scratch_init 0
		.amdhsa_user_sgpr_private_segment_size 0
		.amdhsa_wavefront_size32 1
		.amdhsa_uses_dynamic_stack 0
		.amdhsa_system_sgpr_private_segment_wavefront_offset 0
		.amdhsa_system_sgpr_workgroup_id_x 1
		.amdhsa_system_sgpr_workgroup_id_y 0
		.amdhsa_system_sgpr_workgroup_id_z 0
		.amdhsa_system_sgpr_workgroup_info 0
		.amdhsa_system_vgpr_workitem_id 0
		.amdhsa_next_free_vgpr 46
		.amdhsa_next_free_sgpr 13
		.amdhsa_reserve_vcc 1
		.amdhsa_reserve_flat_scratch 0
		.amdhsa_float_round_mode_32 0
		.amdhsa_float_round_mode_16_64 0
		.amdhsa_float_denorm_mode_32 3
		.amdhsa_float_denorm_mode_16_64 3
		.amdhsa_dx10_clamp 1
		.amdhsa_ieee_mode 1
		.amdhsa_fp16_overflow 0
		.amdhsa_workgroup_processor_mode 1
		.amdhsa_memory_ordered 1
		.amdhsa_forward_progress 1
		.amdhsa_shared_vgpr_count 0
		.amdhsa_exception_fp_ieee_invalid_op 0
		.amdhsa_exception_fp_denorm_src 0
		.amdhsa_exception_fp_ieee_div_zero 0
		.amdhsa_exception_fp_ieee_overflow 0
		.amdhsa_exception_fp_ieee_underflow 0
		.amdhsa_exception_fp_ieee_inexact 0
		.amdhsa_exception_int_div_zero 0
	.end_amdhsa_kernel
	.section	.text._ZN9rocsparseL19gebsrmvn_1xn_kernelILj128ELj8ELj8E21rocsparse_complex_numIfEEEvi20rocsparse_direction_NS_24const_host_device_scalarIT2_EEPKiS8_PKS5_SA_S6_PS5_21rocsparse_index_base_b,"axG",@progbits,_ZN9rocsparseL19gebsrmvn_1xn_kernelILj128ELj8ELj8E21rocsparse_complex_numIfEEEvi20rocsparse_direction_NS_24const_host_device_scalarIT2_EEPKiS8_PKS5_SA_S6_PS5_21rocsparse_index_base_b,comdat
.Lfunc_end183:
	.size	_ZN9rocsparseL19gebsrmvn_1xn_kernelILj128ELj8ELj8E21rocsparse_complex_numIfEEEvi20rocsparse_direction_NS_24const_host_device_scalarIT2_EEPKiS8_PKS5_SA_S6_PS5_21rocsparse_index_base_b, .Lfunc_end183-_ZN9rocsparseL19gebsrmvn_1xn_kernelILj128ELj8ELj8E21rocsparse_complex_numIfEEEvi20rocsparse_direction_NS_24const_host_device_scalarIT2_EEPKiS8_PKS5_SA_S6_PS5_21rocsparse_index_base_b
                                        ; -- End function
	.set _ZN9rocsparseL19gebsrmvn_1xn_kernelILj128ELj8ELj8E21rocsparse_complex_numIfEEEvi20rocsparse_direction_NS_24const_host_device_scalarIT2_EEPKiS8_PKS5_SA_S6_PS5_21rocsparse_index_base_b.num_vgpr, 46
	.set _ZN9rocsparseL19gebsrmvn_1xn_kernelILj128ELj8ELj8E21rocsparse_complex_numIfEEEvi20rocsparse_direction_NS_24const_host_device_scalarIT2_EEPKiS8_PKS5_SA_S6_PS5_21rocsparse_index_base_b.num_agpr, 0
	.set _ZN9rocsparseL19gebsrmvn_1xn_kernelILj128ELj8ELj8E21rocsparse_complex_numIfEEEvi20rocsparse_direction_NS_24const_host_device_scalarIT2_EEPKiS8_PKS5_SA_S6_PS5_21rocsparse_index_base_b.numbered_sgpr, 13
	.set _ZN9rocsparseL19gebsrmvn_1xn_kernelILj128ELj8ELj8E21rocsparse_complex_numIfEEEvi20rocsparse_direction_NS_24const_host_device_scalarIT2_EEPKiS8_PKS5_SA_S6_PS5_21rocsparse_index_base_b.num_named_barrier, 0
	.set _ZN9rocsparseL19gebsrmvn_1xn_kernelILj128ELj8ELj8E21rocsparse_complex_numIfEEEvi20rocsparse_direction_NS_24const_host_device_scalarIT2_EEPKiS8_PKS5_SA_S6_PS5_21rocsparse_index_base_b.private_seg_size, 0
	.set _ZN9rocsparseL19gebsrmvn_1xn_kernelILj128ELj8ELj8E21rocsparse_complex_numIfEEEvi20rocsparse_direction_NS_24const_host_device_scalarIT2_EEPKiS8_PKS5_SA_S6_PS5_21rocsparse_index_base_b.uses_vcc, 1
	.set _ZN9rocsparseL19gebsrmvn_1xn_kernelILj128ELj8ELj8E21rocsparse_complex_numIfEEEvi20rocsparse_direction_NS_24const_host_device_scalarIT2_EEPKiS8_PKS5_SA_S6_PS5_21rocsparse_index_base_b.uses_flat_scratch, 0
	.set _ZN9rocsparseL19gebsrmvn_1xn_kernelILj128ELj8ELj8E21rocsparse_complex_numIfEEEvi20rocsparse_direction_NS_24const_host_device_scalarIT2_EEPKiS8_PKS5_SA_S6_PS5_21rocsparse_index_base_b.has_dyn_sized_stack, 0
	.set _ZN9rocsparseL19gebsrmvn_1xn_kernelILj128ELj8ELj8E21rocsparse_complex_numIfEEEvi20rocsparse_direction_NS_24const_host_device_scalarIT2_EEPKiS8_PKS5_SA_S6_PS5_21rocsparse_index_base_b.has_recursion, 0
	.set _ZN9rocsparseL19gebsrmvn_1xn_kernelILj128ELj8ELj8E21rocsparse_complex_numIfEEEvi20rocsparse_direction_NS_24const_host_device_scalarIT2_EEPKiS8_PKS5_SA_S6_PS5_21rocsparse_index_base_b.has_indirect_call, 0
	.section	.AMDGPU.csdata,"",@progbits
; Kernel info:
; codeLenInByte = 1048
; TotalNumSgprs: 15
; NumVgprs: 46
; ScratchSize: 0
; MemoryBound: 0
; FloatMode: 240
; IeeeMode: 1
; LDSByteSize: 0 bytes/workgroup (compile time only)
; SGPRBlocks: 0
; VGPRBlocks: 5
; NumSGPRsForWavesPerEU: 15
; NumVGPRsForWavesPerEU: 46
; Occupancy: 16
; WaveLimiterHint : 1
; COMPUTE_PGM_RSRC2:SCRATCH_EN: 0
; COMPUTE_PGM_RSRC2:USER_SGPR: 6
; COMPUTE_PGM_RSRC2:TRAP_HANDLER: 0
; COMPUTE_PGM_RSRC2:TGID_X_EN: 1
; COMPUTE_PGM_RSRC2:TGID_Y_EN: 0
; COMPUTE_PGM_RSRC2:TGID_Z_EN: 0
; COMPUTE_PGM_RSRC2:TIDIG_COMP_CNT: 0
	.section	.text._ZN9rocsparseL19gebsrmvn_1xn_kernelILj128ELj8ELj16E21rocsparse_complex_numIfEEEvi20rocsparse_direction_NS_24const_host_device_scalarIT2_EEPKiS8_PKS5_SA_S6_PS5_21rocsparse_index_base_b,"axG",@progbits,_ZN9rocsparseL19gebsrmvn_1xn_kernelILj128ELj8ELj16E21rocsparse_complex_numIfEEEvi20rocsparse_direction_NS_24const_host_device_scalarIT2_EEPKiS8_PKS5_SA_S6_PS5_21rocsparse_index_base_b,comdat
	.globl	_ZN9rocsparseL19gebsrmvn_1xn_kernelILj128ELj8ELj16E21rocsparse_complex_numIfEEEvi20rocsparse_direction_NS_24const_host_device_scalarIT2_EEPKiS8_PKS5_SA_S6_PS5_21rocsparse_index_base_b ; -- Begin function _ZN9rocsparseL19gebsrmvn_1xn_kernelILj128ELj8ELj16E21rocsparse_complex_numIfEEEvi20rocsparse_direction_NS_24const_host_device_scalarIT2_EEPKiS8_PKS5_SA_S6_PS5_21rocsparse_index_base_b
	.p2align	8
	.type	_ZN9rocsparseL19gebsrmvn_1xn_kernelILj128ELj8ELj16E21rocsparse_complex_numIfEEEvi20rocsparse_direction_NS_24const_host_device_scalarIT2_EEPKiS8_PKS5_SA_S6_PS5_21rocsparse_index_base_b,@function
_ZN9rocsparseL19gebsrmvn_1xn_kernelILj128ELj8ELj16E21rocsparse_complex_numIfEEEvi20rocsparse_direction_NS_24const_host_device_scalarIT2_EEPKiS8_PKS5_SA_S6_PS5_21rocsparse_index_base_b: ; @_ZN9rocsparseL19gebsrmvn_1xn_kernelILj128ELj8ELj16E21rocsparse_complex_numIfEEEvi20rocsparse_direction_NS_24const_host_device_scalarIT2_EEPKiS8_PKS5_SA_S6_PS5_21rocsparse_index_base_b
; %bb.0:
	s_clause 0x2
	s_load_dwordx2 s[8:9], s[4:5], 0x40
	s_load_dwordx2 s[0:1], s[4:5], 0x8
	;; [unrolled: 1-line block ×3, first 2 shown]
	s_add_u32 s7, s4, 8
	s_addc_u32 s10, s5, 0
	s_add_u32 s11, s4, 48
	s_addc_u32 s12, s5, 0
	s_waitcnt lgkmcnt(0)
	s_bitcmp1_b32 s9, 0
	s_cselect_b32 s0, s7, s0
	s_cselect_b32 s1, s10, s1
	v_mov_b32_e32 v1, s0
	v_mov_b32_e32 v2, s1
	s_cselect_b32 s0, s11, s2
	s_cselect_b32 s1, s12, s3
	flat_load_dwordx2 v[3:4], v[1:2]
	v_mov_b32_e32 v1, s0
	v_mov_b32_e32 v2, s1
	flat_load_dwordx2 v[1:2], v[1:2]
	s_waitcnt vmcnt(1) lgkmcnt(1)
	v_cmp_eq_f32_e32 vcc_lo, 0, v3
	v_cmp_eq_f32_e64 s0, 0, v4
	s_and_b32 s2, vcc_lo, s0
	s_mov_b32 s0, -1
	s_and_saveexec_b32 s1, s2
	s_cbranch_execz .LBB184_2
; %bb.1:
	s_waitcnt vmcnt(0) lgkmcnt(0)
	v_cmp_neq_f32_e32 vcc_lo, 1.0, v1
	v_cmp_neq_f32_e64 s0, 0, v2
	s_or_b32 s0, vcc_lo, s0
	s_orn2_b32 s0, s0, exec_lo
.LBB184_2:
	s_or_b32 exec_lo, exec_lo, s1
	s_and_saveexec_b32 s1, s0
	s_cbranch_execz .LBB184_13
; %bb.3:
	s_load_dword s0, s[4:5], 0x0
	v_lshrrev_b32_e32 v5, 4, v0
	v_lshl_or_b32 v5, s6, 3, v5
	s_waitcnt lgkmcnt(0)
	v_cmp_gt_i32_e32 vcc_lo, s0, v5
	s_and_b32 exec_lo, exec_lo, vcc_lo
	s_cbranch_execz .LBB184_13
; %bb.4:
	s_clause 0x1
	s_load_dwordx2 s[0:1], s[4:5], 0x10
	s_load_dwordx2 s[6:7], s[4:5], 0x38
	v_ashrrev_i32_e32 v6, 31, v5
	v_and_b32_e32 v0, 15, v0
	v_mov_b32_e32 v11, 0
	v_mov_b32_e32 v13, 0
	s_mov_b32 s9, exec_lo
	v_lshlrev_b64 v[7:8], 2, v[5:6]
	v_subrev_nc_u32_e32 v9, s8, v0
	s_waitcnt lgkmcnt(0)
	v_add_co_u32 v7, vcc_lo, s0, v7
	v_add_co_ci_u32_e64 v8, null, s1, v8, vcc_lo
	global_load_dwordx2 v[7:8], v[7:8], off
	s_waitcnt vmcnt(0)
	v_subrev_nc_u32_e32 v12, s8, v8
	v_add_nc_u32_e32 v7, v7, v9
	v_cmpx_lt_i32_e64 v7, v12
	s_cbranch_execz .LBB184_8
; %bb.5:
	s_clause 0x1
	s_load_dwordx4 s[0:3], s[4:5], 0x18
	s_load_dwordx2 s[4:5], s[4:5], 0x28
	v_mov_b32_e32 v10, 0
	v_lshlrev_b32_e32 v9, 3, v7
	s_mov_b32 s10, 0
	v_mov_b32_e32 v11, v10
	v_mov_b32_e32 v13, v10
.LBB184_6:                              ; =>This Inner Loop Header: Depth=1
	v_ashrrev_i32_e32 v8, 31, v7
	v_mov_b32_e32 v17, v10
	v_lshlrev_b64 v[14:15], 2, v[7:8]
	v_add_nc_u32_e32 v7, 16, v7
	s_waitcnt lgkmcnt(0)
	v_add_co_u32 v14, vcc_lo, s0, v14
	v_add_co_ci_u32_e64 v15, null, s1, v15, vcc_lo
	global_load_dword v8, v[14:15], off
	v_lshlrev_b64 v[14:15], 3, v[9:10]
	v_add_nc_u32_e32 v9, 0x80, v9
	v_add_co_u32 v34, vcc_lo, s2, v14
	v_add_co_ci_u32_e64 v35, null, s3, v15, vcc_lo
	s_waitcnt vmcnt(0)
	v_subrev_nc_u32_e32 v8, s8, v8
	v_lshlrev_b32_e32 v16, 3, v8
	v_lshlrev_b64 v[16:17], 3, v[16:17]
	v_add_co_u32 v42, vcc_lo, s4, v16
	v_add_co_ci_u32_e64 v43, null, s5, v17, vcc_lo
	v_cmp_ge_i32_e32 vcc_lo, v7, v12
	s_clause 0x1
	global_load_dwordx4 v[14:17], v[34:35], off offset:16
	global_load_dwordx4 v[18:21], v[34:35], off
	s_clause 0x1
	global_load_dwordx4 v[22:25], v[42:43], off
	global_load_dwordx4 v[26:29], v[42:43], off offset:16
	s_clause 0x1
	global_load_dwordx4 v[30:33], v[34:35], off offset:48
	global_load_dwordx4 v[34:37], v[34:35], off offset:32
	s_clause 0x1
	global_load_dwordx4 v[38:41], v[42:43], off offset:32
	global_load_dwordx4 v[42:45], v[42:43], off offset:48
	s_or_b32 s10, vcc_lo, s10
	s_waitcnt vmcnt(5)
	v_fmac_f32_e32 v13, v18, v22
	v_fmac_f32_e32 v11, v19, v22
	v_fma_f32 v8, -v19, v23, v13
	v_fmac_f32_e32 v11, v18, v23
	v_fmac_f32_e32 v8, v20, v24
	v_fmac_f32_e32 v11, v21, v24
	v_fma_f32 v8, -v21, v25, v8
	v_fmac_f32_e32 v11, v20, v25
	s_waitcnt vmcnt(4)
	v_fmac_f32_e32 v8, v14, v26
	v_fmac_f32_e32 v11, v15, v26
	v_fma_f32 v8, -v15, v27, v8
	v_fmac_f32_e32 v11, v14, v27
	v_fmac_f32_e32 v8, v16, v28
	v_fmac_f32_e32 v11, v17, v28
	v_fma_f32 v8, -v17, v29, v8
	v_fmac_f32_e32 v11, v16, v29
	;; [unrolled: 9-line block ×4, first 2 shown]
	s_andn2_b32 exec_lo, exec_lo, s10
	s_cbranch_execnz .LBB184_6
; %bb.7:
	s_or_b32 exec_lo, exec_lo, s10
.LBB184_8:
	s_or_b32 exec_lo, exec_lo, s9
	v_mbcnt_lo_u32_b32 v7, -1, 0
	v_xor_b32_e32 v8, 8, v7
	v_xor_b32_e32 v10, 4, v7
	;; [unrolled: 1-line block ×3, first 2 shown]
	v_cmp_gt_i32_e32 vcc_lo, 32, v8
	v_cndmask_b32_e32 v8, v7, v8, vcc_lo
	v_cmp_gt_i32_e32 vcc_lo, 32, v10
	v_lshlrev_b32_e32 v8, 2, v8
	v_cndmask_b32_e32 v10, v7, v10, vcc_lo
	v_cmp_gt_i32_e32 vcc_lo, 32, v12
	ds_bpermute_b32 v9, v8, v13
	ds_bpermute_b32 v8, v8, v11
	v_lshlrev_b32_e32 v10, 2, v10
	v_cndmask_b32_e32 v12, v7, v12, vcc_lo
	v_lshlrev_b32_e32 v12, 2, v12
	s_waitcnt lgkmcnt(1)
	v_add_f32_e32 v9, v13, v9
	s_waitcnt lgkmcnt(0)
	v_add_f32_e32 v8, v11, v8
	ds_bpermute_b32 v11, v10, v9
	ds_bpermute_b32 v10, v10, v8
	s_waitcnt lgkmcnt(1)
	v_add_f32_e32 v9, v9, v11
	s_waitcnt lgkmcnt(0)
	v_add_f32_e32 v8, v8, v10
	ds_bpermute_b32 v10, v12, v9
	ds_bpermute_b32 v11, v12, v8
	v_xor_b32_e32 v12, 1, v7
	v_cmp_gt_i32_e32 vcc_lo, 32, v12
	v_cndmask_b32_e32 v7, v7, v12, vcc_lo
	v_cmp_eq_u32_e32 vcc_lo, 15, v0
	v_lshlrev_b32_e32 v12, 2, v7
	s_waitcnt lgkmcnt(1)
	v_add_f32_e32 v7, v9, v10
	s_waitcnt lgkmcnt(0)
	v_add_f32_e32 v9, v8, v11
	ds_bpermute_b32 v8, v12, v7
	ds_bpermute_b32 v10, v12, v9
	s_and_b32 exec_lo, exec_lo, vcc_lo
	s_cbranch_execz .LBB184_13
; %bb.9:
	s_waitcnt lgkmcnt(0)
	v_add_f32_e32 v0, v9, v10
	v_add_f32_e32 v9, v7, v8
	v_cmp_eq_f32_e32 vcc_lo, 0, v1
	v_cmp_eq_f32_e64 s0, 0, v2
	v_lshlrev_b64 v[5:6], 3, v[5:6]
	v_mul_f32_e64 v7, v0, -v4
	v_mul_f32_e32 v8, v3, v0
	s_and_b32 s0, vcc_lo, s0
	v_fmac_f32_e32 v7, v3, v9
	v_fmac_f32_e32 v8, v4, v9
	s_and_saveexec_b32 s1, s0
	s_xor_b32 s0, exec_lo, s1
	s_cbranch_execz .LBB184_11
; %bb.10:
	v_add_co_u32 v0, vcc_lo, s6, v5
	v_add_co_ci_u32_e64 v1, null, s7, v6, vcc_lo
                                        ; implicit-def: $vgpr5_vgpr6
	global_store_dwordx2 v[0:1], v[7:8], off
                                        ; implicit-def: $vgpr1_vgpr2
                                        ; implicit-def: $vgpr7
.LBB184_11:
	s_andn2_saveexec_b32 s0, s0
	s_cbranch_execz .LBB184_13
; %bb.12:
	v_add_co_u32 v3, vcc_lo, s6, v5
	v_add_co_ci_u32_e64 v4, null, s7, v6, vcc_lo
	global_load_dwordx2 v[5:6], v[3:4], off
	s_waitcnt vmcnt(0)
	v_fmac_f32_e32 v7, v1, v5
	v_fmac_f32_e32 v8, v2, v5
	v_fma_f32 v7, -v2, v6, v7
	v_fmac_f32_e32 v8, v1, v6
	global_store_dwordx2 v[3:4], v[7:8], off
.LBB184_13:
	s_endpgm
	.section	.rodata,"a",@progbits
	.p2align	6, 0x0
	.amdhsa_kernel _ZN9rocsparseL19gebsrmvn_1xn_kernelILj128ELj8ELj16E21rocsparse_complex_numIfEEEvi20rocsparse_direction_NS_24const_host_device_scalarIT2_EEPKiS8_PKS5_SA_S6_PS5_21rocsparse_index_base_b
		.amdhsa_group_segment_fixed_size 0
		.amdhsa_private_segment_fixed_size 0
		.amdhsa_kernarg_size 72
		.amdhsa_user_sgpr_count 6
		.amdhsa_user_sgpr_private_segment_buffer 1
		.amdhsa_user_sgpr_dispatch_ptr 0
		.amdhsa_user_sgpr_queue_ptr 0
		.amdhsa_user_sgpr_kernarg_segment_ptr 1
		.amdhsa_user_sgpr_dispatch_id 0
		.amdhsa_user_sgpr_flat_scratch_init 0
		.amdhsa_user_sgpr_private_segment_size 0
		.amdhsa_wavefront_size32 1
		.amdhsa_uses_dynamic_stack 0
		.amdhsa_system_sgpr_private_segment_wavefront_offset 0
		.amdhsa_system_sgpr_workgroup_id_x 1
		.amdhsa_system_sgpr_workgroup_id_y 0
		.amdhsa_system_sgpr_workgroup_id_z 0
		.amdhsa_system_sgpr_workgroup_info 0
		.amdhsa_system_vgpr_workitem_id 0
		.amdhsa_next_free_vgpr 46
		.amdhsa_next_free_sgpr 13
		.amdhsa_reserve_vcc 1
		.amdhsa_reserve_flat_scratch 0
		.amdhsa_float_round_mode_32 0
		.amdhsa_float_round_mode_16_64 0
		.amdhsa_float_denorm_mode_32 3
		.amdhsa_float_denorm_mode_16_64 3
		.amdhsa_dx10_clamp 1
		.amdhsa_ieee_mode 1
		.amdhsa_fp16_overflow 0
		.amdhsa_workgroup_processor_mode 1
		.amdhsa_memory_ordered 1
		.amdhsa_forward_progress 1
		.amdhsa_shared_vgpr_count 0
		.amdhsa_exception_fp_ieee_invalid_op 0
		.amdhsa_exception_fp_denorm_src 0
		.amdhsa_exception_fp_ieee_div_zero 0
		.amdhsa_exception_fp_ieee_overflow 0
		.amdhsa_exception_fp_ieee_underflow 0
		.amdhsa_exception_fp_ieee_inexact 0
		.amdhsa_exception_int_div_zero 0
	.end_amdhsa_kernel
	.section	.text._ZN9rocsparseL19gebsrmvn_1xn_kernelILj128ELj8ELj16E21rocsparse_complex_numIfEEEvi20rocsparse_direction_NS_24const_host_device_scalarIT2_EEPKiS8_PKS5_SA_S6_PS5_21rocsparse_index_base_b,"axG",@progbits,_ZN9rocsparseL19gebsrmvn_1xn_kernelILj128ELj8ELj16E21rocsparse_complex_numIfEEEvi20rocsparse_direction_NS_24const_host_device_scalarIT2_EEPKiS8_PKS5_SA_S6_PS5_21rocsparse_index_base_b,comdat
.Lfunc_end184:
	.size	_ZN9rocsparseL19gebsrmvn_1xn_kernelILj128ELj8ELj16E21rocsparse_complex_numIfEEEvi20rocsparse_direction_NS_24const_host_device_scalarIT2_EEPKiS8_PKS5_SA_S6_PS5_21rocsparse_index_base_b, .Lfunc_end184-_ZN9rocsparseL19gebsrmvn_1xn_kernelILj128ELj8ELj16E21rocsparse_complex_numIfEEEvi20rocsparse_direction_NS_24const_host_device_scalarIT2_EEPKiS8_PKS5_SA_S6_PS5_21rocsparse_index_base_b
                                        ; -- End function
	.set _ZN9rocsparseL19gebsrmvn_1xn_kernelILj128ELj8ELj16E21rocsparse_complex_numIfEEEvi20rocsparse_direction_NS_24const_host_device_scalarIT2_EEPKiS8_PKS5_SA_S6_PS5_21rocsparse_index_base_b.num_vgpr, 46
	.set _ZN9rocsparseL19gebsrmvn_1xn_kernelILj128ELj8ELj16E21rocsparse_complex_numIfEEEvi20rocsparse_direction_NS_24const_host_device_scalarIT2_EEPKiS8_PKS5_SA_S6_PS5_21rocsparse_index_base_b.num_agpr, 0
	.set _ZN9rocsparseL19gebsrmvn_1xn_kernelILj128ELj8ELj16E21rocsparse_complex_numIfEEEvi20rocsparse_direction_NS_24const_host_device_scalarIT2_EEPKiS8_PKS5_SA_S6_PS5_21rocsparse_index_base_b.numbered_sgpr, 13
	.set _ZN9rocsparseL19gebsrmvn_1xn_kernelILj128ELj8ELj16E21rocsparse_complex_numIfEEEvi20rocsparse_direction_NS_24const_host_device_scalarIT2_EEPKiS8_PKS5_SA_S6_PS5_21rocsparse_index_base_b.num_named_barrier, 0
	.set _ZN9rocsparseL19gebsrmvn_1xn_kernelILj128ELj8ELj16E21rocsparse_complex_numIfEEEvi20rocsparse_direction_NS_24const_host_device_scalarIT2_EEPKiS8_PKS5_SA_S6_PS5_21rocsparse_index_base_b.private_seg_size, 0
	.set _ZN9rocsparseL19gebsrmvn_1xn_kernelILj128ELj8ELj16E21rocsparse_complex_numIfEEEvi20rocsparse_direction_NS_24const_host_device_scalarIT2_EEPKiS8_PKS5_SA_S6_PS5_21rocsparse_index_base_b.uses_vcc, 1
	.set _ZN9rocsparseL19gebsrmvn_1xn_kernelILj128ELj8ELj16E21rocsparse_complex_numIfEEEvi20rocsparse_direction_NS_24const_host_device_scalarIT2_EEPKiS8_PKS5_SA_S6_PS5_21rocsparse_index_base_b.uses_flat_scratch, 0
	.set _ZN9rocsparseL19gebsrmvn_1xn_kernelILj128ELj8ELj16E21rocsparse_complex_numIfEEEvi20rocsparse_direction_NS_24const_host_device_scalarIT2_EEPKiS8_PKS5_SA_S6_PS5_21rocsparse_index_base_b.has_dyn_sized_stack, 0
	.set _ZN9rocsparseL19gebsrmvn_1xn_kernelILj128ELj8ELj16E21rocsparse_complex_numIfEEEvi20rocsparse_direction_NS_24const_host_device_scalarIT2_EEPKiS8_PKS5_SA_S6_PS5_21rocsparse_index_base_b.has_recursion, 0
	.set _ZN9rocsparseL19gebsrmvn_1xn_kernelILj128ELj8ELj16E21rocsparse_complex_numIfEEEvi20rocsparse_direction_NS_24const_host_device_scalarIT2_EEPKiS8_PKS5_SA_S6_PS5_21rocsparse_index_base_b.has_indirect_call, 0
	.section	.AMDGPU.csdata,"",@progbits
; Kernel info:
; codeLenInByte = 1100
; TotalNumSgprs: 15
; NumVgprs: 46
; ScratchSize: 0
; MemoryBound: 0
; FloatMode: 240
; IeeeMode: 1
; LDSByteSize: 0 bytes/workgroup (compile time only)
; SGPRBlocks: 0
; VGPRBlocks: 5
; NumSGPRsForWavesPerEU: 15
; NumVGPRsForWavesPerEU: 46
; Occupancy: 16
; WaveLimiterHint : 1
; COMPUTE_PGM_RSRC2:SCRATCH_EN: 0
; COMPUTE_PGM_RSRC2:USER_SGPR: 6
; COMPUTE_PGM_RSRC2:TRAP_HANDLER: 0
; COMPUTE_PGM_RSRC2:TGID_X_EN: 1
; COMPUTE_PGM_RSRC2:TGID_Y_EN: 0
; COMPUTE_PGM_RSRC2:TGID_Z_EN: 0
; COMPUTE_PGM_RSRC2:TIDIG_COMP_CNT: 0
	.section	.text._ZN9rocsparseL19gebsrmvn_1xn_kernelILj128ELj8ELj32E21rocsparse_complex_numIfEEEvi20rocsparse_direction_NS_24const_host_device_scalarIT2_EEPKiS8_PKS5_SA_S6_PS5_21rocsparse_index_base_b,"axG",@progbits,_ZN9rocsparseL19gebsrmvn_1xn_kernelILj128ELj8ELj32E21rocsparse_complex_numIfEEEvi20rocsparse_direction_NS_24const_host_device_scalarIT2_EEPKiS8_PKS5_SA_S6_PS5_21rocsparse_index_base_b,comdat
	.globl	_ZN9rocsparseL19gebsrmvn_1xn_kernelILj128ELj8ELj32E21rocsparse_complex_numIfEEEvi20rocsparse_direction_NS_24const_host_device_scalarIT2_EEPKiS8_PKS5_SA_S6_PS5_21rocsparse_index_base_b ; -- Begin function _ZN9rocsparseL19gebsrmvn_1xn_kernelILj128ELj8ELj32E21rocsparse_complex_numIfEEEvi20rocsparse_direction_NS_24const_host_device_scalarIT2_EEPKiS8_PKS5_SA_S6_PS5_21rocsparse_index_base_b
	.p2align	8
	.type	_ZN9rocsparseL19gebsrmvn_1xn_kernelILj128ELj8ELj32E21rocsparse_complex_numIfEEEvi20rocsparse_direction_NS_24const_host_device_scalarIT2_EEPKiS8_PKS5_SA_S6_PS5_21rocsparse_index_base_b,@function
_ZN9rocsparseL19gebsrmvn_1xn_kernelILj128ELj8ELj32E21rocsparse_complex_numIfEEEvi20rocsparse_direction_NS_24const_host_device_scalarIT2_EEPKiS8_PKS5_SA_S6_PS5_21rocsparse_index_base_b: ; @_ZN9rocsparseL19gebsrmvn_1xn_kernelILj128ELj8ELj32E21rocsparse_complex_numIfEEEvi20rocsparse_direction_NS_24const_host_device_scalarIT2_EEPKiS8_PKS5_SA_S6_PS5_21rocsparse_index_base_b
; %bb.0:
	s_clause 0x2
	s_load_dwordx2 s[8:9], s[4:5], 0x40
	s_load_dwordx2 s[0:1], s[4:5], 0x8
	;; [unrolled: 1-line block ×3, first 2 shown]
	s_add_u32 s7, s4, 8
	s_addc_u32 s10, s5, 0
	s_add_u32 s11, s4, 48
	s_addc_u32 s12, s5, 0
	s_waitcnt lgkmcnt(0)
	s_bitcmp1_b32 s9, 0
	s_cselect_b32 s0, s7, s0
	s_cselect_b32 s1, s10, s1
	v_mov_b32_e32 v1, s0
	v_mov_b32_e32 v2, s1
	s_cselect_b32 s0, s11, s2
	s_cselect_b32 s1, s12, s3
	flat_load_dwordx2 v[3:4], v[1:2]
	v_mov_b32_e32 v1, s0
	v_mov_b32_e32 v2, s1
	flat_load_dwordx2 v[1:2], v[1:2]
	s_waitcnt vmcnt(1) lgkmcnt(1)
	v_cmp_eq_f32_e32 vcc_lo, 0, v3
	v_cmp_eq_f32_e64 s0, 0, v4
	s_and_b32 s2, vcc_lo, s0
	s_mov_b32 s0, -1
	s_and_saveexec_b32 s1, s2
	s_cbranch_execz .LBB185_2
; %bb.1:
	s_waitcnt vmcnt(0) lgkmcnt(0)
	v_cmp_neq_f32_e32 vcc_lo, 1.0, v1
	v_cmp_neq_f32_e64 s0, 0, v2
	s_or_b32 s0, vcc_lo, s0
	s_orn2_b32 s0, s0, exec_lo
.LBB185_2:
	s_or_b32 exec_lo, exec_lo, s1
	s_and_saveexec_b32 s1, s0
	s_cbranch_execz .LBB185_13
; %bb.3:
	s_load_dword s0, s[4:5], 0x0
	v_lshrrev_b32_e32 v5, 5, v0
	v_lshl_or_b32 v5, s6, 2, v5
	s_waitcnt lgkmcnt(0)
	v_cmp_gt_i32_e32 vcc_lo, s0, v5
	s_and_b32 exec_lo, exec_lo, vcc_lo
	s_cbranch_execz .LBB185_13
; %bb.4:
	s_clause 0x1
	s_load_dwordx2 s[0:1], s[4:5], 0x10
	s_load_dwordx2 s[6:7], s[4:5], 0x38
	v_ashrrev_i32_e32 v6, 31, v5
	v_and_b32_e32 v0, 31, v0
	v_mov_b32_e32 v11, 0
	v_mov_b32_e32 v13, 0
	s_mov_b32 s9, exec_lo
	v_lshlrev_b64 v[7:8], 2, v[5:6]
	v_subrev_nc_u32_e32 v9, s8, v0
	s_waitcnt lgkmcnt(0)
	v_add_co_u32 v7, vcc_lo, s0, v7
	v_add_co_ci_u32_e64 v8, null, s1, v8, vcc_lo
	global_load_dwordx2 v[7:8], v[7:8], off
	s_waitcnt vmcnt(0)
	v_subrev_nc_u32_e32 v12, s8, v8
	v_add_nc_u32_e32 v7, v7, v9
	v_cmpx_lt_i32_e64 v7, v12
	s_cbranch_execz .LBB185_8
; %bb.5:
	s_clause 0x1
	s_load_dwordx4 s[0:3], s[4:5], 0x18
	s_load_dwordx2 s[4:5], s[4:5], 0x28
	v_mov_b32_e32 v10, 0
	v_lshlrev_b32_e32 v9, 3, v7
	s_mov_b32 s10, 0
	v_mov_b32_e32 v11, v10
	v_mov_b32_e32 v13, v10
.LBB185_6:                              ; =>This Inner Loop Header: Depth=1
	v_ashrrev_i32_e32 v8, 31, v7
	v_mov_b32_e32 v17, v10
	v_lshlrev_b64 v[14:15], 2, v[7:8]
	v_add_nc_u32_e32 v7, 32, v7
	s_waitcnt lgkmcnt(0)
	v_add_co_u32 v14, vcc_lo, s0, v14
	v_add_co_ci_u32_e64 v15, null, s1, v15, vcc_lo
	global_load_dword v8, v[14:15], off
	v_lshlrev_b64 v[14:15], 3, v[9:10]
	v_add_nc_u32_e32 v9, 0x100, v9
	v_add_co_u32 v34, vcc_lo, s2, v14
	v_add_co_ci_u32_e64 v35, null, s3, v15, vcc_lo
	s_waitcnt vmcnt(0)
	v_subrev_nc_u32_e32 v8, s8, v8
	v_lshlrev_b32_e32 v16, 3, v8
	v_lshlrev_b64 v[16:17], 3, v[16:17]
	v_add_co_u32 v42, vcc_lo, s4, v16
	v_add_co_ci_u32_e64 v43, null, s5, v17, vcc_lo
	v_cmp_ge_i32_e32 vcc_lo, v7, v12
	s_clause 0x1
	global_load_dwordx4 v[14:17], v[34:35], off offset:16
	global_load_dwordx4 v[18:21], v[34:35], off
	s_clause 0x1
	global_load_dwordx4 v[22:25], v[42:43], off
	global_load_dwordx4 v[26:29], v[42:43], off offset:16
	s_clause 0x1
	global_load_dwordx4 v[30:33], v[34:35], off offset:48
	global_load_dwordx4 v[34:37], v[34:35], off offset:32
	s_clause 0x1
	global_load_dwordx4 v[38:41], v[42:43], off offset:32
	global_load_dwordx4 v[42:45], v[42:43], off offset:48
	s_or_b32 s10, vcc_lo, s10
	s_waitcnt vmcnt(5)
	v_fmac_f32_e32 v13, v18, v22
	v_fmac_f32_e32 v11, v19, v22
	v_fma_f32 v8, -v19, v23, v13
	v_fmac_f32_e32 v11, v18, v23
	v_fmac_f32_e32 v8, v20, v24
	v_fmac_f32_e32 v11, v21, v24
	v_fma_f32 v8, -v21, v25, v8
	v_fmac_f32_e32 v11, v20, v25
	s_waitcnt vmcnt(4)
	v_fmac_f32_e32 v8, v14, v26
	v_fmac_f32_e32 v11, v15, v26
	v_fma_f32 v8, -v15, v27, v8
	v_fmac_f32_e32 v11, v14, v27
	v_fmac_f32_e32 v8, v16, v28
	v_fmac_f32_e32 v11, v17, v28
	v_fma_f32 v8, -v17, v29, v8
	v_fmac_f32_e32 v11, v16, v29
	s_waitcnt vmcnt(1)
	v_fmac_f32_e32 v8, v34, v38
	v_fmac_f32_e32 v11, v35, v38
	v_fma_f32 v8, -v35, v39, v8
	v_fmac_f32_e32 v11, v34, v39
	v_fmac_f32_e32 v8, v36, v40
	v_fmac_f32_e32 v11, v37, v40
	v_fma_f32 v8, -v37, v41, v8
	v_fmac_f32_e32 v11, v36, v41
	s_waitcnt vmcnt(0)
	v_fmac_f32_e32 v8, v30, v42
	v_fmac_f32_e32 v11, v31, v42
	v_fma_f32 v8, -v31, v43, v8
	v_fmac_f32_e32 v11, v30, v43
	v_fmac_f32_e32 v8, v32, v44
	v_fmac_f32_e32 v11, v33, v44
	v_fma_f32 v13, -v33, v45, v8
	v_fmac_f32_e32 v11, v32, v45
	s_andn2_b32 exec_lo, exec_lo, s10
	s_cbranch_execnz .LBB185_6
; %bb.7:
	s_or_b32 exec_lo, exec_lo, s10
.LBB185_8:
	s_or_b32 exec_lo, exec_lo, s9
	v_mbcnt_lo_u32_b32 v7, -1, 0
	v_xor_b32_e32 v8, 16, v7
	v_xor_b32_e32 v10, 8, v7
	;; [unrolled: 1-line block ×3, first 2 shown]
	v_cmp_gt_i32_e32 vcc_lo, 32, v8
	v_cndmask_b32_e32 v8, v7, v8, vcc_lo
	v_cmp_gt_i32_e32 vcc_lo, 32, v10
	v_lshlrev_b32_e32 v8, 2, v8
	v_cndmask_b32_e32 v10, v7, v10, vcc_lo
	v_cmp_gt_i32_e32 vcc_lo, 32, v12
	ds_bpermute_b32 v9, v8, v13
	ds_bpermute_b32 v8, v8, v11
	v_lshlrev_b32_e32 v10, 2, v10
	v_cndmask_b32_e32 v12, v7, v12, vcc_lo
	v_lshlrev_b32_e32 v12, 2, v12
	s_waitcnt lgkmcnt(1)
	v_add_f32_e32 v9, v13, v9
	s_waitcnt lgkmcnt(0)
	v_add_f32_e32 v8, v11, v8
	ds_bpermute_b32 v11, v10, v9
	ds_bpermute_b32 v10, v10, v8
	s_waitcnt lgkmcnt(1)
	v_add_f32_e32 v9, v9, v11
	s_waitcnt lgkmcnt(0)
	v_add_f32_e32 v8, v8, v10
	ds_bpermute_b32 v10, v12, v9
	ds_bpermute_b32 v11, v12, v8
	v_xor_b32_e32 v12, 2, v7
	v_cmp_gt_i32_e32 vcc_lo, 32, v12
	v_cndmask_b32_e32 v12, v7, v12, vcc_lo
	v_lshlrev_b32_e32 v12, 2, v12
	s_waitcnt lgkmcnt(1)
	v_add_f32_e32 v9, v9, v10
	s_waitcnt lgkmcnt(0)
	v_add_f32_e32 v8, v8, v11
	ds_bpermute_b32 v10, v12, v9
	ds_bpermute_b32 v11, v12, v8
	v_xor_b32_e32 v12, 1, v7
	v_cmp_gt_i32_e32 vcc_lo, 32, v12
	v_cndmask_b32_e32 v7, v7, v12, vcc_lo
	v_cmp_eq_u32_e32 vcc_lo, 31, v0
	v_lshlrev_b32_e32 v12, 2, v7
	s_waitcnt lgkmcnt(1)
	v_add_f32_e32 v7, v9, v10
	s_waitcnt lgkmcnt(0)
	v_add_f32_e32 v9, v8, v11
	ds_bpermute_b32 v8, v12, v7
	ds_bpermute_b32 v10, v12, v9
	s_and_b32 exec_lo, exec_lo, vcc_lo
	s_cbranch_execz .LBB185_13
; %bb.9:
	s_waitcnt lgkmcnt(0)
	v_add_f32_e32 v0, v9, v10
	v_add_f32_e32 v9, v7, v8
	v_cmp_eq_f32_e32 vcc_lo, 0, v1
	v_cmp_eq_f32_e64 s0, 0, v2
	v_lshlrev_b64 v[5:6], 3, v[5:6]
	v_mul_f32_e64 v7, v0, -v4
	v_mul_f32_e32 v8, v3, v0
	s_and_b32 s0, vcc_lo, s0
	v_fmac_f32_e32 v7, v3, v9
	v_fmac_f32_e32 v8, v4, v9
	s_and_saveexec_b32 s1, s0
	s_xor_b32 s0, exec_lo, s1
	s_cbranch_execz .LBB185_11
; %bb.10:
	v_add_co_u32 v0, vcc_lo, s6, v5
	v_add_co_ci_u32_e64 v1, null, s7, v6, vcc_lo
                                        ; implicit-def: $vgpr5_vgpr6
	global_store_dwordx2 v[0:1], v[7:8], off
                                        ; implicit-def: $vgpr1_vgpr2
                                        ; implicit-def: $vgpr7
.LBB185_11:
	s_andn2_saveexec_b32 s0, s0
	s_cbranch_execz .LBB185_13
; %bb.12:
	v_add_co_u32 v3, vcc_lo, s6, v5
	v_add_co_ci_u32_e64 v4, null, s7, v6, vcc_lo
	global_load_dwordx2 v[5:6], v[3:4], off
	s_waitcnt vmcnt(0)
	v_fmac_f32_e32 v7, v1, v5
	v_fmac_f32_e32 v8, v2, v5
	v_fma_f32 v7, -v2, v6, v7
	v_fmac_f32_e32 v8, v1, v6
	global_store_dwordx2 v[3:4], v[7:8], off
.LBB185_13:
	s_endpgm
	.section	.rodata,"a",@progbits
	.p2align	6, 0x0
	.amdhsa_kernel _ZN9rocsparseL19gebsrmvn_1xn_kernelILj128ELj8ELj32E21rocsparse_complex_numIfEEEvi20rocsparse_direction_NS_24const_host_device_scalarIT2_EEPKiS8_PKS5_SA_S6_PS5_21rocsparse_index_base_b
		.amdhsa_group_segment_fixed_size 0
		.amdhsa_private_segment_fixed_size 0
		.amdhsa_kernarg_size 72
		.amdhsa_user_sgpr_count 6
		.amdhsa_user_sgpr_private_segment_buffer 1
		.amdhsa_user_sgpr_dispatch_ptr 0
		.amdhsa_user_sgpr_queue_ptr 0
		.amdhsa_user_sgpr_kernarg_segment_ptr 1
		.amdhsa_user_sgpr_dispatch_id 0
		.amdhsa_user_sgpr_flat_scratch_init 0
		.amdhsa_user_sgpr_private_segment_size 0
		.amdhsa_wavefront_size32 1
		.amdhsa_uses_dynamic_stack 0
		.amdhsa_system_sgpr_private_segment_wavefront_offset 0
		.amdhsa_system_sgpr_workgroup_id_x 1
		.amdhsa_system_sgpr_workgroup_id_y 0
		.amdhsa_system_sgpr_workgroup_id_z 0
		.amdhsa_system_sgpr_workgroup_info 0
		.amdhsa_system_vgpr_workitem_id 0
		.amdhsa_next_free_vgpr 46
		.amdhsa_next_free_sgpr 13
		.amdhsa_reserve_vcc 1
		.amdhsa_reserve_flat_scratch 0
		.amdhsa_float_round_mode_32 0
		.amdhsa_float_round_mode_16_64 0
		.amdhsa_float_denorm_mode_32 3
		.amdhsa_float_denorm_mode_16_64 3
		.amdhsa_dx10_clamp 1
		.amdhsa_ieee_mode 1
		.amdhsa_fp16_overflow 0
		.amdhsa_workgroup_processor_mode 1
		.amdhsa_memory_ordered 1
		.amdhsa_forward_progress 1
		.amdhsa_shared_vgpr_count 0
		.amdhsa_exception_fp_ieee_invalid_op 0
		.amdhsa_exception_fp_denorm_src 0
		.amdhsa_exception_fp_ieee_div_zero 0
		.amdhsa_exception_fp_ieee_overflow 0
		.amdhsa_exception_fp_ieee_underflow 0
		.amdhsa_exception_fp_ieee_inexact 0
		.amdhsa_exception_int_div_zero 0
	.end_amdhsa_kernel
	.section	.text._ZN9rocsparseL19gebsrmvn_1xn_kernelILj128ELj8ELj32E21rocsparse_complex_numIfEEEvi20rocsparse_direction_NS_24const_host_device_scalarIT2_EEPKiS8_PKS5_SA_S6_PS5_21rocsparse_index_base_b,"axG",@progbits,_ZN9rocsparseL19gebsrmvn_1xn_kernelILj128ELj8ELj32E21rocsparse_complex_numIfEEEvi20rocsparse_direction_NS_24const_host_device_scalarIT2_EEPKiS8_PKS5_SA_S6_PS5_21rocsparse_index_base_b,comdat
.Lfunc_end185:
	.size	_ZN9rocsparseL19gebsrmvn_1xn_kernelILj128ELj8ELj32E21rocsparse_complex_numIfEEEvi20rocsparse_direction_NS_24const_host_device_scalarIT2_EEPKiS8_PKS5_SA_S6_PS5_21rocsparse_index_base_b, .Lfunc_end185-_ZN9rocsparseL19gebsrmvn_1xn_kernelILj128ELj8ELj32E21rocsparse_complex_numIfEEEvi20rocsparse_direction_NS_24const_host_device_scalarIT2_EEPKiS8_PKS5_SA_S6_PS5_21rocsparse_index_base_b
                                        ; -- End function
	.set _ZN9rocsparseL19gebsrmvn_1xn_kernelILj128ELj8ELj32E21rocsparse_complex_numIfEEEvi20rocsparse_direction_NS_24const_host_device_scalarIT2_EEPKiS8_PKS5_SA_S6_PS5_21rocsparse_index_base_b.num_vgpr, 46
	.set _ZN9rocsparseL19gebsrmvn_1xn_kernelILj128ELj8ELj32E21rocsparse_complex_numIfEEEvi20rocsparse_direction_NS_24const_host_device_scalarIT2_EEPKiS8_PKS5_SA_S6_PS5_21rocsparse_index_base_b.num_agpr, 0
	.set _ZN9rocsparseL19gebsrmvn_1xn_kernelILj128ELj8ELj32E21rocsparse_complex_numIfEEEvi20rocsparse_direction_NS_24const_host_device_scalarIT2_EEPKiS8_PKS5_SA_S6_PS5_21rocsparse_index_base_b.numbered_sgpr, 13
	.set _ZN9rocsparseL19gebsrmvn_1xn_kernelILj128ELj8ELj32E21rocsparse_complex_numIfEEEvi20rocsparse_direction_NS_24const_host_device_scalarIT2_EEPKiS8_PKS5_SA_S6_PS5_21rocsparse_index_base_b.num_named_barrier, 0
	.set _ZN9rocsparseL19gebsrmvn_1xn_kernelILj128ELj8ELj32E21rocsparse_complex_numIfEEEvi20rocsparse_direction_NS_24const_host_device_scalarIT2_EEPKiS8_PKS5_SA_S6_PS5_21rocsparse_index_base_b.private_seg_size, 0
	.set _ZN9rocsparseL19gebsrmvn_1xn_kernelILj128ELj8ELj32E21rocsparse_complex_numIfEEEvi20rocsparse_direction_NS_24const_host_device_scalarIT2_EEPKiS8_PKS5_SA_S6_PS5_21rocsparse_index_base_b.uses_vcc, 1
	.set _ZN9rocsparseL19gebsrmvn_1xn_kernelILj128ELj8ELj32E21rocsparse_complex_numIfEEEvi20rocsparse_direction_NS_24const_host_device_scalarIT2_EEPKiS8_PKS5_SA_S6_PS5_21rocsparse_index_base_b.uses_flat_scratch, 0
	.set _ZN9rocsparseL19gebsrmvn_1xn_kernelILj128ELj8ELj32E21rocsparse_complex_numIfEEEvi20rocsparse_direction_NS_24const_host_device_scalarIT2_EEPKiS8_PKS5_SA_S6_PS5_21rocsparse_index_base_b.has_dyn_sized_stack, 0
	.set _ZN9rocsparseL19gebsrmvn_1xn_kernelILj128ELj8ELj32E21rocsparse_complex_numIfEEEvi20rocsparse_direction_NS_24const_host_device_scalarIT2_EEPKiS8_PKS5_SA_S6_PS5_21rocsparse_index_base_b.has_recursion, 0
	.set _ZN9rocsparseL19gebsrmvn_1xn_kernelILj128ELj8ELj32E21rocsparse_complex_numIfEEEvi20rocsparse_direction_NS_24const_host_device_scalarIT2_EEPKiS8_PKS5_SA_S6_PS5_21rocsparse_index_base_b.has_indirect_call, 0
	.section	.AMDGPU.csdata,"",@progbits
; Kernel info:
; codeLenInByte = 1148
; TotalNumSgprs: 15
; NumVgprs: 46
; ScratchSize: 0
; MemoryBound: 0
; FloatMode: 240
; IeeeMode: 1
; LDSByteSize: 0 bytes/workgroup (compile time only)
; SGPRBlocks: 0
; VGPRBlocks: 5
; NumSGPRsForWavesPerEU: 15
; NumVGPRsForWavesPerEU: 46
; Occupancy: 16
; WaveLimiterHint : 1
; COMPUTE_PGM_RSRC2:SCRATCH_EN: 0
; COMPUTE_PGM_RSRC2:USER_SGPR: 6
; COMPUTE_PGM_RSRC2:TRAP_HANDLER: 0
; COMPUTE_PGM_RSRC2:TGID_X_EN: 1
; COMPUTE_PGM_RSRC2:TGID_Y_EN: 0
; COMPUTE_PGM_RSRC2:TGID_Z_EN: 0
; COMPUTE_PGM_RSRC2:TIDIG_COMP_CNT: 0
	.section	.text._ZN9rocsparseL19gebsrmvn_1xn_kernelILj128ELj8ELj64E21rocsparse_complex_numIfEEEvi20rocsparse_direction_NS_24const_host_device_scalarIT2_EEPKiS8_PKS5_SA_S6_PS5_21rocsparse_index_base_b,"axG",@progbits,_ZN9rocsparseL19gebsrmvn_1xn_kernelILj128ELj8ELj64E21rocsparse_complex_numIfEEEvi20rocsparse_direction_NS_24const_host_device_scalarIT2_EEPKiS8_PKS5_SA_S6_PS5_21rocsparse_index_base_b,comdat
	.globl	_ZN9rocsparseL19gebsrmvn_1xn_kernelILj128ELj8ELj64E21rocsparse_complex_numIfEEEvi20rocsparse_direction_NS_24const_host_device_scalarIT2_EEPKiS8_PKS5_SA_S6_PS5_21rocsparse_index_base_b ; -- Begin function _ZN9rocsparseL19gebsrmvn_1xn_kernelILj128ELj8ELj64E21rocsparse_complex_numIfEEEvi20rocsparse_direction_NS_24const_host_device_scalarIT2_EEPKiS8_PKS5_SA_S6_PS5_21rocsparse_index_base_b
	.p2align	8
	.type	_ZN9rocsparseL19gebsrmvn_1xn_kernelILj128ELj8ELj64E21rocsparse_complex_numIfEEEvi20rocsparse_direction_NS_24const_host_device_scalarIT2_EEPKiS8_PKS5_SA_S6_PS5_21rocsparse_index_base_b,@function
_ZN9rocsparseL19gebsrmvn_1xn_kernelILj128ELj8ELj64E21rocsparse_complex_numIfEEEvi20rocsparse_direction_NS_24const_host_device_scalarIT2_EEPKiS8_PKS5_SA_S6_PS5_21rocsparse_index_base_b: ; @_ZN9rocsparseL19gebsrmvn_1xn_kernelILj128ELj8ELj64E21rocsparse_complex_numIfEEEvi20rocsparse_direction_NS_24const_host_device_scalarIT2_EEPKiS8_PKS5_SA_S6_PS5_21rocsparse_index_base_b
; %bb.0:
	s_clause 0x2
	s_load_dwordx2 s[8:9], s[4:5], 0x40
	s_load_dwordx2 s[0:1], s[4:5], 0x8
	;; [unrolled: 1-line block ×3, first 2 shown]
	s_add_u32 s7, s4, 8
	s_addc_u32 s10, s5, 0
	s_add_u32 s11, s4, 48
	s_addc_u32 s12, s5, 0
	s_waitcnt lgkmcnt(0)
	s_bitcmp1_b32 s9, 0
	s_cselect_b32 s0, s7, s0
	s_cselect_b32 s1, s10, s1
	v_mov_b32_e32 v1, s0
	v_mov_b32_e32 v2, s1
	s_cselect_b32 s0, s11, s2
	s_cselect_b32 s1, s12, s3
	flat_load_dwordx2 v[3:4], v[1:2]
	v_mov_b32_e32 v1, s0
	v_mov_b32_e32 v2, s1
	flat_load_dwordx2 v[1:2], v[1:2]
	s_waitcnt vmcnt(1) lgkmcnt(1)
	v_cmp_eq_f32_e32 vcc_lo, 0, v3
	v_cmp_eq_f32_e64 s0, 0, v4
	s_and_b32 s2, vcc_lo, s0
	s_mov_b32 s0, -1
	s_and_saveexec_b32 s1, s2
	s_cbranch_execz .LBB186_2
; %bb.1:
	s_waitcnt vmcnt(0) lgkmcnt(0)
	v_cmp_neq_f32_e32 vcc_lo, 1.0, v1
	v_cmp_neq_f32_e64 s0, 0, v2
	s_or_b32 s0, vcc_lo, s0
	s_orn2_b32 s0, s0, exec_lo
.LBB186_2:
	s_or_b32 exec_lo, exec_lo, s1
	s_and_saveexec_b32 s1, s0
	s_cbranch_execz .LBB186_13
; %bb.3:
	s_load_dword s0, s[4:5], 0x0
	v_lshrrev_b32_e32 v5, 6, v0
	v_lshl_or_b32 v5, s6, 1, v5
	s_waitcnt lgkmcnt(0)
	v_cmp_gt_i32_e32 vcc_lo, s0, v5
	s_and_b32 exec_lo, exec_lo, vcc_lo
	s_cbranch_execz .LBB186_13
; %bb.4:
	s_clause 0x1
	s_load_dwordx2 s[0:1], s[4:5], 0x10
	s_load_dwordx2 s[6:7], s[4:5], 0x38
	v_ashrrev_i32_e32 v6, 31, v5
	v_and_b32_e32 v0, 63, v0
	v_mov_b32_e32 v11, 0
	v_mov_b32_e32 v13, 0
	s_mov_b32 s9, exec_lo
	v_lshlrev_b64 v[7:8], 2, v[5:6]
	v_subrev_nc_u32_e32 v9, s8, v0
	s_waitcnt lgkmcnt(0)
	v_add_co_u32 v7, vcc_lo, s0, v7
	v_add_co_ci_u32_e64 v8, null, s1, v8, vcc_lo
	global_load_dwordx2 v[7:8], v[7:8], off
	s_waitcnt vmcnt(0)
	v_subrev_nc_u32_e32 v12, s8, v8
	v_add_nc_u32_e32 v7, v7, v9
	v_cmpx_lt_i32_e64 v7, v12
	s_cbranch_execz .LBB186_8
; %bb.5:
	s_clause 0x1
	s_load_dwordx4 s[0:3], s[4:5], 0x18
	s_load_dwordx2 s[4:5], s[4:5], 0x28
	v_mov_b32_e32 v10, 0
	v_lshlrev_b32_e32 v9, 3, v7
	s_mov_b32 s10, 0
	v_mov_b32_e32 v11, v10
	v_mov_b32_e32 v13, v10
.LBB186_6:                              ; =>This Inner Loop Header: Depth=1
	v_ashrrev_i32_e32 v8, 31, v7
	v_mov_b32_e32 v17, v10
	v_lshlrev_b64 v[14:15], 2, v[7:8]
	v_add_nc_u32_e32 v7, 64, v7
	s_waitcnt lgkmcnt(0)
	v_add_co_u32 v14, vcc_lo, s0, v14
	v_add_co_ci_u32_e64 v15, null, s1, v15, vcc_lo
	global_load_dword v8, v[14:15], off
	v_lshlrev_b64 v[14:15], 3, v[9:10]
	v_add_nc_u32_e32 v9, 0x200, v9
	v_add_co_u32 v34, vcc_lo, s2, v14
	v_add_co_ci_u32_e64 v35, null, s3, v15, vcc_lo
	s_waitcnt vmcnt(0)
	v_subrev_nc_u32_e32 v8, s8, v8
	v_lshlrev_b32_e32 v16, 3, v8
	v_lshlrev_b64 v[16:17], 3, v[16:17]
	v_add_co_u32 v42, vcc_lo, s4, v16
	v_add_co_ci_u32_e64 v43, null, s5, v17, vcc_lo
	v_cmp_ge_i32_e32 vcc_lo, v7, v12
	s_clause 0x1
	global_load_dwordx4 v[14:17], v[34:35], off offset:16
	global_load_dwordx4 v[18:21], v[34:35], off
	s_clause 0x1
	global_load_dwordx4 v[22:25], v[42:43], off
	global_load_dwordx4 v[26:29], v[42:43], off offset:16
	s_clause 0x1
	global_load_dwordx4 v[30:33], v[34:35], off offset:48
	global_load_dwordx4 v[34:37], v[34:35], off offset:32
	s_clause 0x1
	global_load_dwordx4 v[38:41], v[42:43], off offset:32
	global_load_dwordx4 v[42:45], v[42:43], off offset:48
	s_or_b32 s10, vcc_lo, s10
	s_waitcnt vmcnt(5)
	v_fmac_f32_e32 v13, v18, v22
	v_fmac_f32_e32 v11, v19, v22
	v_fma_f32 v8, -v19, v23, v13
	v_fmac_f32_e32 v11, v18, v23
	v_fmac_f32_e32 v8, v20, v24
	v_fmac_f32_e32 v11, v21, v24
	v_fma_f32 v8, -v21, v25, v8
	v_fmac_f32_e32 v11, v20, v25
	s_waitcnt vmcnt(4)
	v_fmac_f32_e32 v8, v14, v26
	v_fmac_f32_e32 v11, v15, v26
	v_fma_f32 v8, -v15, v27, v8
	v_fmac_f32_e32 v11, v14, v27
	v_fmac_f32_e32 v8, v16, v28
	v_fmac_f32_e32 v11, v17, v28
	v_fma_f32 v8, -v17, v29, v8
	v_fmac_f32_e32 v11, v16, v29
	;; [unrolled: 9-line block ×4, first 2 shown]
	s_andn2_b32 exec_lo, exec_lo, s10
	s_cbranch_execnz .LBB186_6
; %bb.7:
	s_or_b32 exec_lo, exec_lo, s10
.LBB186_8:
	s_or_b32 exec_lo, exec_lo, s9
	v_mbcnt_lo_u32_b32 v7, -1, 0
	v_or_b32_e32 v8, 32, v7
	v_xor_b32_e32 v10, 16, v7
	v_xor_b32_e32 v12, 8, v7
	v_cmp_gt_i32_e32 vcc_lo, 32, v8
	v_cndmask_b32_e32 v8, v7, v8, vcc_lo
	v_cmp_gt_i32_e32 vcc_lo, 32, v10
	v_lshlrev_b32_e32 v8, 2, v8
	v_cndmask_b32_e32 v10, v7, v10, vcc_lo
	v_cmp_gt_i32_e32 vcc_lo, 32, v12
	ds_bpermute_b32 v9, v8, v13
	ds_bpermute_b32 v8, v8, v11
	v_lshlrev_b32_e32 v10, 2, v10
	v_cndmask_b32_e32 v12, v7, v12, vcc_lo
	v_lshlrev_b32_e32 v12, 2, v12
	s_waitcnt lgkmcnt(1)
	v_add_f32_e32 v9, v13, v9
	s_waitcnt lgkmcnt(0)
	v_add_f32_e32 v8, v11, v8
	ds_bpermute_b32 v11, v10, v9
	ds_bpermute_b32 v10, v10, v8
	s_waitcnt lgkmcnt(1)
	v_add_f32_e32 v9, v9, v11
	s_waitcnt lgkmcnt(0)
	v_add_f32_e32 v8, v8, v10
	ds_bpermute_b32 v10, v12, v9
	ds_bpermute_b32 v11, v12, v8
	v_xor_b32_e32 v12, 4, v7
	v_cmp_gt_i32_e32 vcc_lo, 32, v12
	v_cndmask_b32_e32 v12, v7, v12, vcc_lo
	v_lshlrev_b32_e32 v12, 2, v12
	s_waitcnt lgkmcnt(1)
	v_add_f32_e32 v9, v9, v10
	s_waitcnt lgkmcnt(0)
	v_add_f32_e32 v8, v8, v11
	ds_bpermute_b32 v10, v12, v9
	ds_bpermute_b32 v11, v12, v8
	v_xor_b32_e32 v12, 2, v7
	v_cmp_gt_i32_e32 vcc_lo, 32, v12
	v_cndmask_b32_e32 v12, v7, v12, vcc_lo
	v_lshlrev_b32_e32 v12, 2, v12
	s_waitcnt lgkmcnt(1)
	v_add_f32_e32 v9, v9, v10
	s_waitcnt lgkmcnt(0)
	v_add_f32_e32 v8, v8, v11
	ds_bpermute_b32 v10, v12, v9
	ds_bpermute_b32 v11, v12, v8
	v_xor_b32_e32 v12, 1, v7
	v_cmp_gt_i32_e32 vcc_lo, 32, v12
	v_cndmask_b32_e32 v7, v7, v12, vcc_lo
	v_cmp_eq_u32_e32 vcc_lo, 63, v0
	v_lshlrev_b32_e32 v12, 2, v7
	s_waitcnt lgkmcnt(1)
	v_add_f32_e32 v7, v9, v10
	s_waitcnt lgkmcnt(0)
	v_add_f32_e32 v9, v8, v11
	ds_bpermute_b32 v8, v12, v7
	ds_bpermute_b32 v10, v12, v9
	s_and_b32 exec_lo, exec_lo, vcc_lo
	s_cbranch_execz .LBB186_13
; %bb.9:
	s_waitcnt lgkmcnt(0)
	v_add_f32_e32 v0, v9, v10
	v_add_f32_e32 v9, v7, v8
	v_cmp_eq_f32_e32 vcc_lo, 0, v1
	v_cmp_eq_f32_e64 s0, 0, v2
	v_lshlrev_b64 v[5:6], 3, v[5:6]
	v_mul_f32_e64 v7, v0, -v4
	v_mul_f32_e32 v8, v3, v0
	s_and_b32 s0, vcc_lo, s0
	v_fmac_f32_e32 v7, v3, v9
	v_fmac_f32_e32 v8, v4, v9
	s_and_saveexec_b32 s1, s0
	s_xor_b32 s0, exec_lo, s1
	s_cbranch_execz .LBB186_11
; %bb.10:
	v_add_co_u32 v0, vcc_lo, s6, v5
	v_add_co_ci_u32_e64 v1, null, s7, v6, vcc_lo
                                        ; implicit-def: $vgpr5_vgpr6
	global_store_dwordx2 v[0:1], v[7:8], off
                                        ; implicit-def: $vgpr1_vgpr2
                                        ; implicit-def: $vgpr7
.LBB186_11:
	s_andn2_saveexec_b32 s0, s0
	s_cbranch_execz .LBB186_13
; %bb.12:
	v_add_co_u32 v3, vcc_lo, s6, v5
	v_add_co_ci_u32_e64 v4, null, s7, v6, vcc_lo
	global_load_dwordx2 v[5:6], v[3:4], off
	s_waitcnt vmcnt(0)
	v_fmac_f32_e32 v7, v1, v5
	v_fmac_f32_e32 v8, v2, v5
	v_fma_f32 v7, -v2, v6, v7
	v_fmac_f32_e32 v8, v1, v6
	global_store_dwordx2 v[3:4], v[7:8], off
.LBB186_13:
	s_endpgm
	.section	.rodata,"a",@progbits
	.p2align	6, 0x0
	.amdhsa_kernel _ZN9rocsparseL19gebsrmvn_1xn_kernelILj128ELj8ELj64E21rocsparse_complex_numIfEEEvi20rocsparse_direction_NS_24const_host_device_scalarIT2_EEPKiS8_PKS5_SA_S6_PS5_21rocsparse_index_base_b
		.amdhsa_group_segment_fixed_size 0
		.amdhsa_private_segment_fixed_size 0
		.amdhsa_kernarg_size 72
		.amdhsa_user_sgpr_count 6
		.amdhsa_user_sgpr_private_segment_buffer 1
		.amdhsa_user_sgpr_dispatch_ptr 0
		.amdhsa_user_sgpr_queue_ptr 0
		.amdhsa_user_sgpr_kernarg_segment_ptr 1
		.amdhsa_user_sgpr_dispatch_id 0
		.amdhsa_user_sgpr_flat_scratch_init 0
		.amdhsa_user_sgpr_private_segment_size 0
		.amdhsa_wavefront_size32 1
		.amdhsa_uses_dynamic_stack 0
		.amdhsa_system_sgpr_private_segment_wavefront_offset 0
		.amdhsa_system_sgpr_workgroup_id_x 1
		.amdhsa_system_sgpr_workgroup_id_y 0
		.amdhsa_system_sgpr_workgroup_id_z 0
		.amdhsa_system_sgpr_workgroup_info 0
		.amdhsa_system_vgpr_workitem_id 0
		.amdhsa_next_free_vgpr 46
		.amdhsa_next_free_sgpr 13
		.amdhsa_reserve_vcc 1
		.amdhsa_reserve_flat_scratch 0
		.amdhsa_float_round_mode_32 0
		.amdhsa_float_round_mode_16_64 0
		.amdhsa_float_denorm_mode_32 3
		.amdhsa_float_denorm_mode_16_64 3
		.amdhsa_dx10_clamp 1
		.amdhsa_ieee_mode 1
		.amdhsa_fp16_overflow 0
		.amdhsa_workgroup_processor_mode 1
		.amdhsa_memory_ordered 1
		.amdhsa_forward_progress 1
		.amdhsa_shared_vgpr_count 0
		.amdhsa_exception_fp_ieee_invalid_op 0
		.amdhsa_exception_fp_denorm_src 0
		.amdhsa_exception_fp_ieee_div_zero 0
		.amdhsa_exception_fp_ieee_overflow 0
		.amdhsa_exception_fp_ieee_underflow 0
		.amdhsa_exception_fp_ieee_inexact 0
		.amdhsa_exception_int_div_zero 0
	.end_amdhsa_kernel
	.section	.text._ZN9rocsparseL19gebsrmvn_1xn_kernelILj128ELj8ELj64E21rocsparse_complex_numIfEEEvi20rocsparse_direction_NS_24const_host_device_scalarIT2_EEPKiS8_PKS5_SA_S6_PS5_21rocsparse_index_base_b,"axG",@progbits,_ZN9rocsparseL19gebsrmvn_1xn_kernelILj128ELj8ELj64E21rocsparse_complex_numIfEEEvi20rocsparse_direction_NS_24const_host_device_scalarIT2_EEPKiS8_PKS5_SA_S6_PS5_21rocsparse_index_base_b,comdat
.Lfunc_end186:
	.size	_ZN9rocsparseL19gebsrmvn_1xn_kernelILj128ELj8ELj64E21rocsparse_complex_numIfEEEvi20rocsparse_direction_NS_24const_host_device_scalarIT2_EEPKiS8_PKS5_SA_S6_PS5_21rocsparse_index_base_b, .Lfunc_end186-_ZN9rocsparseL19gebsrmvn_1xn_kernelILj128ELj8ELj64E21rocsparse_complex_numIfEEEvi20rocsparse_direction_NS_24const_host_device_scalarIT2_EEPKiS8_PKS5_SA_S6_PS5_21rocsparse_index_base_b
                                        ; -- End function
	.set _ZN9rocsparseL19gebsrmvn_1xn_kernelILj128ELj8ELj64E21rocsparse_complex_numIfEEEvi20rocsparse_direction_NS_24const_host_device_scalarIT2_EEPKiS8_PKS5_SA_S6_PS5_21rocsparse_index_base_b.num_vgpr, 46
	.set _ZN9rocsparseL19gebsrmvn_1xn_kernelILj128ELj8ELj64E21rocsparse_complex_numIfEEEvi20rocsparse_direction_NS_24const_host_device_scalarIT2_EEPKiS8_PKS5_SA_S6_PS5_21rocsparse_index_base_b.num_agpr, 0
	.set _ZN9rocsparseL19gebsrmvn_1xn_kernelILj128ELj8ELj64E21rocsparse_complex_numIfEEEvi20rocsparse_direction_NS_24const_host_device_scalarIT2_EEPKiS8_PKS5_SA_S6_PS5_21rocsparse_index_base_b.numbered_sgpr, 13
	.set _ZN9rocsparseL19gebsrmvn_1xn_kernelILj128ELj8ELj64E21rocsparse_complex_numIfEEEvi20rocsparse_direction_NS_24const_host_device_scalarIT2_EEPKiS8_PKS5_SA_S6_PS5_21rocsparse_index_base_b.num_named_barrier, 0
	.set _ZN9rocsparseL19gebsrmvn_1xn_kernelILj128ELj8ELj64E21rocsparse_complex_numIfEEEvi20rocsparse_direction_NS_24const_host_device_scalarIT2_EEPKiS8_PKS5_SA_S6_PS5_21rocsparse_index_base_b.private_seg_size, 0
	.set _ZN9rocsparseL19gebsrmvn_1xn_kernelILj128ELj8ELj64E21rocsparse_complex_numIfEEEvi20rocsparse_direction_NS_24const_host_device_scalarIT2_EEPKiS8_PKS5_SA_S6_PS5_21rocsparse_index_base_b.uses_vcc, 1
	.set _ZN9rocsparseL19gebsrmvn_1xn_kernelILj128ELj8ELj64E21rocsparse_complex_numIfEEEvi20rocsparse_direction_NS_24const_host_device_scalarIT2_EEPKiS8_PKS5_SA_S6_PS5_21rocsparse_index_base_b.uses_flat_scratch, 0
	.set _ZN9rocsparseL19gebsrmvn_1xn_kernelILj128ELj8ELj64E21rocsparse_complex_numIfEEEvi20rocsparse_direction_NS_24const_host_device_scalarIT2_EEPKiS8_PKS5_SA_S6_PS5_21rocsparse_index_base_b.has_dyn_sized_stack, 0
	.set _ZN9rocsparseL19gebsrmvn_1xn_kernelILj128ELj8ELj64E21rocsparse_complex_numIfEEEvi20rocsparse_direction_NS_24const_host_device_scalarIT2_EEPKiS8_PKS5_SA_S6_PS5_21rocsparse_index_base_b.has_recursion, 0
	.set _ZN9rocsparseL19gebsrmvn_1xn_kernelILj128ELj8ELj64E21rocsparse_complex_numIfEEEvi20rocsparse_direction_NS_24const_host_device_scalarIT2_EEPKiS8_PKS5_SA_S6_PS5_21rocsparse_index_base_b.has_indirect_call, 0
	.section	.AMDGPU.csdata,"",@progbits
; Kernel info:
; codeLenInByte = 1196
; TotalNumSgprs: 15
; NumVgprs: 46
; ScratchSize: 0
; MemoryBound: 0
; FloatMode: 240
; IeeeMode: 1
; LDSByteSize: 0 bytes/workgroup (compile time only)
; SGPRBlocks: 0
; VGPRBlocks: 5
; NumSGPRsForWavesPerEU: 15
; NumVGPRsForWavesPerEU: 46
; Occupancy: 16
; WaveLimiterHint : 1
; COMPUTE_PGM_RSRC2:SCRATCH_EN: 0
; COMPUTE_PGM_RSRC2:USER_SGPR: 6
; COMPUTE_PGM_RSRC2:TRAP_HANDLER: 0
; COMPUTE_PGM_RSRC2:TGID_X_EN: 1
; COMPUTE_PGM_RSRC2:TGID_Y_EN: 0
; COMPUTE_PGM_RSRC2:TGID_Z_EN: 0
; COMPUTE_PGM_RSRC2:TIDIG_COMP_CNT: 0
	.section	.text._ZN9rocsparseL19gebsrmvn_1xn_kernelILj128ELj9ELj4E21rocsparse_complex_numIfEEEvi20rocsparse_direction_NS_24const_host_device_scalarIT2_EEPKiS8_PKS5_SA_S6_PS5_21rocsparse_index_base_b,"axG",@progbits,_ZN9rocsparseL19gebsrmvn_1xn_kernelILj128ELj9ELj4E21rocsparse_complex_numIfEEEvi20rocsparse_direction_NS_24const_host_device_scalarIT2_EEPKiS8_PKS5_SA_S6_PS5_21rocsparse_index_base_b,comdat
	.globl	_ZN9rocsparseL19gebsrmvn_1xn_kernelILj128ELj9ELj4E21rocsparse_complex_numIfEEEvi20rocsparse_direction_NS_24const_host_device_scalarIT2_EEPKiS8_PKS5_SA_S6_PS5_21rocsparse_index_base_b ; -- Begin function _ZN9rocsparseL19gebsrmvn_1xn_kernelILj128ELj9ELj4E21rocsparse_complex_numIfEEEvi20rocsparse_direction_NS_24const_host_device_scalarIT2_EEPKiS8_PKS5_SA_S6_PS5_21rocsparse_index_base_b
	.p2align	8
	.type	_ZN9rocsparseL19gebsrmvn_1xn_kernelILj128ELj9ELj4E21rocsparse_complex_numIfEEEvi20rocsparse_direction_NS_24const_host_device_scalarIT2_EEPKiS8_PKS5_SA_S6_PS5_21rocsparse_index_base_b,@function
_ZN9rocsparseL19gebsrmvn_1xn_kernelILj128ELj9ELj4E21rocsparse_complex_numIfEEEvi20rocsparse_direction_NS_24const_host_device_scalarIT2_EEPKiS8_PKS5_SA_S6_PS5_21rocsparse_index_base_b: ; @_ZN9rocsparseL19gebsrmvn_1xn_kernelILj128ELj9ELj4E21rocsparse_complex_numIfEEEvi20rocsparse_direction_NS_24const_host_device_scalarIT2_EEPKiS8_PKS5_SA_S6_PS5_21rocsparse_index_base_b
; %bb.0:
	s_clause 0x2
	s_load_dwordx2 s[8:9], s[4:5], 0x40
	s_load_dwordx2 s[0:1], s[4:5], 0x8
	;; [unrolled: 1-line block ×3, first 2 shown]
	s_add_u32 s7, s4, 8
	s_addc_u32 s10, s5, 0
	s_add_u32 s11, s4, 48
	s_addc_u32 s12, s5, 0
	s_waitcnt lgkmcnt(0)
	s_bitcmp1_b32 s9, 0
	s_cselect_b32 s0, s7, s0
	s_cselect_b32 s1, s10, s1
	v_mov_b32_e32 v1, s0
	v_mov_b32_e32 v2, s1
	s_cselect_b32 s0, s11, s2
	s_cselect_b32 s1, s12, s3
	flat_load_dwordx2 v[3:4], v[1:2]
	v_mov_b32_e32 v1, s0
	v_mov_b32_e32 v2, s1
	flat_load_dwordx2 v[1:2], v[1:2]
	s_waitcnt vmcnt(1) lgkmcnt(1)
	v_cmp_eq_f32_e32 vcc_lo, 0, v3
	v_cmp_eq_f32_e64 s0, 0, v4
	s_and_b32 s2, vcc_lo, s0
	s_mov_b32 s0, -1
	s_and_saveexec_b32 s1, s2
	s_cbranch_execz .LBB187_2
; %bb.1:
	s_waitcnt vmcnt(0) lgkmcnt(0)
	v_cmp_neq_f32_e32 vcc_lo, 1.0, v1
	v_cmp_neq_f32_e64 s0, 0, v2
	s_or_b32 s0, vcc_lo, s0
	s_orn2_b32 s0, s0, exec_lo
.LBB187_2:
	s_or_b32 exec_lo, exec_lo, s1
	s_and_saveexec_b32 s1, s0
	s_cbranch_execz .LBB187_13
; %bb.3:
	s_load_dword s0, s[4:5], 0x0
	v_lshrrev_b32_e32 v5, 2, v0
	v_lshl_or_b32 v5, s6, 5, v5
	s_waitcnt lgkmcnt(0)
	v_cmp_gt_i32_e32 vcc_lo, s0, v5
	s_and_b32 exec_lo, exec_lo, vcc_lo
	s_cbranch_execz .LBB187_13
; %bb.4:
	s_clause 0x1
	s_load_dwordx2 s[0:1], s[4:5], 0x10
	s_load_dwordx2 s[6:7], s[4:5], 0x38
	v_ashrrev_i32_e32 v6, 31, v5
	v_and_b32_e32 v0, 3, v0
	v_mov_b32_e32 v13, 0
	v_mov_b32_e32 v15, 0
	s_mov_b32 s9, exec_lo
	v_lshlrev_b64 v[7:8], 2, v[5:6]
	v_subrev_nc_u32_e32 v9, s8, v0
	s_waitcnt lgkmcnt(0)
	v_add_co_u32 v7, vcc_lo, s0, v7
	v_add_co_ci_u32_e64 v8, null, s1, v8, vcc_lo
	global_load_dwordx2 v[7:8], v[7:8], off
	s_waitcnt vmcnt(0)
	v_subrev_nc_u32_e32 v14, s8, v8
	v_add_nc_u32_e32 v7, v7, v9
	v_cmpx_lt_i32_e64 v7, v14
	s_cbranch_execz .LBB187_8
; %bb.5:
	s_clause 0x1
	s_load_dwordx4 s[0:3], s[4:5], 0x18
	s_load_dwordx2 s[4:5], s[4:5], 0x28
	v_mad_u64_u32 v[9:10], null, v7, 9, 8
	v_mov_b32_e32 v12, 0
	v_mov_b32_e32 v13, 0
	;; [unrolled: 1-line block ×3, first 2 shown]
	s_mov_b32 s10, 0
.LBB187_6:                              ; =>This Inner Loop Header: Depth=1
	v_ashrrev_i32_e32 v8, 31, v7
	v_mov_b32_e32 v17, v12
	v_lshlrev_b64 v[10:11], 2, v[7:8]
	v_add_nc_u32_e32 v7, 4, v7
	s_waitcnt lgkmcnt(0)
	v_add_co_u32 v10, vcc_lo, s0, v10
	v_add_co_ci_u32_e64 v11, null, s1, v11, vcc_lo
	global_load_dword v8, v[10:11], off
	v_add_nc_u32_e32 v11, -8, v9
	v_mov_b32_e32 v10, v12
	v_lshlrev_b64 v[18:19], 3, v[11:12]
	v_add_nc_u32_e32 v11, -7, v9
	v_lshlrev_b64 v[20:21], 3, v[9:10]
	v_lshlrev_b64 v[10:11], 3, v[11:12]
	v_add_co_u32 v18, vcc_lo, s2, v18
	v_add_co_ci_u32_e64 v19, null, s3, v19, vcc_lo
	v_add_co_u32 v20, vcc_lo, s2, v20
	v_add_co_ci_u32_e64 v21, null, s3, v21, vcc_lo
	;; [unrolled: 2-line block ×3, first 2 shown]
	s_clause 0x1
	global_load_dwordx2 v[18:19], v[18:19], off
	global_load_dwordx2 v[22:23], v[10:11], off
	s_waitcnt vmcnt(2)
	v_subrev_nc_u32_e32 v8, s8, v8
	v_lshl_add_u32 v16, v8, 3, v8
	v_lshlrev_b64 v[24:25], 3, v[16:17]
	v_add_nc_u32_e32 v11, 1, v16
	v_lshlrev_b64 v[26:27], 3, v[11:12]
	v_add_co_u32 v24, vcc_lo, s4, v24
	v_add_co_ci_u32_e64 v25, null, s5, v25, vcc_lo
	v_add_nc_u32_e32 v11, -6, v9
	v_add_co_u32 v26, vcc_lo, s4, v26
	global_load_dwordx2 v[24:25], v[24:25], off
	v_add_co_ci_u32_e64 v27, null, s5, v27, vcc_lo
	v_lshlrev_b64 v[28:29], 3, v[11:12]
	v_add_nc_u32_e32 v11, 2, v16
	global_load_dwordx2 v[26:27], v[26:27], off
	v_lshlrev_b64 v[30:31], 3, v[11:12]
	v_add_nc_u32_e32 v11, -5, v9
	v_add_co_u32 v28, vcc_lo, s2, v28
	v_add_co_ci_u32_e64 v29, null, s3, v29, vcc_lo
	v_lshlrev_b64 v[32:33], 3, v[11:12]
	v_add_nc_u32_e32 v11, 3, v16
	v_add_co_u32 v30, vcc_lo, s4, v30
	v_add_co_ci_u32_e64 v31, null, s5, v31, vcc_lo
	v_lshlrev_b64 v[34:35], 3, v[11:12]
	v_add_nc_u32_e32 v11, -4, v9
	global_load_dwordx2 v[28:29], v[28:29], off
	global_load_dwordx2 v[30:31], v[30:31], off
	v_add_co_u32 v32, vcc_lo, s2, v32
	v_lshlrev_b64 v[36:37], 3, v[11:12]
	v_add_nc_u32_e32 v11, 4, v16
	v_add_co_ci_u32_e64 v33, null, s3, v33, vcc_lo
	v_add_co_u32 v34, vcc_lo, s4, v34
	v_add_co_ci_u32_e64 v35, null, s5, v35, vcc_lo
	v_lshlrev_b64 v[38:39], 3, v[11:12]
	v_add_nc_u32_e32 v11, -3, v9
	global_load_dwordx2 v[32:33], v[32:33], off
	global_load_dwordx2 v[34:35], v[34:35], off
	v_add_co_u32 v36, vcc_lo, s2, v36
	v_lshlrev_b64 v[40:41], 3, v[11:12]
	v_add_nc_u32_e32 v11, 5, v16
	v_add_co_ci_u32_e64 v37, null, s3, v37, vcc_lo
	v_add_co_u32 v38, vcc_lo, s4, v38
	v_add_co_ci_u32_e64 v39, null, s5, v39, vcc_lo
	v_lshlrev_b64 v[42:43], 3, v[11:12]
	v_add_nc_u32_e32 v11, -2, v9
	global_load_dwordx2 v[36:37], v[36:37], off
	global_load_dwordx2 v[38:39], v[38:39], off
	v_add_co_u32 v40, vcc_lo, s2, v40
	v_lshlrev_b64 v[44:45], 3, v[11:12]
	v_add_nc_u32_e32 v11, 6, v16
	v_add_co_ci_u32_e64 v41, null, s3, v41, vcc_lo
	v_add_co_u32 v42, vcc_lo, s4, v42
	v_add_co_ci_u32_e64 v43, null, s5, v43, vcc_lo
	v_lshlrev_b64 v[46:47], 3, v[11:12]
	v_add_nc_u32_e32 v11, -1, v9
	global_load_dwordx2 v[40:41], v[40:41], off
	global_load_dwordx2 v[42:43], v[42:43], off
	v_add_co_u32 v44, vcc_lo, s2, v44
	v_add_co_ci_u32_e64 v45, null, s3, v45, vcc_lo
	v_lshlrev_b64 v[48:49], 3, v[11:12]
	v_add_nc_u32_e32 v11, 7, v16
	v_add_co_u32 v46, vcc_lo, s4, v46
	v_add_co_ci_u32_e64 v47, null, s5, v47, vcc_lo
	v_lshlrev_b64 v[50:51], 3, v[11:12]
	global_load_dwordx2 v[44:45], v[44:45], off
	v_add_nc_u32_e32 v11, 8, v16
	global_load_dwordx2 v[16:17], v[46:47], off
	v_add_co_u32 v46, vcc_lo, s2, v48
	v_add_co_ci_u32_e64 v47, null, s3, v49, vcc_lo
	v_add_co_u32 v48, vcc_lo, s4, v50
	v_add_co_ci_u32_e64 v49, null, s5, v51, vcc_lo
	v_lshlrev_b64 v[10:11], 3, v[11:12]
	global_load_dwordx2 v[46:47], v[46:47], off
	global_load_dwordx2 v[48:49], v[48:49], off
	v_add_nc_u32_e32 v9, 36, v9
	v_add_co_u32 v10, vcc_lo, s4, v10
	v_add_co_ci_u32_e64 v11, null, s5, v11, vcc_lo
	global_load_dwordx2 v[20:21], v[20:21], off
	global_load_dwordx2 v[10:11], v[10:11], off
	v_cmp_ge_i32_e32 vcc_lo, v7, v14
	s_or_b32 s10, vcc_lo, s10
	s_waitcnt vmcnt(15)
	v_fmac_f32_e32 v15, v18, v24
	v_fmac_f32_e32 v13, v19, v24
	v_fma_f32 v8, -v19, v25, v15
	v_fmac_f32_e32 v13, v18, v25
	s_waitcnt vmcnt(14)
	v_fmac_f32_e32 v8, v22, v26
	v_fmac_f32_e32 v13, v23, v26
	v_fma_f32 v8, -v23, v27, v8
	v_fmac_f32_e32 v13, v22, v27
	s_waitcnt vmcnt(12)
	v_fmac_f32_e32 v8, v28, v30
	v_fmac_f32_e32 v13, v29, v30
	v_fma_f32 v8, -v29, v31, v8
	v_fmac_f32_e32 v13, v28, v31
	s_waitcnt vmcnt(10)
	v_fmac_f32_e32 v8, v32, v34
	v_fmac_f32_e32 v13, v33, v34
	v_fma_f32 v8, -v33, v35, v8
	v_fmac_f32_e32 v13, v32, v35
	s_waitcnt vmcnt(8)
	v_fmac_f32_e32 v8, v36, v38
	v_fmac_f32_e32 v13, v37, v38
	v_fma_f32 v8, -v37, v39, v8
	v_fmac_f32_e32 v13, v36, v39
	s_waitcnt vmcnt(6)
	v_fmac_f32_e32 v8, v40, v42
	v_fmac_f32_e32 v13, v41, v42
	v_fma_f32 v8, -v41, v43, v8
	v_fmac_f32_e32 v13, v40, v43
	s_waitcnt vmcnt(4)
	v_fmac_f32_e32 v8, v44, v16
	v_fmac_f32_e32 v13, v45, v16
	v_fma_f32 v8, -v45, v17, v8
	v_fmac_f32_e32 v13, v44, v17
	s_waitcnt vmcnt(2)
	v_fmac_f32_e32 v8, v46, v48
	v_fmac_f32_e32 v13, v47, v48
	v_fma_f32 v8, -v47, v49, v8
	v_fmac_f32_e32 v13, v46, v49
	s_waitcnt vmcnt(0)
	v_fmac_f32_e32 v8, v20, v10
	v_fmac_f32_e32 v13, v21, v10
	v_fma_f32 v15, -v21, v11, v8
	v_fmac_f32_e32 v13, v20, v11
	s_andn2_b32 exec_lo, exec_lo, s10
	s_cbranch_execnz .LBB187_6
; %bb.7:
	s_or_b32 exec_lo, exec_lo, s10
.LBB187_8:
	s_or_b32 exec_lo, exec_lo, s9
	v_mbcnt_lo_u32_b32 v7, -1, 0
	v_xor_b32_e32 v8, 2, v7
	v_xor_b32_e32 v10, 1, v7
	v_cmp_gt_i32_e32 vcc_lo, 32, v8
	v_cndmask_b32_e32 v8, v7, v8, vcc_lo
	v_cmp_gt_i32_e32 vcc_lo, 32, v10
	v_lshlrev_b32_e32 v8, 2, v8
	v_cndmask_b32_e32 v7, v7, v10, vcc_lo
	v_cmp_eq_u32_e32 vcc_lo, 3, v0
	ds_bpermute_b32 v9, v8, v15
	ds_bpermute_b32 v8, v8, v13
	v_lshlrev_b32_e32 v10, 2, v7
	s_waitcnt lgkmcnt(1)
	v_add_f32_e32 v7, v15, v9
	s_waitcnt lgkmcnt(0)
	v_add_f32_e32 v9, v13, v8
	ds_bpermute_b32 v8, v10, v7
	ds_bpermute_b32 v10, v10, v9
	s_and_b32 exec_lo, exec_lo, vcc_lo
	s_cbranch_execz .LBB187_13
; %bb.9:
	s_waitcnt lgkmcnt(0)
	v_add_f32_e32 v0, v9, v10
	v_add_f32_e32 v9, v7, v8
	v_cmp_eq_f32_e32 vcc_lo, 0, v1
	v_cmp_eq_f32_e64 s0, 0, v2
	v_lshlrev_b64 v[5:6], 3, v[5:6]
	v_mul_f32_e64 v7, v0, -v4
	v_mul_f32_e32 v8, v3, v0
	s_and_b32 s0, vcc_lo, s0
	v_fmac_f32_e32 v7, v3, v9
	v_fmac_f32_e32 v8, v4, v9
	s_and_saveexec_b32 s1, s0
	s_xor_b32 s0, exec_lo, s1
	s_cbranch_execz .LBB187_11
; %bb.10:
	v_add_co_u32 v0, vcc_lo, s6, v5
	v_add_co_ci_u32_e64 v1, null, s7, v6, vcc_lo
                                        ; implicit-def: $vgpr5_vgpr6
	global_store_dwordx2 v[0:1], v[7:8], off
                                        ; implicit-def: $vgpr1_vgpr2
                                        ; implicit-def: $vgpr7
.LBB187_11:
	s_andn2_saveexec_b32 s0, s0
	s_cbranch_execz .LBB187_13
; %bb.12:
	v_add_co_u32 v3, vcc_lo, s6, v5
	v_add_co_ci_u32_e64 v4, null, s7, v6, vcc_lo
	global_load_dwordx2 v[5:6], v[3:4], off
	s_waitcnt vmcnt(0)
	v_fmac_f32_e32 v7, v1, v5
	v_fmac_f32_e32 v8, v2, v5
	v_fma_f32 v7, -v2, v6, v7
	v_fmac_f32_e32 v8, v1, v6
	global_store_dwordx2 v[3:4], v[7:8], off
.LBB187_13:
	s_endpgm
	.section	.rodata,"a",@progbits
	.p2align	6, 0x0
	.amdhsa_kernel _ZN9rocsparseL19gebsrmvn_1xn_kernelILj128ELj9ELj4E21rocsparse_complex_numIfEEEvi20rocsparse_direction_NS_24const_host_device_scalarIT2_EEPKiS8_PKS5_SA_S6_PS5_21rocsparse_index_base_b
		.amdhsa_group_segment_fixed_size 0
		.amdhsa_private_segment_fixed_size 0
		.amdhsa_kernarg_size 72
		.amdhsa_user_sgpr_count 6
		.amdhsa_user_sgpr_private_segment_buffer 1
		.amdhsa_user_sgpr_dispatch_ptr 0
		.amdhsa_user_sgpr_queue_ptr 0
		.amdhsa_user_sgpr_kernarg_segment_ptr 1
		.amdhsa_user_sgpr_dispatch_id 0
		.amdhsa_user_sgpr_flat_scratch_init 0
		.amdhsa_user_sgpr_private_segment_size 0
		.amdhsa_wavefront_size32 1
		.amdhsa_uses_dynamic_stack 0
		.amdhsa_system_sgpr_private_segment_wavefront_offset 0
		.amdhsa_system_sgpr_workgroup_id_x 1
		.amdhsa_system_sgpr_workgroup_id_y 0
		.amdhsa_system_sgpr_workgroup_id_z 0
		.amdhsa_system_sgpr_workgroup_info 0
		.amdhsa_system_vgpr_workitem_id 0
		.amdhsa_next_free_vgpr 52
		.amdhsa_next_free_sgpr 13
		.amdhsa_reserve_vcc 1
		.amdhsa_reserve_flat_scratch 0
		.amdhsa_float_round_mode_32 0
		.amdhsa_float_round_mode_16_64 0
		.amdhsa_float_denorm_mode_32 3
		.amdhsa_float_denorm_mode_16_64 3
		.amdhsa_dx10_clamp 1
		.amdhsa_ieee_mode 1
		.amdhsa_fp16_overflow 0
		.amdhsa_workgroup_processor_mode 1
		.amdhsa_memory_ordered 1
		.amdhsa_forward_progress 1
		.amdhsa_shared_vgpr_count 0
		.amdhsa_exception_fp_ieee_invalid_op 0
		.amdhsa_exception_fp_denorm_src 0
		.amdhsa_exception_fp_ieee_div_zero 0
		.amdhsa_exception_fp_ieee_overflow 0
		.amdhsa_exception_fp_ieee_underflow 0
		.amdhsa_exception_fp_ieee_inexact 0
		.amdhsa_exception_int_div_zero 0
	.end_amdhsa_kernel
	.section	.text._ZN9rocsparseL19gebsrmvn_1xn_kernelILj128ELj9ELj4E21rocsparse_complex_numIfEEEvi20rocsparse_direction_NS_24const_host_device_scalarIT2_EEPKiS8_PKS5_SA_S6_PS5_21rocsparse_index_base_b,"axG",@progbits,_ZN9rocsparseL19gebsrmvn_1xn_kernelILj128ELj9ELj4E21rocsparse_complex_numIfEEEvi20rocsparse_direction_NS_24const_host_device_scalarIT2_EEPKiS8_PKS5_SA_S6_PS5_21rocsparse_index_base_b,comdat
.Lfunc_end187:
	.size	_ZN9rocsparseL19gebsrmvn_1xn_kernelILj128ELj9ELj4E21rocsparse_complex_numIfEEEvi20rocsparse_direction_NS_24const_host_device_scalarIT2_EEPKiS8_PKS5_SA_S6_PS5_21rocsparse_index_base_b, .Lfunc_end187-_ZN9rocsparseL19gebsrmvn_1xn_kernelILj128ELj9ELj4E21rocsparse_complex_numIfEEEvi20rocsparse_direction_NS_24const_host_device_scalarIT2_EEPKiS8_PKS5_SA_S6_PS5_21rocsparse_index_base_b
                                        ; -- End function
	.set _ZN9rocsparseL19gebsrmvn_1xn_kernelILj128ELj9ELj4E21rocsparse_complex_numIfEEEvi20rocsparse_direction_NS_24const_host_device_scalarIT2_EEPKiS8_PKS5_SA_S6_PS5_21rocsparse_index_base_b.num_vgpr, 52
	.set _ZN9rocsparseL19gebsrmvn_1xn_kernelILj128ELj9ELj4E21rocsparse_complex_numIfEEEvi20rocsparse_direction_NS_24const_host_device_scalarIT2_EEPKiS8_PKS5_SA_S6_PS5_21rocsparse_index_base_b.num_agpr, 0
	.set _ZN9rocsparseL19gebsrmvn_1xn_kernelILj128ELj9ELj4E21rocsparse_complex_numIfEEEvi20rocsparse_direction_NS_24const_host_device_scalarIT2_EEPKiS8_PKS5_SA_S6_PS5_21rocsparse_index_base_b.numbered_sgpr, 13
	.set _ZN9rocsparseL19gebsrmvn_1xn_kernelILj128ELj9ELj4E21rocsparse_complex_numIfEEEvi20rocsparse_direction_NS_24const_host_device_scalarIT2_EEPKiS8_PKS5_SA_S6_PS5_21rocsparse_index_base_b.num_named_barrier, 0
	.set _ZN9rocsparseL19gebsrmvn_1xn_kernelILj128ELj9ELj4E21rocsparse_complex_numIfEEEvi20rocsparse_direction_NS_24const_host_device_scalarIT2_EEPKiS8_PKS5_SA_S6_PS5_21rocsparse_index_base_b.private_seg_size, 0
	.set _ZN9rocsparseL19gebsrmvn_1xn_kernelILj128ELj9ELj4E21rocsparse_complex_numIfEEEvi20rocsparse_direction_NS_24const_host_device_scalarIT2_EEPKiS8_PKS5_SA_S6_PS5_21rocsparse_index_base_b.uses_vcc, 1
	.set _ZN9rocsparseL19gebsrmvn_1xn_kernelILj128ELj9ELj4E21rocsparse_complex_numIfEEEvi20rocsparse_direction_NS_24const_host_device_scalarIT2_EEPKiS8_PKS5_SA_S6_PS5_21rocsparse_index_base_b.uses_flat_scratch, 0
	.set _ZN9rocsparseL19gebsrmvn_1xn_kernelILj128ELj9ELj4E21rocsparse_complex_numIfEEEvi20rocsparse_direction_NS_24const_host_device_scalarIT2_EEPKiS8_PKS5_SA_S6_PS5_21rocsparse_index_base_b.has_dyn_sized_stack, 0
	.set _ZN9rocsparseL19gebsrmvn_1xn_kernelILj128ELj9ELj4E21rocsparse_complex_numIfEEEvi20rocsparse_direction_NS_24const_host_device_scalarIT2_EEPKiS8_PKS5_SA_S6_PS5_21rocsparse_index_base_b.has_recursion, 0
	.set _ZN9rocsparseL19gebsrmvn_1xn_kernelILj128ELj9ELj4E21rocsparse_complex_numIfEEEvi20rocsparse_direction_NS_24const_host_device_scalarIT2_EEPKiS8_PKS5_SA_S6_PS5_21rocsparse_index_base_b.has_indirect_call, 0
	.section	.AMDGPU.csdata,"",@progbits
; Kernel info:
; codeLenInByte = 1568
; TotalNumSgprs: 15
; NumVgprs: 52
; ScratchSize: 0
; MemoryBound: 0
; FloatMode: 240
; IeeeMode: 1
; LDSByteSize: 0 bytes/workgroup (compile time only)
; SGPRBlocks: 0
; VGPRBlocks: 6
; NumSGPRsForWavesPerEU: 15
; NumVGPRsForWavesPerEU: 52
; Occupancy: 16
; WaveLimiterHint : 1
; COMPUTE_PGM_RSRC2:SCRATCH_EN: 0
; COMPUTE_PGM_RSRC2:USER_SGPR: 6
; COMPUTE_PGM_RSRC2:TRAP_HANDLER: 0
; COMPUTE_PGM_RSRC2:TGID_X_EN: 1
; COMPUTE_PGM_RSRC2:TGID_Y_EN: 0
; COMPUTE_PGM_RSRC2:TGID_Z_EN: 0
; COMPUTE_PGM_RSRC2:TIDIG_COMP_CNT: 0
	.section	.text._ZN9rocsparseL19gebsrmvn_1xn_kernelILj128ELj9ELj8E21rocsparse_complex_numIfEEEvi20rocsparse_direction_NS_24const_host_device_scalarIT2_EEPKiS8_PKS5_SA_S6_PS5_21rocsparse_index_base_b,"axG",@progbits,_ZN9rocsparseL19gebsrmvn_1xn_kernelILj128ELj9ELj8E21rocsparse_complex_numIfEEEvi20rocsparse_direction_NS_24const_host_device_scalarIT2_EEPKiS8_PKS5_SA_S6_PS5_21rocsparse_index_base_b,comdat
	.globl	_ZN9rocsparseL19gebsrmvn_1xn_kernelILj128ELj9ELj8E21rocsparse_complex_numIfEEEvi20rocsparse_direction_NS_24const_host_device_scalarIT2_EEPKiS8_PKS5_SA_S6_PS5_21rocsparse_index_base_b ; -- Begin function _ZN9rocsparseL19gebsrmvn_1xn_kernelILj128ELj9ELj8E21rocsparse_complex_numIfEEEvi20rocsparse_direction_NS_24const_host_device_scalarIT2_EEPKiS8_PKS5_SA_S6_PS5_21rocsparse_index_base_b
	.p2align	8
	.type	_ZN9rocsparseL19gebsrmvn_1xn_kernelILj128ELj9ELj8E21rocsparse_complex_numIfEEEvi20rocsparse_direction_NS_24const_host_device_scalarIT2_EEPKiS8_PKS5_SA_S6_PS5_21rocsparse_index_base_b,@function
_ZN9rocsparseL19gebsrmvn_1xn_kernelILj128ELj9ELj8E21rocsparse_complex_numIfEEEvi20rocsparse_direction_NS_24const_host_device_scalarIT2_EEPKiS8_PKS5_SA_S6_PS5_21rocsparse_index_base_b: ; @_ZN9rocsparseL19gebsrmvn_1xn_kernelILj128ELj9ELj8E21rocsparse_complex_numIfEEEvi20rocsparse_direction_NS_24const_host_device_scalarIT2_EEPKiS8_PKS5_SA_S6_PS5_21rocsparse_index_base_b
; %bb.0:
	s_clause 0x2
	s_load_dwordx2 s[8:9], s[4:5], 0x40
	s_load_dwordx2 s[0:1], s[4:5], 0x8
	;; [unrolled: 1-line block ×3, first 2 shown]
	s_add_u32 s7, s4, 8
	s_addc_u32 s10, s5, 0
	s_add_u32 s11, s4, 48
	s_addc_u32 s12, s5, 0
	s_waitcnt lgkmcnt(0)
	s_bitcmp1_b32 s9, 0
	s_cselect_b32 s0, s7, s0
	s_cselect_b32 s1, s10, s1
	v_mov_b32_e32 v1, s0
	v_mov_b32_e32 v2, s1
	s_cselect_b32 s0, s11, s2
	s_cselect_b32 s1, s12, s3
	flat_load_dwordx2 v[3:4], v[1:2]
	v_mov_b32_e32 v1, s0
	v_mov_b32_e32 v2, s1
	flat_load_dwordx2 v[1:2], v[1:2]
	s_waitcnt vmcnt(1) lgkmcnt(1)
	v_cmp_eq_f32_e32 vcc_lo, 0, v3
	v_cmp_eq_f32_e64 s0, 0, v4
	s_and_b32 s2, vcc_lo, s0
	s_mov_b32 s0, -1
	s_and_saveexec_b32 s1, s2
	s_cbranch_execz .LBB188_2
; %bb.1:
	s_waitcnt vmcnt(0) lgkmcnt(0)
	v_cmp_neq_f32_e32 vcc_lo, 1.0, v1
	v_cmp_neq_f32_e64 s0, 0, v2
	s_or_b32 s0, vcc_lo, s0
	s_orn2_b32 s0, s0, exec_lo
.LBB188_2:
	s_or_b32 exec_lo, exec_lo, s1
	s_and_saveexec_b32 s1, s0
	s_cbranch_execz .LBB188_13
; %bb.3:
	s_load_dword s0, s[4:5], 0x0
	v_lshrrev_b32_e32 v5, 3, v0
	v_lshl_or_b32 v5, s6, 4, v5
	s_waitcnt lgkmcnt(0)
	v_cmp_gt_i32_e32 vcc_lo, s0, v5
	s_and_b32 exec_lo, exec_lo, vcc_lo
	s_cbranch_execz .LBB188_13
; %bb.4:
	s_clause 0x1
	s_load_dwordx2 s[0:1], s[4:5], 0x10
	s_load_dwordx2 s[6:7], s[4:5], 0x38
	v_ashrrev_i32_e32 v6, 31, v5
	v_and_b32_e32 v0, 7, v0
	v_mov_b32_e32 v13, 0
	v_mov_b32_e32 v15, 0
	s_mov_b32 s9, exec_lo
	v_lshlrev_b64 v[7:8], 2, v[5:6]
	v_subrev_nc_u32_e32 v9, s8, v0
	s_waitcnt lgkmcnt(0)
	v_add_co_u32 v7, vcc_lo, s0, v7
	v_add_co_ci_u32_e64 v8, null, s1, v8, vcc_lo
	global_load_dwordx2 v[7:8], v[7:8], off
	s_waitcnt vmcnt(0)
	v_subrev_nc_u32_e32 v14, s8, v8
	v_add_nc_u32_e32 v7, v7, v9
	v_cmpx_lt_i32_e64 v7, v14
	s_cbranch_execz .LBB188_8
; %bb.5:
	s_clause 0x1
	s_load_dwordx4 s[0:3], s[4:5], 0x18
	s_load_dwordx2 s[4:5], s[4:5], 0x28
	v_mad_u64_u32 v[9:10], null, v7, 9, 8
	v_mov_b32_e32 v12, 0
	v_mov_b32_e32 v13, 0
	;; [unrolled: 1-line block ×3, first 2 shown]
	s_mov_b32 s10, 0
.LBB188_6:                              ; =>This Inner Loop Header: Depth=1
	v_ashrrev_i32_e32 v8, 31, v7
	v_mov_b32_e32 v17, v12
	v_lshlrev_b64 v[10:11], 2, v[7:8]
	v_add_nc_u32_e32 v7, 8, v7
	s_waitcnt lgkmcnt(0)
	v_add_co_u32 v10, vcc_lo, s0, v10
	v_add_co_ci_u32_e64 v11, null, s1, v11, vcc_lo
	global_load_dword v8, v[10:11], off
	v_add_nc_u32_e32 v11, -8, v9
	v_mov_b32_e32 v10, v12
	v_lshlrev_b64 v[18:19], 3, v[11:12]
	v_add_nc_u32_e32 v11, -7, v9
	v_lshlrev_b64 v[20:21], 3, v[9:10]
	v_lshlrev_b64 v[10:11], 3, v[11:12]
	v_add_co_u32 v18, vcc_lo, s2, v18
	v_add_co_ci_u32_e64 v19, null, s3, v19, vcc_lo
	v_add_co_u32 v20, vcc_lo, s2, v20
	v_add_co_ci_u32_e64 v21, null, s3, v21, vcc_lo
	;; [unrolled: 2-line block ×3, first 2 shown]
	s_clause 0x1
	global_load_dwordx2 v[18:19], v[18:19], off
	global_load_dwordx2 v[22:23], v[10:11], off
	s_waitcnt vmcnt(2)
	v_subrev_nc_u32_e32 v8, s8, v8
	v_lshl_add_u32 v16, v8, 3, v8
	v_lshlrev_b64 v[24:25], 3, v[16:17]
	v_add_nc_u32_e32 v11, 1, v16
	v_lshlrev_b64 v[26:27], 3, v[11:12]
	v_add_co_u32 v24, vcc_lo, s4, v24
	v_add_co_ci_u32_e64 v25, null, s5, v25, vcc_lo
	v_add_nc_u32_e32 v11, -6, v9
	v_add_co_u32 v26, vcc_lo, s4, v26
	global_load_dwordx2 v[24:25], v[24:25], off
	v_add_co_ci_u32_e64 v27, null, s5, v27, vcc_lo
	v_lshlrev_b64 v[28:29], 3, v[11:12]
	v_add_nc_u32_e32 v11, 2, v16
	global_load_dwordx2 v[26:27], v[26:27], off
	v_lshlrev_b64 v[30:31], 3, v[11:12]
	v_add_nc_u32_e32 v11, -5, v9
	v_add_co_u32 v28, vcc_lo, s2, v28
	v_add_co_ci_u32_e64 v29, null, s3, v29, vcc_lo
	v_lshlrev_b64 v[32:33], 3, v[11:12]
	v_add_nc_u32_e32 v11, 3, v16
	v_add_co_u32 v30, vcc_lo, s4, v30
	v_add_co_ci_u32_e64 v31, null, s5, v31, vcc_lo
	v_lshlrev_b64 v[34:35], 3, v[11:12]
	v_add_nc_u32_e32 v11, -4, v9
	global_load_dwordx2 v[28:29], v[28:29], off
	global_load_dwordx2 v[30:31], v[30:31], off
	v_add_co_u32 v32, vcc_lo, s2, v32
	v_lshlrev_b64 v[36:37], 3, v[11:12]
	v_add_nc_u32_e32 v11, 4, v16
	v_add_co_ci_u32_e64 v33, null, s3, v33, vcc_lo
	v_add_co_u32 v34, vcc_lo, s4, v34
	v_add_co_ci_u32_e64 v35, null, s5, v35, vcc_lo
	v_lshlrev_b64 v[38:39], 3, v[11:12]
	v_add_nc_u32_e32 v11, -3, v9
	global_load_dwordx2 v[32:33], v[32:33], off
	global_load_dwordx2 v[34:35], v[34:35], off
	v_add_co_u32 v36, vcc_lo, s2, v36
	v_lshlrev_b64 v[40:41], 3, v[11:12]
	v_add_nc_u32_e32 v11, 5, v16
	v_add_co_ci_u32_e64 v37, null, s3, v37, vcc_lo
	;; [unrolled: 10-line block ×3, first 2 shown]
	v_add_co_u32 v42, vcc_lo, s4, v42
	v_add_co_ci_u32_e64 v43, null, s5, v43, vcc_lo
	v_lshlrev_b64 v[46:47], 3, v[11:12]
	v_add_nc_u32_e32 v11, -1, v9
	global_load_dwordx2 v[40:41], v[40:41], off
	global_load_dwordx2 v[42:43], v[42:43], off
	v_add_co_u32 v44, vcc_lo, s2, v44
	v_add_co_ci_u32_e64 v45, null, s3, v45, vcc_lo
	v_lshlrev_b64 v[48:49], 3, v[11:12]
	v_add_nc_u32_e32 v11, 7, v16
	v_add_co_u32 v46, vcc_lo, s4, v46
	v_add_co_ci_u32_e64 v47, null, s5, v47, vcc_lo
	v_lshlrev_b64 v[50:51], 3, v[11:12]
	global_load_dwordx2 v[44:45], v[44:45], off
	v_add_nc_u32_e32 v11, 8, v16
	global_load_dwordx2 v[16:17], v[46:47], off
	v_add_co_u32 v46, vcc_lo, s2, v48
	v_add_co_ci_u32_e64 v47, null, s3, v49, vcc_lo
	v_add_co_u32 v48, vcc_lo, s4, v50
	v_add_co_ci_u32_e64 v49, null, s5, v51, vcc_lo
	v_lshlrev_b64 v[10:11], 3, v[11:12]
	global_load_dwordx2 v[46:47], v[46:47], off
	global_load_dwordx2 v[48:49], v[48:49], off
	v_add_nc_u32_e32 v9, 0x48, v9
	v_add_co_u32 v10, vcc_lo, s4, v10
	v_add_co_ci_u32_e64 v11, null, s5, v11, vcc_lo
	global_load_dwordx2 v[20:21], v[20:21], off
	global_load_dwordx2 v[10:11], v[10:11], off
	v_cmp_ge_i32_e32 vcc_lo, v7, v14
	s_or_b32 s10, vcc_lo, s10
	s_waitcnt vmcnt(15)
	v_fmac_f32_e32 v15, v18, v24
	v_fmac_f32_e32 v13, v19, v24
	v_fma_f32 v8, -v19, v25, v15
	v_fmac_f32_e32 v13, v18, v25
	s_waitcnt vmcnt(14)
	v_fmac_f32_e32 v8, v22, v26
	v_fmac_f32_e32 v13, v23, v26
	v_fma_f32 v8, -v23, v27, v8
	v_fmac_f32_e32 v13, v22, v27
	s_waitcnt vmcnt(12)
	v_fmac_f32_e32 v8, v28, v30
	v_fmac_f32_e32 v13, v29, v30
	v_fma_f32 v8, -v29, v31, v8
	v_fmac_f32_e32 v13, v28, v31
	s_waitcnt vmcnt(10)
	v_fmac_f32_e32 v8, v32, v34
	v_fmac_f32_e32 v13, v33, v34
	v_fma_f32 v8, -v33, v35, v8
	v_fmac_f32_e32 v13, v32, v35
	s_waitcnt vmcnt(8)
	v_fmac_f32_e32 v8, v36, v38
	v_fmac_f32_e32 v13, v37, v38
	v_fma_f32 v8, -v37, v39, v8
	v_fmac_f32_e32 v13, v36, v39
	s_waitcnt vmcnt(6)
	v_fmac_f32_e32 v8, v40, v42
	v_fmac_f32_e32 v13, v41, v42
	v_fma_f32 v8, -v41, v43, v8
	v_fmac_f32_e32 v13, v40, v43
	s_waitcnt vmcnt(4)
	v_fmac_f32_e32 v8, v44, v16
	v_fmac_f32_e32 v13, v45, v16
	v_fma_f32 v8, -v45, v17, v8
	v_fmac_f32_e32 v13, v44, v17
	s_waitcnt vmcnt(2)
	v_fmac_f32_e32 v8, v46, v48
	v_fmac_f32_e32 v13, v47, v48
	v_fma_f32 v8, -v47, v49, v8
	v_fmac_f32_e32 v13, v46, v49
	s_waitcnt vmcnt(0)
	v_fmac_f32_e32 v8, v20, v10
	v_fmac_f32_e32 v13, v21, v10
	v_fma_f32 v15, -v21, v11, v8
	v_fmac_f32_e32 v13, v20, v11
	s_andn2_b32 exec_lo, exec_lo, s10
	s_cbranch_execnz .LBB188_6
; %bb.7:
	s_or_b32 exec_lo, exec_lo, s10
.LBB188_8:
	s_or_b32 exec_lo, exec_lo, s9
	v_mbcnt_lo_u32_b32 v7, -1, 0
	v_xor_b32_e32 v8, 4, v7
	v_xor_b32_e32 v10, 2, v7
	;; [unrolled: 1-line block ×3, first 2 shown]
	v_cmp_gt_i32_e32 vcc_lo, 32, v8
	v_cndmask_b32_e32 v8, v7, v8, vcc_lo
	v_cmp_gt_i32_e32 vcc_lo, 32, v10
	v_lshlrev_b32_e32 v8, 2, v8
	v_cndmask_b32_e32 v10, v7, v10, vcc_lo
	v_cmp_gt_i32_e32 vcc_lo, 32, v12
	ds_bpermute_b32 v9, v8, v15
	ds_bpermute_b32 v8, v8, v13
	v_lshlrev_b32_e32 v10, 2, v10
	v_cndmask_b32_e32 v7, v7, v12, vcc_lo
	v_cmp_eq_u32_e32 vcc_lo, 7, v0
	v_lshlrev_b32_e32 v12, 2, v7
	s_waitcnt lgkmcnt(1)
	v_add_f32_e32 v9, v15, v9
	s_waitcnt lgkmcnt(0)
	v_add_f32_e32 v8, v13, v8
	ds_bpermute_b32 v11, v10, v9
	ds_bpermute_b32 v10, v10, v8
	s_waitcnt lgkmcnt(1)
	v_add_f32_e32 v7, v9, v11
	s_waitcnt lgkmcnt(0)
	v_add_f32_e32 v9, v8, v10
	ds_bpermute_b32 v8, v12, v7
	ds_bpermute_b32 v10, v12, v9
	s_and_b32 exec_lo, exec_lo, vcc_lo
	s_cbranch_execz .LBB188_13
; %bb.9:
	s_waitcnt lgkmcnt(0)
	v_add_f32_e32 v0, v9, v10
	v_add_f32_e32 v9, v7, v8
	v_cmp_eq_f32_e32 vcc_lo, 0, v1
	v_cmp_eq_f32_e64 s0, 0, v2
	v_lshlrev_b64 v[5:6], 3, v[5:6]
	v_mul_f32_e64 v7, v0, -v4
	v_mul_f32_e32 v8, v3, v0
	s_and_b32 s0, vcc_lo, s0
	v_fmac_f32_e32 v7, v3, v9
	v_fmac_f32_e32 v8, v4, v9
	s_and_saveexec_b32 s1, s0
	s_xor_b32 s0, exec_lo, s1
	s_cbranch_execz .LBB188_11
; %bb.10:
	v_add_co_u32 v0, vcc_lo, s6, v5
	v_add_co_ci_u32_e64 v1, null, s7, v6, vcc_lo
                                        ; implicit-def: $vgpr5_vgpr6
	global_store_dwordx2 v[0:1], v[7:8], off
                                        ; implicit-def: $vgpr1_vgpr2
                                        ; implicit-def: $vgpr7
.LBB188_11:
	s_andn2_saveexec_b32 s0, s0
	s_cbranch_execz .LBB188_13
; %bb.12:
	v_add_co_u32 v3, vcc_lo, s6, v5
	v_add_co_ci_u32_e64 v4, null, s7, v6, vcc_lo
	global_load_dwordx2 v[5:6], v[3:4], off
	s_waitcnt vmcnt(0)
	v_fmac_f32_e32 v7, v1, v5
	v_fmac_f32_e32 v8, v2, v5
	v_fma_f32 v7, -v2, v6, v7
	v_fmac_f32_e32 v8, v1, v6
	global_store_dwordx2 v[3:4], v[7:8], off
.LBB188_13:
	s_endpgm
	.section	.rodata,"a",@progbits
	.p2align	6, 0x0
	.amdhsa_kernel _ZN9rocsparseL19gebsrmvn_1xn_kernelILj128ELj9ELj8E21rocsparse_complex_numIfEEEvi20rocsparse_direction_NS_24const_host_device_scalarIT2_EEPKiS8_PKS5_SA_S6_PS5_21rocsparse_index_base_b
		.amdhsa_group_segment_fixed_size 0
		.amdhsa_private_segment_fixed_size 0
		.amdhsa_kernarg_size 72
		.amdhsa_user_sgpr_count 6
		.amdhsa_user_sgpr_private_segment_buffer 1
		.amdhsa_user_sgpr_dispatch_ptr 0
		.amdhsa_user_sgpr_queue_ptr 0
		.amdhsa_user_sgpr_kernarg_segment_ptr 1
		.amdhsa_user_sgpr_dispatch_id 0
		.amdhsa_user_sgpr_flat_scratch_init 0
		.amdhsa_user_sgpr_private_segment_size 0
		.amdhsa_wavefront_size32 1
		.amdhsa_uses_dynamic_stack 0
		.amdhsa_system_sgpr_private_segment_wavefront_offset 0
		.amdhsa_system_sgpr_workgroup_id_x 1
		.amdhsa_system_sgpr_workgroup_id_y 0
		.amdhsa_system_sgpr_workgroup_id_z 0
		.amdhsa_system_sgpr_workgroup_info 0
		.amdhsa_system_vgpr_workitem_id 0
		.amdhsa_next_free_vgpr 52
		.amdhsa_next_free_sgpr 13
		.amdhsa_reserve_vcc 1
		.amdhsa_reserve_flat_scratch 0
		.amdhsa_float_round_mode_32 0
		.amdhsa_float_round_mode_16_64 0
		.amdhsa_float_denorm_mode_32 3
		.amdhsa_float_denorm_mode_16_64 3
		.amdhsa_dx10_clamp 1
		.amdhsa_ieee_mode 1
		.amdhsa_fp16_overflow 0
		.amdhsa_workgroup_processor_mode 1
		.amdhsa_memory_ordered 1
		.amdhsa_forward_progress 1
		.amdhsa_shared_vgpr_count 0
		.amdhsa_exception_fp_ieee_invalid_op 0
		.amdhsa_exception_fp_denorm_src 0
		.amdhsa_exception_fp_ieee_div_zero 0
		.amdhsa_exception_fp_ieee_overflow 0
		.amdhsa_exception_fp_ieee_underflow 0
		.amdhsa_exception_fp_ieee_inexact 0
		.amdhsa_exception_int_div_zero 0
	.end_amdhsa_kernel
	.section	.text._ZN9rocsparseL19gebsrmvn_1xn_kernelILj128ELj9ELj8E21rocsparse_complex_numIfEEEvi20rocsparse_direction_NS_24const_host_device_scalarIT2_EEPKiS8_PKS5_SA_S6_PS5_21rocsparse_index_base_b,"axG",@progbits,_ZN9rocsparseL19gebsrmvn_1xn_kernelILj128ELj9ELj8E21rocsparse_complex_numIfEEEvi20rocsparse_direction_NS_24const_host_device_scalarIT2_EEPKiS8_PKS5_SA_S6_PS5_21rocsparse_index_base_b,comdat
.Lfunc_end188:
	.size	_ZN9rocsparseL19gebsrmvn_1xn_kernelILj128ELj9ELj8E21rocsparse_complex_numIfEEEvi20rocsparse_direction_NS_24const_host_device_scalarIT2_EEPKiS8_PKS5_SA_S6_PS5_21rocsparse_index_base_b, .Lfunc_end188-_ZN9rocsparseL19gebsrmvn_1xn_kernelILj128ELj9ELj8E21rocsparse_complex_numIfEEEvi20rocsparse_direction_NS_24const_host_device_scalarIT2_EEPKiS8_PKS5_SA_S6_PS5_21rocsparse_index_base_b
                                        ; -- End function
	.set _ZN9rocsparseL19gebsrmvn_1xn_kernelILj128ELj9ELj8E21rocsparse_complex_numIfEEEvi20rocsparse_direction_NS_24const_host_device_scalarIT2_EEPKiS8_PKS5_SA_S6_PS5_21rocsparse_index_base_b.num_vgpr, 52
	.set _ZN9rocsparseL19gebsrmvn_1xn_kernelILj128ELj9ELj8E21rocsparse_complex_numIfEEEvi20rocsparse_direction_NS_24const_host_device_scalarIT2_EEPKiS8_PKS5_SA_S6_PS5_21rocsparse_index_base_b.num_agpr, 0
	.set _ZN9rocsparseL19gebsrmvn_1xn_kernelILj128ELj9ELj8E21rocsparse_complex_numIfEEEvi20rocsparse_direction_NS_24const_host_device_scalarIT2_EEPKiS8_PKS5_SA_S6_PS5_21rocsparse_index_base_b.numbered_sgpr, 13
	.set _ZN9rocsparseL19gebsrmvn_1xn_kernelILj128ELj9ELj8E21rocsparse_complex_numIfEEEvi20rocsparse_direction_NS_24const_host_device_scalarIT2_EEPKiS8_PKS5_SA_S6_PS5_21rocsparse_index_base_b.num_named_barrier, 0
	.set _ZN9rocsparseL19gebsrmvn_1xn_kernelILj128ELj9ELj8E21rocsparse_complex_numIfEEEvi20rocsparse_direction_NS_24const_host_device_scalarIT2_EEPKiS8_PKS5_SA_S6_PS5_21rocsparse_index_base_b.private_seg_size, 0
	.set _ZN9rocsparseL19gebsrmvn_1xn_kernelILj128ELj9ELj8E21rocsparse_complex_numIfEEEvi20rocsparse_direction_NS_24const_host_device_scalarIT2_EEPKiS8_PKS5_SA_S6_PS5_21rocsparse_index_base_b.uses_vcc, 1
	.set _ZN9rocsparseL19gebsrmvn_1xn_kernelILj128ELj9ELj8E21rocsparse_complex_numIfEEEvi20rocsparse_direction_NS_24const_host_device_scalarIT2_EEPKiS8_PKS5_SA_S6_PS5_21rocsparse_index_base_b.uses_flat_scratch, 0
	.set _ZN9rocsparseL19gebsrmvn_1xn_kernelILj128ELj9ELj8E21rocsparse_complex_numIfEEEvi20rocsparse_direction_NS_24const_host_device_scalarIT2_EEPKiS8_PKS5_SA_S6_PS5_21rocsparse_index_base_b.has_dyn_sized_stack, 0
	.set _ZN9rocsparseL19gebsrmvn_1xn_kernelILj128ELj9ELj8E21rocsparse_complex_numIfEEEvi20rocsparse_direction_NS_24const_host_device_scalarIT2_EEPKiS8_PKS5_SA_S6_PS5_21rocsparse_index_base_b.has_recursion, 0
	.set _ZN9rocsparseL19gebsrmvn_1xn_kernelILj128ELj9ELj8E21rocsparse_complex_numIfEEEvi20rocsparse_direction_NS_24const_host_device_scalarIT2_EEPKiS8_PKS5_SA_S6_PS5_21rocsparse_index_base_b.has_indirect_call, 0
	.section	.AMDGPU.csdata,"",@progbits
; Kernel info:
; codeLenInByte = 1620
; TotalNumSgprs: 15
; NumVgprs: 52
; ScratchSize: 0
; MemoryBound: 0
; FloatMode: 240
; IeeeMode: 1
; LDSByteSize: 0 bytes/workgroup (compile time only)
; SGPRBlocks: 0
; VGPRBlocks: 6
; NumSGPRsForWavesPerEU: 15
; NumVGPRsForWavesPerEU: 52
; Occupancy: 16
; WaveLimiterHint : 1
; COMPUTE_PGM_RSRC2:SCRATCH_EN: 0
; COMPUTE_PGM_RSRC2:USER_SGPR: 6
; COMPUTE_PGM_RSRC2:TRAP_HANDLER: 0
; COMPUTE_PGM_RSRC2:TGID_X_EN: 1
; COMPUTE_PGM_RSRC2:TGID_Y_EN: 0
; COMPUTE_PGM_RSRC2:TGID_Z_EN: 0
; COMPUTE_PGM_RSRC2:TIDIG_COMP_CNT: 0
	.section	.text._ZN9rocsparseL19gebsrmvn_1xn_kernelILj128ELj9ELj16E21rocsparse_complex_numIfEEEvi20rocsparse_direction_NS_24const_host_device_scalarIT2_EEPKiS8_PKS5_SA_S6_PS5_21rocsparse_index_base_b,"axG",@progbits,_ZN9rocsparseL19gebsrmvn_1xn_kernelILj128ELj9ELj16E21rocsparse_complex_numIfEEEvi20rocsparse_direction_NS_24const_host_device_scalarIT2_EEPKiS8_PKS5_SA_S6_PS5_21rocsparse_index_base_b,comdat
	.globl	_ZN9rocsparseL19gebsrmvn_1xn_kernelILj128ELj9ELj16E21rocsparse_complex_numIfEEEvi20rocsparse_direction_NS_24const_host_device_scalarIT2_EEPKiS8_PKS5_SA_S6_PS5_21rocsparse_index_base_b ; -- Begin function _ZN9rocsparseL19gebsrmvn_1xn_kernelILj128ELj9ELj16E21rocsparse_complex_numIfEEEvi20rocsparse_direction_NS_24const_host_device_scalarIT2_EEPKiS8_PKS5_SA_S6_PS5_21rocsparse_index_base_b
	.p2align	8
	.type	_ZN9rocsparseL19gebsrmvn_1xn_kernelILj128ELj9ELj16E21rocsparse_complex_numIfEEEvi20rocsparse_direction_NS_24const_host_device_scalarIT2_EEPKiS8_PKS5_SA_S6_PS5_21rocsparse_index_base_b,@function
_ZN9rocsparseL19gebsrmvn_1xn_kernelILj128ELj9ELj16E21rocsparse_complex_numIfEEEvi20rocsparse_direction_NS_24const_host_device_scalarIT2_EEPKiS8_PKS5_SA_S6_PS5_21rocsparse_index_base_b: ; @_ZN9rocsparseL19gebsrmvn_1xn_kernelILj128ELj9ELj16E21rocsparse_complex_numIfEEEvi20rocsparse_direction_NS_24const_host_device_scalarIT2_EEPKiS8_PKS5_SA_S6_PS5_21rocsparse_index_base_b
; %bb.0:
	s_clause 0x2
	s_load_dwordx2 s[8:9], s[4:5], 0x40
	s_load_dwordx2 s[0:1], s[4:5], 0x8
	;; [unrolled: 1-line block ×3, first 2 shown]
	s_add_u32 s7, s4, 8
	s_addc_u32 s10, s5, 0
	s_add_u32 s11, s4, 48
	s_addc_u32 s12, s5, 0
	s_waitcnt lgkmcnt(0)
	s_bitcmp1_b32 s9, 0
	s_cselect_b32 s0, s7, s0
	s_cselect_b32 s1, s10, s1
	v_mov_b32_e32 v1, s0
	v_mov_b32_e32 v2, s1
	s_cselect_b32 s0, s11, s2
	s_cselect_b32 s1, s12, s3
	flat_load_dwordx2 v[3:4], v[1:2]
	v_mov_b32_e32 v1, s0
	v_mov_b32_e32 v2, s1
	flat_load_dwordx2 v[1:2], v[1:2]
	s_waitcnt vmcnt(1) lgkmcnt(1)
	v_cmp_eq_f32_e32 vcc_lo, 0, v3
	v_cmp_eq_f32_e64 s0, 0, v4
	s_and_b32 s2, vcc_lo, s0
	s_mov_b32 s0, -1
	s_and_saveexec_b32 s1, s2
	s_cbranch_execz .LBB189_2
; %bb.1:
	s_waitcnt vmcnt(0) lgkmcnt(0)
	v_cmp_neq_f32_e32 vcc_lo, 1.0, v1
	v_cmp_neq_f32_e64 s0, 0, v2
	s_or_b32 s0, vcc_lo, s0
	s_orn2_b32 s0, s0, exec_lo
.LBB189_2:
	s_or_b32 exec_lo, exec_lo, s1
	s_and_saveexec_b32 s1, s0
	s_cbranch_execz .LBB189_13
; %bb.3:
	s_load_dword s0, s[4:5], 0x0
	v_lshrrev_b32_e32 v5, 4, v0
	v_lshl_or_b32 v5, s6, 3, v5
	s_waitcnt lgkmcnt(0)
	v_cmp_gt_i32_e32 vcc_lo, s0, v5
	s_and_b32 exec_lo, exec_lo, vcc_lo
	s_cbranch_execz .LBB189_13
; %bb.4:
	s_clause 0x1
	s_load_dwordx2 s[0:1], s[4:5], 0x10
	s_load_dwordx2 s[6:7], s[4:5], 0x38
	v_ashrrev_i32_e32 v6, 31, v5
	v_and_b32_e32 v0, 15, v0
	v_mov_b32_e32 v13, 0
	v_mov_b32_e32 v15, 0
	s_mov_b32 s9, exec_lo
	v_lshlrev_b64 v[7:8], 2, v[5:6]
	v_subrev_nc_u32_e32 v9, s8, v0
	s_waitcnt lgkmcnt(0)
	v_add_co_u32 v7, vcc_lo, s0, v7
	v_add_co_ci_u32_e64 v8, null, s1, v8, vcc_lo
	global_load_dwordx2 v[7:8], v[7:8], off
	s_waitcnt vmcnt(0)
	v_subrev_nc_u32_e32 v14, s8, v8
	v_add_nc_u32_e32 v7, v7, v9
	v_cmpx_lt_i32_e64 v7, v14
	s_cbranch_execz .LBB189_8
; %bb.5:
	s_clause 0x1
	s_load_dwordx4 s[0:3], s[4:5], 0x18
	s_load_dwordx2 s[4:5], s[4:5], 0x28
	v_mad_u64_u32 v[9:10], null, v7, 9, 8
	v_mov_b32_e32 v12, 0
	v_mov_b32_e32 v13, 0
	;; [unrolled: 1-line block ×3, first 2 shown]
	s_mov_b32 s10, 0
.LBB189_6:                              ; =>This Inner Loop Header: Depth=1
	v_ashrrev_i32_e32 v8, 31, v7
	v_mov_b32_e32 v17, v12
	v_lshlrev_b64 v[10:11], 2, v[7:8]
	v_add_nc_u32_e32 v7, 16, v7
	s_waitcnt lgkmcnt(0)
	v_add_co_u32 v10, vcc_lo, s0, v10
	v_add_co_ci_u32_e64 v11, null, s1, v11, vcc_lo
	global_load_dword v8, v[10:11], off
	v_add_nc_u32_e32 v11, -8, v9
	v_mov_b32_e32 v10, v12
	v_lshlrev_b64 v[18:19], 3, v[11:12]
	v_add_nc_u32_e32 v11, -7, v9
	v_lshlrev_b64 v[20:21], 3, v[9:10]
	v_lshlrev_b64 v[10:11], 3, v[11:12]
	v_add_co_u32 v18, vcc_lo, s2, v18
	v_add_co_ci_u32_e64 v19, null, s3, v19, vcc_lo
	v_add_co_u32 v20, vcc_lo, s2, v20
	v_add_co_ci_u32_e64 v21, null, s3, v21, vcc_lo
	;; [unrolled: 2-line block ×3, first 2 shown]
	s_clause 0x1
	global_load_dwordx2 v[18:19], v[18:19], off
	global_load_dwordx2 v[22:23], v[10:11], off
	s_waitcnt vmcnt(2)
	v_subrev_nc_u32_e32 v8, s8, v8
	v_lshl_add_u32 v16, v8, 3, v8
	v_lshlrev_b64 v[24:25], 3, v[16:17]
	v_add_nc_u32_e32 v11, 1, v16
	v_lshlrev_b64 v[26:27], 3, v[11:12]
	v_add_co_u32 v24, vcc_lo, s4, v24
	v_add_co_ci_u32_e64 v25, null, s5, v25, vcc_lo
	v_add_nc_u32_e32 v11, -6, v9
	v_add_co_u32 v26, vcc_lo, s4, v26
	global_load_dwordx2 v[24:25], v[24:25], off
	v_add_co_ci_u32_e64 v27, null, s5, v27, vcc_lo
	v_lshlrev_b64 v[28:29], 3, v[11:12]
	v_add_nc_u32_e32 v11, 2, v16
	global_load_dwordx2 v[26:27], v[26:27], off
	v_lshlrev_b64 v[30:31], 3, v[11:12]
	v_add_nc_u32_e32 v11, -5, v9
	v_add_co_u32 v28, vcc_lo, s2, v28
	v_add_co_ci_u32_e64 v29, null, s3, v29, vcc_lo
	v_lshlrev_b64 v[32:33], 3, v[11:12]
	v_add_nc_u32_e32 v11, 3, v16
	v_add_co_u32 v30, vcc_lo, s4, v30
	v_add_co_ci_u32_e64 v31, null, s5, v31, vcc_lo
	v_lshlrev_b64 v[34:35], 3, v[11:12]
	v_add_nc_u32_e32 v11, -4, v9
	global_load_dwordx2 v[28:29], v[28:29], off
	global_load_dwordx2 v[30:31], v[30:31], off
	v_add_co_u32 v32, vcc_lo, s2, v32
	v_lshlrev_b64 v[36:37], 3, v[11:12]
	v_add_nc_u32_e32 v11, 4, v16
	v_add_co_ci_u32_e64 v33, null, s3, v33, vcc_lo
	v_add_co_u32 v34, vcc_lo, s4, v34
	v_add_co_ci_u32_e64 v35, null, s5, v35, vcc_lo
	v_lshlrev_b64 v[38:39], 3, v[11:12]
	v_add_nc_u32_e32 v11, -3, v9
	global_load_dwordx2 v[32:33], v[32:33], off
	global_load_dwordx2 v[34:35], v[34:35], off
	v_add_co_u32 v36, vcc_lo, s2, v36
	v_lshlrev_b64 v[40:41], 3, v[11:12]
	v_add_nc_u32_e32 v11, 5, v16
	v_add_co_ci_u32_e64 v37, null, s3, v37, vcc_lo
	;; [unrolled: 10-line block ×3, first 2 shown]
	v_add_co_u32 v42, vcc_lo, s4, v42
	v_add_co_ci_u32_e64 v43, null, s5, v43, vcc_lo
	v_lshlrev_b64 v[46:47], 3, v[11:12]
	v_add_nc_u32_e32 v11, -1, v9
	global_load_dwordx2 v[40:41], v[40:41], off
	global_load_dwordx2 v[42:43], v[42:43], off
	v_add_co_u32 v44, vcc_lo, s2, v44
	v_add_co_ci_u32_e64 v45, null, s3, v45, vcc_lo
	v_lshlrev_b64 v[48:49], 3, v[11:12]
	v_add_nc_u32_e32 v11, 7, v16
	v_add_co_u32 v46, vcc_lo, s4, v46
	v_add_co_ci_u32_e64 v47, null, s5, v47, vcc_lo
	v_lshlrev_b64 v[50:51], 3, v[11:12]
	global_load_dwordx2 v[44:45], v[44:45], off
	v_add_nc_u32_e32 v11, 8, v16
	global_load_dwordx2 v[16:17], v[46:47], off
	v_add_co_u32 v46, vcc_lo, s2, v48
	v_add_co_ci_u32_e64 v47, null, s3, v49, vcc_lo
	v_add_co_u32 v48, vcc_lo, s4, v50
	v_add_co_ci_u32_e64 v49, null, s5, v51, vcc_lo
	v_lshlrev_b64 v[10:11], 3, v[11:12]
	global_load_dwordx2 v[46:47], v[46:47], off
	global_load_dwordx2 v[48:49], v[48:49], off
	v_add_nc_u32_e32 v9, 0x90, v9
	v_add_co_u32 v10, vcc_lo, s4, v10
	v_add_co_ci_u32_e64 v11, null, s5, v11, vcc_lo
	global_load_dwordx2 v[20:21], v[20:21], off
	global_load_dwordx2 v[10:11], v[10:11], off
	v_cmp_ge_i32_e32 vcc_lo, v7, v14
	s_or_b32 s10, vcc_lo, s10
	s_waitcnt vmcnt(15)
	v_fmac_f32_e32 v15, v18, v24
	v_fmac_f32_e32 v13, v19, v24
	v_fma_f32 v8, -v19, v25, v15
	v_fmac_f32_e32 v13, v18, v25
	s_waitcnt vmcnt(14)
	v_fmac_f32_e32 v8, v22, v26
	v_fmac_f32_e32 v13, v23, v26
	v_fma_f32 v8, -v23, v27, v8
	v_fmac_f32_e32 v13, v22, v27
	;; [unrolled: 5-line block ×9, first 2 shown]
	s_andn2_b32 exec_lo, exec_lo, s10
	s_cbranch_execnz .LBB189_6
; %bb.7:
	s_or_b32 exec_lo, exec_lo, s10
.LBB189_8:
	s_or_b32 exec_lo, exec_lo, s9
	v_mbcnt_lo_u32_b32 v7, -1, 0
	v_xor_b32_e32 v8, 8, v7
	v_xor_b32_e32 v10, 4, v7
	;; [unrolled: 1-line block ×3, first 2 shown]
	v_cmp_gt_i32_e32 vcc_lo, 32, v8
	v_cndmask_b32_e32 v8, v7, v8, vcc_lo
	v_cmp_gt_i32_e32 vcc_lo, 32, v10
	v_lshlrev_b32_e32 v8, 2, v8
	v_cndmask_b32_e32 v10, v7, v10, vcc_lo
	v_cmp_gt_i32_e32 vcc_lo, 32, v12
	ds_bpermute_b32 v9, v8, v15
	ds_bpermute_b32 v8, v8, v13
	v_lshlrev_b32_e32 v10, 2, v10
	v_cndmask_b32_e32 v12, v7, v12, vcc_lo
	v_lshlrev_b32_e32 v12, 2, v12
	s_waitcnt lgkmcnt(1)
	v_add_f32_e32 v9, v15, v9
	s_waitcnt lgkmcnt(0)
	v_add_f32_e32 v8, v13, v8
	ds_bpermute_b32 v11, v10, v9
	ds_bpermute_b32 v10, v10, v8
	s_waitcnt lgkmcnt(1)
	v_add_f32_e32 v9, v9, v11
	s_waitcnt lgkmcnt(0)
	v_add_f32_e32 v8, v8, v10
	ds_bpermute_b32 v10, v12, v9
	ds_bpermute_b32 v11, v12, v8
	v_xor_b32_e32 v12, 1, v7
	v_cmp_gt_i32_e32 vcc_lo, 32, v12
	v_cndmask_b32_e32 v7, v7, v12, vcc_lo
	v_cmp_eq_u32_e32 vcc_lo, 15, v0
	v_lshlrev_b32_e32 v12, 2, v7
	s_waitcnt lgkmcnt(1)
	v_add_f32_e32 v7, v9, v10
	s_waitcnt lgkmcnt(0)
	v_add_f32_e32 v9, v8, v11
	ds_bpermute_b32 v8, v12, v7
	ds_bpermute_b32 v10, v12, v9
	s_and_b32 exec_lo, exec_lo, vcc_lo
	s_cbranch_execz .LBB189_13
; %bb.9:
	s_waitcnt lgkmcnt(0)
	v_add_f32_e32 v0, v9, v10
	v_add_f32_e32 v9, v7, v8
	v_cmp_eq_f32_e32 vcc_lo, 0, v1
	v_cmp_eq_f32_e64 s0, 0, v2
	v_lshlrev_b64 v[5:6], 3, v[5:6]
	v_mul_f32_e64 v7, v0, -v4
	v_mul_f32_e32 v8, v3, v0
	s_and_b32 s0, vcc_lo, s0
	v_fmac_f32_e32 v7, v3, v9
	v_fmac_f32_e32 v8, v4, v9
	s_and_saveexec_b32 s1, s0
	s_xor_b32 s0, exec_lo, s1
	s_cbranch_execz .LBB189_11
; %bb.10:
	v_add_co_u32 v0, vcc_lo, s6, v5
	v_add_co_ci_u32_e64 v1, null, s7, v6, vcc_lo
                                        ; implicit-def: $vgpr5_vgpr6
	global_store_dwordx2 v[0:1], v[7:8], off
                                        ; implicit-def: $vgpr1_vgpr2
                                        ; implicit-def: $vgpr7
.LBB189_11:
	s_andn2_saveexec_b32 s0, s0
	s_cbranch_execz .LBB189_13
; %bb.12:
	v_add_co_u32 v3, vcc_lo, s6, v5
	v_add_co_ci_u32_e64 v4, null, s7, v6, vcc_lo
	global_load_dwordx2 v[5:6], v[3:4], off
	s_waitcnt vmcnt(0)
	v_fmac_f32_e32 v7, v1, v5
	v_fmac_f32_e32 v8, v2, v5
	v_fma_f32 v7, -v2, v6, v7
	v_fmac_f32_e32 v8, v1, v6
	global_store_dwordx2 v[3:4], v[7:8], off
.LBB189_13:
	s_endpgm
	.section	.rodata,"a",@progbits
	.p2align	6, 0x0
	.amdhsa_kernel _ZN9rocsparseL19gebsrmvn_1xn_kernelILj128ELj9ELj16E21rocsparse_complex_numIfEEEvi20rocsparse_direction_NS_24const_host_device_scalarIT2_EEPKiS8_PKS5_SA_S6_PS5_21rocsparse_index_base_b
		.amdhsa_group_segment_fixed_size 0
		.amdhsa_private_segment_fixed_size 0
		.amdhsa_kernarg_size 72
		.amdhsa_user_sgpr_count 6
		.amdhsa_user_sgpr_private_segment_buffer 1
		.amdhsa_user_sgpr_dispatch_ptr 0
		.amdhsa_user_sgpr_queue_ptr 0
		.amdhsa_user_sgpr_kernarg_segment_ptr 1
		.amdhsa_user_sgpr_dispatch_id 0
		.amdhsa_user_sgpr_flat_scratch_init 0
		.amdhsa_user_sgpr_private_segment_size 0
		.amdhsa_wavefront_size32 1
		.amdhsa_uses_dynamic_stack 0
		.amdhsa_system_sgpr_private_segment_wavefront_offset 0
		.amdhsa_system_sgpr_workgroup_id_x 1
		.amdhsa_system_sgpr_workgroup_id_y 0
		.amdhsa_system_sgpr_workgroup_id_z 0
		.amdhsa_system_sgpr_workgroup_info 0
		.amdhsa_system_vgpr_workitem_id 0
		.amdhsa_next_free_vgpr 52
		.amdhsa_next_free_sgpr 13
		.amdhsa_reserve_vcc 1
		.amdhsa_reserve_flat_scratch 0
		.amdhsa_float_round_mode_32 0
		.amdhsa_float_round_mode_16_64 0
		.amdhsa_float_denorm_mode_32 3
		.amdhsa_float_denorm_mode_16_64 3
		.amdhsa_dx10_clamp 1
		.amdhsa_ieee_mode 1
		.amdhsa_fp16_overflow 0
		.amdhsa_workgroup_processor_mode 1
		.amdhsa_memory_ordered 1
		.amdhsa_forward_progress 1
		.amdhsa_shared_vgpr_count 0
		.amdhsa_exception_fp_ieee_invalid_op 0
		.amdhsa_exception_fp_denorm_src 0
		.amdhsa_exception_fp_ieee_div_zero 0
		.amdhsa_exception_fp_ieee_overflow 0
		.amdhsa_exception_fp_ieee_underflow 0
		.amdhsa_exception_fp_ieee_inexact 0
		.amdhsa_exception_int_div_zero 0
	.end_amdhsa_kernel
	.section	.text._ZN9rocsparseL19gebsrmvn_1xn_kernelILj128ELj9ELj16E21rocsparse_complex_numIfEEEvi20rocsparse_direction_NS_24const_host_device_scalarIT2_EEPKiS8_PKS5_SA_S6_PS5_21rocsparse_index_base_b,"axG",@progbits,_ZN9rocsparseL19gebsrmvn_1xn_kernelILj128ELj9ELj16E21rocsparse_complex_numIfEEEvi20rocsparse_direction_NS_24const_host_device_scalarIT2_EEPKiS8_PKS5_SA_S6_PS5_21rocsparse_index_base_b,comdat
.Lfunc_end189:
	.size	_ZN9rocsparseL19gebsrmvn_1xn_kernelILj128ELj9ELj16E21rocsparse_complex_numIfEEEvi20rocsparse_direction_NS_24const_host_device_scalarIT2_EEPKiS8_PKS5_SA_S6_PS5_21rocsparse_index_base_b, .Lfunc_end189-_ZN9rocsparseL19gebsrmvn_1xn_kernelILj128ELj9ELj16E21rocsparse_complex_numIfEEEvi20rocsparse_direction_NS_24const_host_device_scalarIT2_EEPKiS8_PKS5_SA_S6_PS5_21rocsparse_index_base_b
                                        ; -- End function
	.set _ZN9rocsparseL19gebsrmvn_1xn_kernelILj128ELj9ELj16E21rocsparse_complex_numIfEEEvi20rocsparse_direction_NS_24const_host_device_scalarIT2_EEPKiS8_PKS5_SA_S6_PS5_21rocsparse_index_base_b.num_vgpr, 52
	.set _ZN9rocsparseL19gebsrmvn_1xn_kernelILj128ELj9ELj16E21rocsparse_complex_numIfEEEvi20rocsparse_direction_NS_24const_host_device_scalarIT2_EEPKiS8_PKS5_SA_S6_PS5_21rocsparse_index_base_b.num_agpr, 0
	.set _ZN9rocsparseL19gebsrmvn_1xn_kernelILj128ELj9ELj16E21rocsparse_complex_numIfEEEvi20rocsparse_direction_NS_24const_host_device_scalarIT2_EEPKiS8_PKS5_SA_S6_PS5_21rocsparse_index_base_b.numbered_sgpr, 13
	.set _ZN9rocsparseL19gebsrmvn_1xn_kernelILj128ELj9ELj16E21rocsparse_complex_numIfEEEvi20rocsparse_direction_NS_24const_host_device_scalarIT2_EEPKiS8_PKS5_SA_S6_PS5_21rocsparse_index_base_b.num_named_barrier, 0
	.set _ZN9rocsparseL19gebsrmvn_1xn_kernelILj128ELj9ELj16E21rocsparse_complex_numIfEEEvi20rocsparse_direction_NS_24const_host_device_scalarIT2_EEPKiS8_PKS5_SA_S6_PS5_21rocsparse_index_base_b.private_seg_size, 0
	.set _ZN9rocsparseL19gebsrmvn_1xn_kernelILj128ELj9ELj16E21rocsparse_complex_numIfEEEvi20rocsparse_direction_NS_24const_host_device_scalarIT2_EEPKiS8_PKS5_SA_S6_PS5_21rocsparse_index_base_b.uses_vcc, 1
	.set _ZN9rocsparseL19gebsrmvn_1xn_kernelILj128ELj9ELj16E21rocsparse_complex_numIfEEEvi20rocsparse_direction_NS_24const_host_device_scalarIT2_EEPKiS8_PKS5_SA_S6_PS5_21rocsparse_index_base_b.uses_flat_scratch, 0
	.set _ZN9rocsparseL19gebsrmvn_1xn_kernelILj128ELj9ELj16E21rocsparse_complex_numIfEEEvi20rocsparse_direction_NS_24const_host_device_scalarIT2_EEPKiS8_PKS5_SA_S6_PS5_21rocsparse_index_base_b.has_dyn_sized_stack, 0
	.set _ZN9rocsparseL19gebsrmvn_1xn_kernelILj128ELj9ELj16E21rocsparse_complex_numIfEEEvi20rocsparse_direction_NS_24const_host_device_scalarIT2_EEPKiS8_PKS5_SA_S6_PS5_21rocsparse_index_base_b.has_recursion, 0
	.set _ZN9rocsparseL19gebsrmvn_1xn_kernelILj128ELj9ELj16E21rocsparse_complex_numIfEEEvi20rocsparse_direction_NS_24const_host_device_scalarIT2_EEPKiS8_PKS5_SA_S6_PS5_21rocsparse_index_base_b.has_indirect_call, 0
	.section	.AMDGPU.csdata,"",@progbits
; Kernel info:
; codeLenInByte = 1668
; TotalNumSgprs: 15
; NumVgprs: 52
; ScratchSize: 0
; MemoryBound: 0
; FloatMode: 240
; IeeeMode: 1
; LDSByteSize: 0 bytes/workgroup (compile time only)
; SGPRBlocks: 0
; VGPRBlocks: 6
; NumSGPRsForWavesPerEU: 15
; NumVGPRsForWavesPerEU: 52
; Occupancy: 16
; WaveLimiterHint : 1
; COMPUTE_PGM_RSRC2:SCRATCH_EN: 0
; COMPUTE_PGM_RSRC2:USER_SGPR: 6
; COMPUTE_PGM_RSRC2:TRAP_HANDLER: 0
; COMPUTE_PGM_RSRC2:TGID_X_EN: 1
; COMPUTE_PGM_RSRC2:TGID_Y_EN: 0
; COMPUTE_PGM_RSRC2:TGID_Z_EN: 0
; COMPUTE_PGM_RSRC2:TIDIG_COMP_CNT: 0
	.section	.text._ZN9rocsparseL19gebsrmvn_1xn_kernelILj128ELj9ELj32E21rocsparse_complex_numIfEEEvi20rocsparse_direction_NS_24const_host_device_scalarIT2_EEPKiS8_PKS5_SA_S6_PS5_21rocsparse_index_base_b,"axG",@progbits,_ZN9rocsparseL19gebsrmvn_1xn_kernelILj128ELj9ELj32E21rocsparse_complex_numIfEEEvi20rocsparse_direction_NS_24const_host_device_scalarIT2_EEPKiS8_PKS5_SA_S6_PS5_21rocsparse_index_base_b,comdat
	.globl	_ZN9rocsparseL19gebsrmvn_1xn_kernelILj128ELj9ELj32E21rocsparse_complex_numIfEEEvi20rocsparse_direction_NS_24const_host_device_scalarIT2_EEPKiS8_PKS5_SA_S6_PS5_21rocsparse_index_base_b ; -- Begin function _ZN9rocsparseL19gebsrmvn_1xn_kernelILj128ELj9ELj32E21rocsparse_complex_numIfEEEvi20rocsparse_direction_NS_24const_host_device_scalarIT2_EEPKiS8_PKS5_SA_S6_PS5_21rocsparse_index_base_b
	.p2align	8
	.type	_ZN9rocsparseL19gebsrmvn_1xn_kernelILj128ELj9ELj32E21rocsparse_complex_numIfEEEvi20rocsparse_direction_NS_24const_host_device_scalarIT2_EEPKiS8_PKS5_SA_S6_PS5_21rocsparse_index_base_b,@function
_ZN9rocsparseL19gebsrmvn_1xn_kernelILj128ELj9ELj32E21rocsparse_complex_numIfEEEvi20rocsparse_direction_NS_24const_host_device_scalarIT2_EEPKiS8_PKS5_SA_S6_PS5_21rocsparse_index_base_b: ; @_ZN9rocsparseL19gebsrmvn_1xn_kernelILj128ELj9ELj32E21rocsparse_complex_numIfEEEvi20rocsparse_direction_NS_24const_host_device_scalarIT2_EEPKiS8_PKS5_SA_S6_PS5_21rocsparse_index_base_b
; %bb.0:
	s_clause 0x2
	s_load_dwordx2 s[8:9], s[4:5], 0x40
	s_load_dwordx2 s[0:1], s[4:5], 0x8
	;; [unrolled: 1-line block ×3, first 2 shown]
	s_add_u32 s7, s4, 8
	s_addc_u32 s10, s5, 0
	s_add_u32 s11, s4, 48
	s_addc_u32 s12, s5, 0
	s_waitcnt lgkmcnt(0)
	s_bitcmp1_b32 s9, 0
	s_cselect_b32 s0, s7, s0
	s_cselect_b32 s1, s10, s1
	v_mov_b32_e32 v1, s0
	v_mov_b32_e32 v2, s1
	s_cselect_b32 s0, s11, s2
	s_cselect_b32 s1, s12, s3
	flat_load_dwordx2 v[3:4], v[1:2]
	v_mov_b32_e32 v1, s0
	v_mov_b32_e32 v2, s1
	flat_load_dwordx2 v[1:2], v[1:2]
	s_waitcnt vmcnt(1) lgkmcnt(1)
	v_cmp_eq_f32_e32 vcc_lo, 0, v3
	v_cmp_eq_f32_e64 s0, 0, v4
	s_and_b32 s2, vcc_lo, s0
	s_mov_b32 s0, -1
	s_and_saveexec_b32 s1, s2
	s_cbranch_execz .LBB190_2
; %bb.1:
	s_waitcnt vmcnt(0) lgkmcnt(0)
	v_cmp_neq_f32_e32 vcc_lo, 1.0, v1
	v_cmp_neq_f32_e64 s0, 0, v2
	s_or_b32 s0, vcc_lo, s0
	s_orn2_b32 s0, s0, exec_lo
.LBB190_2:
	s_or_b32 exec_lo, exec_lo, s1
	s_and_saveexec_b32 s1, s0
	s_cbranch_execz .LBB190_13
; %bb.3:
	s_load_dword s0, s[4:5], 0x0
	v_lshrrev_b32_e32 v5, 5, v0
	v_lshl_or_b32 v5, s6, 2, v5
	s_waitcnt lgkmcnt(0)
	v_cmp_gt_i32_e32 vcc_lo, s0, v5
	s_and_b32 exec_lo, exec_lo, vcc_lo
	s_cbranch_execz .LBB190_13
; %bb.4:
	s_clause 0x1
	s_load_dwordx2 s[0:1], s[4:5], 0x10
	s_load_dwordx2 s[6:7], s[4:5], 0x38
	v_ashrrev_i32_e32 v6, 31, v5
	v_and_b32_e32 v0, 31, v0
	v_mov_b32_e32 v13, 0
	v_mov_b32_e32 v15, 0
	s_mov_b32 s9, exec_lo
	v_lshlrev_b64 v[7:8], 2, v[5:6]
	v_subrev_nc_u32_e32 v9, s8, v0
	s_waitcnt lgkmcnt(0)
	v_add_co_u32 v7, vcc_lo, s0, v7
	v_add_co_ci_u32_e64 v8, null, s1, v8, vcc_lo
	global_load_dwordx2 v[7:8], v[7:8], off
	s_waitcnt vmcnt(0)
	v_subrev_nc_u32_e32 v14, s8, v8
	v_add_nc_u32_e32 v7, v7, v9
	v_cmpx_lt_i32_e64 v7, v14
	s_cbranch_execz .LBB190_8
; %bb.5:
	s_clause 0x1
	s_load_dwordx4 s[0:3], s[4:5], 0x18
	s_load_dwordx2 s[4:5], s[4:5], 0x28
	v_mad_u64_u32 v[9:10], null, v7, 9, 8
	v_mov_b32_e32 v12, 0
	v_mov_b32_e32 v13, 0
	;; [unrolled: 1-line block ×3, first 2 shown]
	s_mov_b32 s10, 0
.LBB190_6:                              ; =>This Inner Loop Header: Depth=1
	v_ashrrev_i32_e32 v8, 31, v7
	v_mov_b32_e32 v17, v12
	v_lshlrev_b64 v[10:11], 2, v[7:8]
	v_add_nc_u32_e32 v7, 32, v7
	s_waitcnt lgkmcnt(0)
	v_add_co_u32 v10, vcc_lo, s0, v10
	v_add_co_ci_u32_e64 v11, null, s1, v11, vcc_lo
	global_load_dword v8, v[10:11], off
	v_add_nc_u32_e32 v11, -8, v9
	v_mov_b32_e32 v10, v12
	v_lshlrev_b64 v[18:19], 3, v[11:12]
	v_add_nc_u32_e32 v11, -7, v9
	v_lshlrev_b64 v[20:21], 3, v[9:10]
	v_lshlrev_b64 v[10:11], 3, v[11:12]
	v_add_co_u32 v18, vcc_lo, s2, v18
	v_add_co_ci_u32_e64 v19, null, s3, v19, vcc_lo
	v_add_co_u32 v20, vcc_lo, s2, v20
	v_add_co_ci_u32_e64 v21, null, s3, v21, vcc_lo
	;; [unrolled: 2-line block ×3, first 2 shown]
	s_clause 0x1
	global_load_dwordx2 v[18:19], v[18:19], off
	global_load_dwordx2 v[22:23], v[10:11], off
	s_waitcnt vmcnt(2)
	v_subrev_nc_u32_e32 v8, s8, v8
	v_lshl_add_u32 v16, v8, 3, v8
	v_lshlrev_b64 v[24:25], 3, v[16:17]
	v_add_nc_u32_e32 v11, 1, v16
	v_lshlrev_b64 v[26:27], 3, v[11:12]
	v_add_co_u32 v24, vcc_lo, s4, v24
	v_add_co_ci_u32_e64 v25, null, s5, v25, vcc_lo
	v_add_nc_u32_e32 v11, -6, v9
	v_add_co_u32 v26, vcc_lo, s4, v26
	global_load_dwordx2 v[24:25], v[24:25], off
	v_add_co_ci_u32_e64 v27, null, s5, v27, vcc_lo
	v_lshlrev_b64 v[28:29], 3, v[11:12]
	v_add_nc_u32_e32 v11, 2, v16
	global_load_dwordx2 v[26:27], v[26:27], off
	v_lshlrev_b64 v[30:31], 3, v[11:12]
	v_add_nc_u32_e32 v11, -5, v9
	v_add_co_u32 v28, vcc_lo, s2, v28
	v_add_co_ci_u32_e64 v29, null, s3, v29, vcc_lo
	v_lshlrev_b64 v[32:33], 3, v[11:12]
	v_add_nc_u32_e32 v11, 3, v16
	v_add_co_u32 v30, vcc_lo, s4, v30
	v_add_co_ci_u32_e64 v31, null, s5, v31, vcc_lo
	v_lshlrev_b64 v[34:35], 3, v[11:12]
	v_add_nc_u32_e32 v11, -4, v9
	global_load_dwordx2 v[28:29], v[28:29], off
	global_load_dwordx2 v[30:31], v[30:31], off
	v_add_co_u32 v32, vcc_lo, s2, v32
	v_lshlrev_b64 v[36:37], 3, v[11:12]
	v_add_nc_u32_e32 v11, 4, v16
	v_add_co_ci_u32_e64 v33, null, s3, v33, vcc_lo
	v_add_co_u32 v34, vcc_lo, s4, v34
	v_add_co_ci_u32_e64 v35, null, s5, v35, vcc_lo
	v_lshlrev_b64 v[38:39], 3, v[11:12]
	v_add_nc_u32_e32 v11, -3, v9
	global_load_dwordx2 v[32:33], v[32:33], off
	global_load_dwordx2 v[34:35], v[34:35], off
	v_add_co_u32 v36, vcc_lo, s2, v36
	v_lshlrev_b64 v[40:41], 3, v[11:12]
	v_add_nc_u32_e32 v11, 5, v16
	v_add_co_ci_u32_e64 v37, null, s3, v37, vcc_lo
	;; [unrolled: 10-line block ×3, first 2 shown]
	v_add_co_u32 v42, vcc_lo, s4, v42
	v_add_co_ci_u32_e64 v43, null, s5, v43, vcc_lo
	v_lshlrev_b64 v[46:47], 3, v[11:12]
	v_add_nc_u32_e32 v11, -1, v9
	global_load_dwordx2 v[40:41], v[40:41], off
	global_load_dwordx2 v[42:43], v[42:43], off
	v_add_co_u32 v44, vcc_lo, s2, v44
	v_add_co_ci_u32_e64 v45, null, s3, v45, vcc_lo
	v_lshlrev_b64 v[48:49], 3, v[11:12]
	v_add_nc_u32_e32 v11, 7, v16
	v_add_co_u32 v46, vcc_lo, s4, v46
	v_add_co_ci_u32_e64 v47, null, s5, v47, vcc_lo
	v_lshlrev_b64 v[50:51], 3, v[11:12]
	global_load_dwordx2 v[44:45], v[44:45], off
	v_add_nc_u32_e32 v11, 8, v16
	global_load_dwordx2 v[16:17], v[46:47], off
	v_add_co_u32 v46, vcc_lo, s2, v48
	v_add_co_ci_u32_e64 v47, null, s3, v49, vcc_lo
	v_add_co_u32 v48, vcc_lo, s4, v50
	v_add_co_ci_u32_e64 v49, null, s5, v51, vcc_lo
	v_lshlrev_b64 v[10:11], 3, v[11:12]
	global_load_dwordx2 v[46:47], v[46:47], off
	global_load_dwordx2 v[48:49], v[48:49], off
	v_add_nc_u32_e32 v9, 0x120, v9
	v_add_co_u32 v10, vcc_lo, s4, v10
	v_add_co_ci_u32_e64 v11, null, s5, v11, vcc_lo
	global_load_dwordx2 v[20:21], v[20:21], off
	global_load_dwordx2 v[10:11], v[10:11], off
	v_cmp_ge_i32_e32 vcc_lo, v7, v14
	s_or_b32 s10, vcc_lo, s10
	s_waitcnt vmcnt(15)
	v_fmac_f32_e32 v15, v18, v24
	v_fmac_f32_e32 v13, v19, v24
	v_fma_f32 v8, -v19, v25, v15
	v_fmac_f32_e32 v13, v18, v25
	s_waitcnt vmcnt(14)
	v_fmac_f32_e32 v8, v22, v26
	v_fmac_f32_e32 v13, v23, v26
	v_fma_f32 v8, -v23, v27, v8
	v_fmac_f32_e32 v13, v22, v27
	;; [unrolled: 5-line block ×9, first 2 shown]
	s_andn2_b32 exec_lo, exec_lo, s10
	s_cbranch_execnz .LBB190_6
; %bb.7:
	s_or_b32 exec_lo, exec_lo, s10
.LBB190_8:
	s_or_b32 exec_lo, exec_lo, s9
	v_mbcnt_lo_u32_b32 v7, -1, 0
	v_xor_b32_e32 v8, 16, v7
	v_xor_b32_e32 v10, 8, v7
	v_xor_b32_e32 v12, 4, v7
	v_cmp_gt_i32_e32 vcc_lo, 32, v8
	v_cndmask_b32_e32 v8, v7, v8, vcc_lo
	v_cmp_gt_i32_e32 vcc_lo, 32, v10
	v_lshlrev_b32_e32 v8, 2, v8
	v_cndmask_b32_e32 v10, v7, v10, vcc_lo
	v_cmp_gt_i32_e32 vcc_lo, 32, v12
	ds_bpermute_b32 v9, v8, v15
	ds_bpermute_b32 v8, v8, v13
	v_lshlrev_b32_e32 v10, 2, v10
	v_cndmask_b32_e32 v12, v7, v12, vcc_lo
	v_lshlrev_b32_e32 v12, 2, v12
	s_waitcnt lgkmcnt(1)
	v_add_f32_e32 v9, v15, v9
	s_waitcnt lgkmcnt(0)
	v_add_f32_e32 v8, v13, v8
	ds_bpermute_b32 v11, v10, v9
	ds_bpermute_b32 v10, v10, v8
	s_waitcnt lgkmcnt(1)
	v_add_f32_e32 v9, v9, v11
	s_waitcnt lgkmcnt(0)
	v_add_f32_e32 v8, v8, v10
	ds_bpermute_b32 v10, v12, v9
	ds_bpermute_b32 v11, v12, v8
	v_xor_b32_e32 v12, 2, v7
	v_cmp_gt_i32_e32 vcc_lo, 32, v12
	v_cndmask_b32_e32 v12, v7, v12, vcc_lo
	v_lshlrev_b32_e32 v12, 2, v12
	s_waitcnt lgkmcnt(1)
	v_add_f32_e32 v9, v9, v10
	s_waitcnt lgkmcnt(0)
	v_add_f32_e32 v8, v8, v11
	ds_bpermute_b32 v10, v12, v9
	ds_bpermute_b32 v11, v12, v8
	v_xor_b32_e32 v12, 1, v7
	v_cmp_gt_i32_e32 vcc_lo, 32, v12
	v_cndmask_b32_e32 v7, v7, v12, vcc_lo
	v_cmp_eq_u32_e32 vcc_lo, 31, v0
	v_lshlrev_b32_e32 v12, 2, v7
	s_waitcnt lgkmcnt(1)
	v_add_f32_e32 v7, v9, v10
	s_waitcnt lgkmcnt(0)
	v_add_f32_e32 v9, v8, v11
	ds_bpermute_b32 v8, v12, v7
	ds_bpermute_b32 v10, v12, v9
	s_and_b32 exec_lo, exec_lo, vcc_lo
	s_cbranch_execz .LBB190_13
; %bb.9:
	s_waitcnt lgkmcnt(0)
	v_add_f32_e32 v0, v9, v10
	v_add_f32_e32 v9, v7, v8
	v_cmp_eq_f32_e32 vcc_lo, 0, v1
	v_cmp_eq_f32_e64 s0, 0, v2
	v_lshlrev_b64 v[5:6], 3, v[5:6]
	v_mul_f32_e64 v7, v0, -v4
	v_mul_f32_e32 v8, v3, v0
	s_and_b32 s0, vcc_lo, s0
	v_fmac_f32_e32 v7, v3, v9
	v_fmac_f32_e32 v8, v4, v9
	s_and_saveexec_b32 s1, s0
	s_xor_b32 s0, exec_lo, s1
	s_cbranch_execz .LBB190_11
; %bb.10:
	v_add_co_u32 v0, vcc_lo, s6, v5
	v_add_co_ci_u32_e64 v1, null, s7, v6, vcc_lo
                                        ; implicit-def: $vgpr5_vgpr6
	global_store_dwordx2 v[0:1], v[7:8], off
                                        ; implicit-def: $vgpr1_vgpr2
                                        ; implicit-def: $vgpr7
.LBB190_11:
	s_andn2_saveexec_b32 s0, s0
	s_cbranch_execz .LBB190_13
; %bb.12:
	v_add_co_u32 v3, vcc_lo, s6, v5
	v_add_co_ci_u32_e64 v4, null, s7, v6, vcc_lo
	global_load_dwordx2 v[5:6], v[3:4], off
	s_waitcnt vmcnt(0)
	v_fmac_f32_e32 v7, v1, v5
	v_fmac_f32_e32 v8, v2, v5
	v_fma_f32 v7, -v2, v6, v7
	v_fmac_f32_e32 v8, v1, v6
	global_store_dwordx2 v[3:4], v[7:8], off
.LBB190_13:
	s_endpgm
	.section	.rodata,"a",@progbits
	.p2align	6, 0x0
	.amdhsa_kernel _ZN9rocsparseL19gebsrmvn_1xn_kernelILj128ELj9ELj32E21rocsparse_complex_numIfEEEvi20rocsparse_direction_NS_24const_host_device_scalarIT2_EEPKiS8_PKS5_SA_S6_PS5_21rocsparse_index_base_b
		.amdhsa_group_segment_fixed_size 0
		.amdhsa_private_segment_fixed_size 0
		.amdhsa_kernarg_size 72
		.amdhsa_user_sgpr_count 6
		.amdhsa_user_sgpr_private_segment_buffer 1
		.amdhsa_user_sgpr_dispatch_ptr 0
		.amdhsa_user_sgpr_queue_ptr 0
		.amdhsa_user_sgpr_kernarg_segment_ptr 1
		.amdhsa_user_sgpr_dispatch_id 0
		.amdhsa_user_sgpr_flat_scratch_init 0
		.amdhsa_user_sgpr_private_segment_size 0
		.amdhsa_wavefront_size32 1
		.amdhsa_uses_dynamic_stack 0
		.amdhsa_system_sgpr_private_segment_wavefront_offset 0
		.amdhsa_system_sgpr_workgroup_id_x 1
		.amdhsa_system_sgpr_workgroup_id_y 0
		.amdhsa_system_sgpr_workgroup_id_z 0
		.amdhsa_system_sgpr_workgroup_info 0
		.amdhsa_system_vgpr_workitem_id 0
		.amdhsa_next_free_vgpr 52
		.amdhsa_next_free_sgpr 13
		.amdhsa_reserve_vcc 1
		.amdhsa_reserve_flat_scratch 0
		.amdhsa_float_round_mode_32 0
		.amdhsa_float_round_mode_16_64 0
		.amdhsa_float_denorm_mode_32 3
		.amdhsa_float_denorm_mode_16_64 3
		.amdhsa_dx10_clamp 1
		.amdhsa_ieee_mode 1
		.amdhsa_fp16_overflow 0
		.amdhsa_workgroup_processor_mode 1
		.amdhsa_memory_ordered 1
		.amdhsa_forward_progress 1
		.amdhsa_shared_vgpr_count 0
		.amdhsa_exception_fp_ieee_invalid_op 0
		.amdhsa_exception_fp_denorm_src 0
		.amdhsa_exception_fp_ieee_div_zero 0
		.amdhsa_exception_fp_ieee_overflow 0
		.amdhsa_exception_fp_ieee_underflow 0
		.amdhsa_exception_fp_ieee_inexact 0
		.amdhsa_exception_int_div_zero 0
	.end_amdhsa_kernel
	.section	.text._ZN9rocsparseL19gebsrmvn_1xn_kernelILj128ELj9ELj32E21rocsparse_complex_numIfEEEvi20rocsparse_direction_NS_24const_host_device_scalarIT2_EEPKiS8_PKS5_SA_S6_PS5_21rocsparse_index_base_b,"axG",@progbits,_ZN9rocsparseL19gebsrmvn_1xn_kernelILj128ELj9ELj32E21rocsparse_complex_numIfEEEvi20rocsparse_direction_NS_24const_host_device_scalarIT2_EEPKiS8_PKS5_SA_S6_PS5_21rocsparse_index_base_b,comdat
.Lfunc_end190:
	.size	_ZN9rocsparseL19gebsrmvn_1xn_kernelILj128ELj9ELj32E21rocsparse_complex_numIfEEEvi20rocsparse_direction_NS_24const_host_device_scalarIT2_EEPKiS8_PKS5_SA_S6_PS5_21rocsparse_index_base_b, .Lfunc_end190-_ZN9rocsparseL19gebsrmvn_1xn_kernelILj128ELj9ELj32E21rocsparse_complex_numIfEEEvi20rocsparse_direction_NS_24const_host_device_scalarIT2_EEPKiS8_PKS5_SA_S6_PS5_21rocsparse_index_base_b
                                        ; -- End function
	.set _ZN9rocsparseL19gebsrmvn_1xn_kernelILj128ELj9ELj32E21rocsparse_complex_numIfEEEvi20rocsparse_direction_NS_24const_host_device_scalarIT2_EEPKiS8_PKS5_SA_S6_PS5_21rocsparse_index_base_b.num_vgpr, 52
	.set _ZN9rocsparseL19gebsrmvn_1xn_kernelILj128ELj9ELj32E21rocsparse_complex_numIfEEEvi20rocsparse_direction_NS_24const_host_device_scalarIT2_EEPKiS8_PKS5_SA_S6_PS5_21rocsparse_index_base_b.num_agpr, 0
	.set _ZN9rocsparseL19gebsrmvn_1xn_kernelILj128ELj9ELj32E21rocsparse_complex_numIfEEEvi20rocsparse_direction_NS_24const_host_device_scalarIT2_EEPKiS8_PKS5_SA_S6_PS5_21rocsparse_index_base_b.numbered_sgpr, 13
	.set _ZN9rocsparseL19gebsrmvn_1xn_kernelILj128ELj9ELj32E21rocsparse_complex_numIfEEEvi20rocsparse_direction_NS_24const_host_device_scalarIT2_EEPKiS8_PKS5_SA_S6_PS5_21rocsparse_index_base_b.num_named_barrier, 0
	.set _ZN9rocsparseL19gebsrmvn_1xn_kernelILj128ELj9ELj32E21rocsparse_complex_numIfEEEvi20rocsparse_direction_NS_24const_host_device_scalarIT2_EEPKiS8_PKS5_SA_S6_PS5_21rocsparse_index_base_b.private_seg_size, 0
	.set _ZN9rocsparseL19gebsrmvn_1xn_kernelILj128ELj9ELj32E21rocsparse_complex_numIfEEEvi20rocsparse_direction_NS_24const_host_device_scalarIT2_EEPKiS8_PKS5_SA_S6_PS5_21rocsparse_index_base_b.uses_vcc, 1
	.set _ZN9rocsparseL19gebsrmvn_1xn_kernelILj128ELj9ELj32E21rocsparse_complex_numIfEEEvi20rocsparse_direction_NS_24const_host_device_scalarIT2_EEPKiS8_PKS5_SA_S6_PS5_21rocsparse_index_base_b.uses_flat_scratch, 0
	.set _ZN9rocsparseL19gebsrmvn_1xn_kernelILj128ELj9ELj32E21rocsparse_complex_numIfEEEvi20rocsparse_direction_NS_24const_host_device_scalarIT2_EEPKiS8_PKS5_SA_S6_PS5_21rocsparse_index_base_b.has_dyn_sized_stack, 0
	.set _ZN9rocsparseL19gebsrmvn_1xn_kernelILj128ELj9ELj32E21rocsparse_complex_numIfEEEvi20rocsparse_direction_NS_24const_host_device_scalarIT2_EEPKiS8_PKS5_SA_S6_PS5_21rocsparse_index_base_b.has_recursion, 0
	.set _ZN9rocsparseL19gebsrmvn_1xn_kernelILj128ELj9ELj32E21rocsparse_complex_numIfEEEvi20rocsparse_direction_NS_24const_host_device_scalarIT2_EEPKiS8_PKS5_SA_S6_PS5_21rocsparse_index_base_b.has_indirect_call, 0
	.section	.AMDGPU.csdata,"",@progbits
; Kernel info:
; codeLenInByte = 1716
; TotalNumSgprs: 15
; NumVgprs: 52
; ScratchSize: 0
; MemoryBound: 0
; FloatMode: 240
; IeeeMode: 1
; LDSByteSize: 0 bytes/workgroup (compile time only)
; SGPRBlocks: 0
; VGPRBlocks: 6
; NumSGPRsForWavesPerEU: 15
; NumVGPRsForWavesPerEU: 52
; Occupancy: 16
; WaveLimiterHint : 1
; COMPUTE_PGM_RSRC2:SCRATCH_EN: 0
; COMPUTE_PGM_RSRC2:USER_SGPR: 6
; COMPUTE_PGM_RSRC2:TRAP_HANDLER: 0
; COMPUTE_PGM_RSRC2:TGID_X_EN: 1
; COMPUTE_PGM_RSRC2:TGID_Y_EN: 0
; COMPUTE_PGM_RSRC2:TGID_Z_EN: 0
; COMPUTE_PGM_RSRC2:TIDIG_COMP_CNT: 0
	.section	.text._ZN9rocsparseL19gebsrmvn_1xn_kernelILj128ELj9ELj64E21rocsparse_complex_numIfEEEvi20rocsparse_direction_NS_24const_host_device_scalarIT2_EEPKiS8_PKS5_SA_S6_PS5_21rocsparse_index_base_b,"axG",@progbits,_ZN9rocsparseL19gebsrmvn_1xn_kernelILj128ELj9ELj64E21rocsparse_complex_numIfEEEvi20rocsparse_direction_NS_24const_host_device_scalarIT2_EEPKiS8_PKS5_SA_S6_PS5_21rocsparse_index_base_b,comdat
	.globl	_ZN9rocsparseL19gebsrmvn_1xn_kernelILj128ELj9ELj64E21rocsparse_complex_numIfEEEvi20rocsparse_direction_NS_24const_host_device_scalarIT2_EEPKiS8_PKS5_SA_S6_PS5_21rocsparse_index_base_b ; -- Begin function _ZN9rocsparseL19gebsrmvn_1xn_kernelILj128ELj9ELj64E21rocsparse_complex_numIfEEEvi20rocsparse_direction_NS_24const_host_device_scalarIT2_EEPKiS8_PKS5_SA_S6_PS5_21rocsparse_index_base_b
	.p2align	8
	.type	_ZN9rocsparseL19gebsrmvn_1xn_kernelILj128ELj9ELj64E21rocsparse_complex_numIfEEEvi20rocsparse_direction_NS_24const_host_device_scalarIT2_EEPKiS8_PKS5_SA_S6_PS5_21rocsparse_index_base_b,@function
_ZN9rocsparseL19gebsrmvn_1xn_kernelILj128ELj9ELj64E21rocsparse_complex_numIfEEEvi20rocsparse_direction_NS_24const_host_device_scalarIT2_EEPKiS8_PKS5_SA_S6_PS5_21rocsparse_index_base_b: ; @_ZN9rocsparseL19gebsrmvn_1xn_kernelILj128ELj9ELj64E21rocsparse_complex_numIfEEEvi20rocsparse_direction_NS_24const_host_device_scalarIT2_EEPKiS8_PKS5_SA_S6_PS5_21rocsparse_index_base_b
; %bb.0:
	s_clause 0x2
	s_load_dwordx2 s[8:9], s[4:5], 0x40
	s_load_dwordx2 s[0:1], s[4:5], 0x8
	;; [unrolled: 1-line block ×3, first 2 shown]
	s_add_u32 s7, s4, 8
	s_addc_u32 s10, s5, 0
	s_add_u32 s11, s4, 48
	s_addc_u32 s12, s5, 0
	s_waitcnt lgkmcnt(0)
	s_bitcmp1_b32 s9, 0
	s_cselect_b32 s0, s7, s0
	s_cselect_b32 s1, s10, s1
	v_mov_b32_e32 v1, s0
	v_mov_b32_e32 v2, s1
	s_cselect_b32 s0, s11, s2
	s_cselect_b32 s1, s12, s3
	flat_load_dwordx2 v[3:4], v[1:2]
	v_mov_b32_e32 v1, s0
	v_mov_b32_e32 v2, s1
	flat_load_dwordx2 v[1:2], v[1:2]
	s_waitcnt vmcnt(1) lgkmcnt(1)
	v_cmp_eq_f32_e32 vcc_lo, 0, v3
	v_cmp_eq_f32_e64 s0, 0, v4
	s_and_b32 s2, vcc_lo, s0
	s_mov_b32 s0, -1
	s_and_saveexec_b32 s1, s2
	s_cbranch_execz .LBB191_2
; %bb.1:
	s_waitcnt vmcnt(0) lgkmcnt(0)
	v_cmp_neq_f32_e32 vcc_lo, 1.0, v1
	v_cmp_neq_f32_e64 s0, 0, v2
	s_or_b32 s0, vcc_lo, s0
	s_orn2_b32 s0, s0, exec_lo
.LBB191_2:
	s_or_b32 exec_lo, exec_lo, s1
	s_and_saveexec_b32 s1, s0
	s_cbranch_execz .LBB191_13
; %bb.3:
	s_load_dword s0, s[4:5], 0x0
	v_lshrrev_b32_e32 v5, 6, v0
	v_lshl_or_b32 v5, s6, 1, v5
	s_waitcnt lgkmcnt(0)
	v_cmp_gt_i32_e32 vcc_lo, s0, v5
	s_and_b32 exec_lo, exec_lo, vcc_lo
	s_cbranch_execz .LBB191_13
; %bb.4:
	s_clause 0x1
	s_load_dwordx2 s[0:1], s[4:5], 0x10
	s_load_dwordx2 s[6:7], s[4:5], 0x38
	v_ashrrev_i32_e32 v6, 31, v5
	v_and_b32_e32 v0, 63, v0
	v_mov_b32_e32 v13, 0
	v_mov_b32_e32 v15, 0
	s_mov_b32 s9, exec_lo
	v_lshlrev_b64 v[7:8], 2, v[5:6]
	v_subrev_nc_u32_e32 v9, s8, v0
	s_waitcnt lgkmcnt(0)
	v_add_co_u32 v7, vcc_lo, s0, v7
	v_add_co_ci_u32_e64 v8, null, s1, v8, vcc_lo
	global_load_dwordx2 v[7:8], v[7:8], off
	s_waitcnt vmcnt(0)
	v_subrev_nc_u32_e32 v14, s8, v8
	v_add_nc_u32_e32 v7, v7, v9
	v_cmpx_lt_i32_e64 v7, v14
	s_cbranch_execz .LBB191_8
; %bb.5:
	s_clause 0x1
	s_load_dwordx4 s[0:3], s[4:5], 0x18
	s_load_dwordx2 s[4:5], s[4:5], 0x28
	v_mad_u64_u32 v[9:10], null, v7, 9, 8
	v_mov_b32_e32 v12, 0
	v_mov_b32_e32 v13, 0
	;; [unrolled: 1-line block ×3, first 2 shown]
	s_mov_b32 s10, 0
.LBB191_6:                              ; =>This Inner Loop Header: Depth=1
	v_ashrrev_i32_e32 v8, 31, v7
	v_mov_b32_e32 v17, v12
	v_lshlrev_b64 v[10:11], 2, v[7:8]
	v_add_nc_u32_e32 v7, 64, v7
	s_waitcnt lgkmcnt(0)
	v_add_co_u32 v10, vcc_lo, s0, v10
	v_add_co_ci_u32_e64 v11, null, s1, v11, vcc_lo
	global_load_dword v8, v[10:11], off
	v_add_nc_u32_e32 v11, -8, v9
	v_mov_b32_e32 v10, v12
	v_lshlrev_b64 v[18:19], 3, v[11:12]
	v_add_nc_u32_e32 v11, -7, v9
	v_lshlrev_b64 v[20:21], 3, v[9:10]
	v_lshlrev_b64 v[10:11], 3, v[11:12]
	v_add_co_u32 v18, vcc_lo, s2, v18
	v_add_co_ci_u32_e64 v19, null, s3, v19, vcc_lo
	v_add_co_u32 v20, vcc_lo, s2, v20
	v_add_co_ci_u32_e64 v21, null, s3, v21, vcc_lo
	;; [unrolled: 2-line block ×3, first 2 shown]
	s_clause 0x1
	global_load_dwordx2 v[18:19], v[18:19], off
	global_load_dwordx2 v[22:23], v[10:11], off
	s_waitcnt vmcnt(2)
	v_subrev_nc_u32_e32 v8, s8, v8
	v_lshl_add_u32 v16, v8, 3, v8
	v_lshlrev_b64 v[24:25], 3, v[16:17]
	v_add_nc_u32_e32 v11, 1, v16
	v_lshlrev_b64 v[26:27], 3, v[11:12]
	v_add_co_u32 v24, vcc_lo, s4, v24
	v_add_co_ci_u32_e64 v25, null, s5, v25, vcc_lo
	v_add_nc_u32_e32 v11, -6, v9
	v_add_co_u32 v26, vcc_lo, s4, v26
	global_load_dwordx2 v[24:25], v[24:25], off
	v_add_co_ci_u32_e64 v27, null, s5, v27, vcc_lo
	v_lshlrev_b64 v[28:29], 3, v[11:12]
	v_add_nc_u32_e32 v11, 2, v16
	global_load_dwordx2 v[26:27], v[26:27], off
	v_lshlrev_b64 v[30:31], 3, v[11:12]
	v_add_nc_u32_e32 v11, -5, v9
	v_add_co_u32 v28, vcc_lo, s2, v28
	v_add_co_ci_u32_e64 v29, null, s3, v29, vcc_lo
	v_lshlrev_b64 v[32:33], 3, v[11:12]
	v_add_nc_u32_e32 v11, 3, v16
	v_add_co_u32 v30, vcc_lo, s4, v30
	v_add_co_ci_u32_e64 v31, null, s5, v31, vcc_lo
	v_lshlrev_b64 v[34:35], 3, v[11:12]
	v_add_nc_u32_e32 v11, -4, v9
	global_load_dwordx2 v[28:29], v[28:29], off
	global_load_dwordx2 v[30:31], v[30:31], off
	v_add_co_u32 v32, vcc_lo, s2, v32
	v_lshlrev_b64 v[36:37], 3, v[11:12]
	v_add_nc_u32_e32 v11, 4, v16
	v_add_co_ci_u32_e64 v33, null, s3, v33, vcc_lo
	v_add_co_u32 v34, vcc_lo, s4, v34
	v_add_co_ci_u32_e64 v35, null, s5, v35, vcc_lo
	v_lshlrev_b64 v[38:39], 3, v[11:12]
	v_add_nc_u32_e32 v11, -3, v9
	global_load_dwordx2 v[32:33], v[32:33], off
	global_load_dwordx2 v[34:35], v[34:35], off
	v_add_co_u32 v36, vcc_lo, s2, v36
	v_lshlrev_b64 v[40:41], 3, v[11:12]
	v_add_nc_u32_e32 v11, 5, v16
	v_add_co_ci_u32_e64 v37, null, s3, v37, vcc_lo
	;; [unrolled: 10-line block ×3, first 2 shown]
	v_add_co_u32 v42, vcc_lo, s4, v42
	v_add_co_ci_u32_e64 v43, null, s5, v43, vcc_lo
	v_lshlrev_b64 v[46:47], 3, v[11:12]
	v_add_nc_u32_e32 v11, -1, v9
	global_load_dwordx2 v[40:41], v[40:41], off
	global_load_dwordx2 v[42:43], v[42:43], off
	v_add_co_u32 v44, vcc_lo, s2, v44
	v_add_co_ci_u32_e64 v45, null, s3, v45, vcc_lo
	v_lshlrev_b64 v[48:49], 3, v[11:12]
	v_add_nc_u32_e32 v11, 7, v16
	v_add_co_u32 v46, vcc_lo, s4, v46
	v_add_co_ci_u32_e64 v47, null, s5, v47, vcc_lo
	v_lshlrev_b64 v[50:51], 3, v[11:12]
	global_load_dwordx2 v[44:45], v[44:45], off
	v_add_nc_u32_e32 v11, 8, v16
	global_load_dwordx2 v[16:17], v[46:47], off
	v_add_co_u32 v46, vcc_lo, s2, v48
	v_add_co_ci_u32_e64 v47, null, s3, v49, vcc_lo
	v_add_co_u32 v48, vcc_lo, s4, v50
	v_add_co_ci_u32_e64 v49, null, s5, v51, vcc_lo
	v_lshlrev_b64 v[10:11], 3, v[11:12]
	global_load_dwordx2 v[46:47], v[46:47], off
	global_load_dwordx2 v[48:49], v[48:49], off
	v_add_nc_u32_e32 v9, 0x240, v9
	v_add_co_u32 v10, vcc_lo, s4, v10
	v_add_co_ci_u32_e64 v11, null, s5, v11, vcc_lo
	global_load_dwordx2 v[20:21], v[20:21], off
	global_load_dwordx2 v[10:11], v[10:11], off
	v_cmp_ge_i32_e32 vcc_lo, v7, v14
	s_or_b32 s10, vcc_lo, s10
	s_waitcnt vmcnt(15)
	v_fmac_f32_e32 v15, v18, v24
	v_fmac_f32_e32 v13, v19, v24
	v_fma_f32 v8, -v19, v25, v15
	v_fmac_f32_e32 v13, v18, v25
	s_waitcnt vmcnt(14)
	v_fmac_f32_e32 v8, v22, v26
	v_fmac_f32_e32 v13, v23, v26
	v_fma_f32 v8, -v23, v27, v8
	v_fmac_f32_e32 v13, v22, v27
	s_waitcnt vmcnt(12)
	v_fmac_f32_e32 v8, v28, v30
	v_fmac_f32_e32 v13, v29, v30
	v_fma_f32 v8, -v29, v31, v8
	v_fmac_f32_e32 v13, v28, v31
	s_waitcnt vmcnt(10)
	v_fmac_f32_e32 v8, v32, v34
	v_fmac_f32_e32 v13, v33, v34
	v_fma_f32 v8, -v33, v35, v8
	v_fmac_f32_e32 v13, v32, v35
	s_waitcnt vmcnt(8)
	v_fmac_f32_e32 v8, v36, v38
	v_fmac_f32_e32 v13, v37, v38
	v_fma_f32 v8, -v37, v39, v8
	v_fmac_f32_e32 v13, v36, v39
	s_waitcnt vmcnt(6)
	v_fmac_f32_e32 v8, v40, v42
	v_fmac_f32_e32 v13, v41, v42
	v_fma_f32 v8, -v41, v43, v8
	v_fmac_f32_e32 v13, v40, v43
	s_waitcnt vmcnt(4)
	v_fmac_f32_e32 v8, v44, v16
	v_fmac_f32_e32 v13, v45, v16
	v_fma_f32 v8, -v45, v17, v8
	v_fmac_f32_e32 v13, v44, v17
	s_waitcnt vmcnt(2)
	v_fmac_f32_e32 v8, v46, v48
	v_fmac_f32_e32 v13, v47, v48
	v_fma_f32 v8, -v47, v49, v8
	v_fmac_f32_e32 v13, v46, v49
	s_waitcnt vmcnt(0)
	v_fmac_f32_e32 v8, v20, v10
	v_fmac_f32_e32 v13, v21, v10
	v_fma_f32 v15, -v21, v11, v8
	v_fmac_f32_e32 v13, v20, v11
	s_andn2_b32 exec_lo, exec_lo, s10
	s_cbranch_execnz .LBB191_6
; %bb.7:
	s_or_b32 exec_lo, exec_lo, s10
.LBB191_8:
	s_or_b32 exec_lo, exec_lo, s9
	v_mbcnt_lo_u32_b32 v7, -1, 0
	v_or_b32_e32 v8, 32, v7
	v_xor_b32_e32 v10, 16, v7
	v_xor_b32_e32 v12, 8, v7
	v_cmp_gt_i32_e32 vcc_lo, 32, v8
	v_cndmask_b32_e32 v8, v7, v8, vcc_lo
	v_cmp_gt_i32_e32 vcc_lo, 32, v10
	v_lshlrev_b32_e32 v8, 2, v8
	v_cndmask_b32_e32 v10, v7, v10, vcc_lo
	v_cmp_gt_i32_e32 vcc_lo, 32, v12
	ds_bpermute_b32 v9, v8, v15
	ds_bpermute_b32 v8, v8, v13
	v_lshlrev_b32_e32 v10, 2, v10
	v_cndmask_b32_e32 v12, v7, v12, vcc_lo
	v_lshlrev_b32_e32 v12, 2, v12
	s_waitcnt lgkmcnt(1)
	v_add_f32_e32 v9, v15, v9
	s_waitcnt lgkmcnt(0)
	v_add_f32_e32 v8, v13, v8
	ds_bpermute_b32 v11, v10, v9
	ds_bpermute_b32 v10, v10, v8
	s_waitcnt lgkmcnt(1)
	v_add_f32_e32 v9, v9, v11
	s_waitcnt lgkmcnt(0)
	v_add_f32_e32 v8, v8, v10
	ds_bpermute_b32 v10, v12, v9
	ds_bpermute_b32 v11, v12, v8
	v_xor_b32_e32 v12, 4, v7
	v_cmp_gt_i32_e32 vcc_lo, 32, v12
	v_cndmask_b32_e32 v12, v7, v12, vcc_lo
	v_lshlrev_b32_e32 v12, 2, v12
	s_waitcnt lgkmcnt(1)
	v_add_f32_e32 v9, v9, v10
	s_waitcnt lgkmcnt(0)
	v_add_f32_e32 v8, v8, v11
	ds_bpermute_b32 v10, v12, v9
	ds_bpermute_b32 v11, v12, v8
	v_xor_b32_e32 v12, 2, v7
	v_cmp_gt_i32_e32 vcc_lo, 32, v12
	v_cndmask_b32_e32 v12, v7, v12, vcc_lo
	v_lshlrev_b32_e32 v12, 2, v12
	s_waitcnt lgkmcnt(1)
	v_add_f32_e32 v9, v9, v10
	s_waitcnt lgkmcnt(0)
	v_add_f32_e32 v8, v8, v11
	ds_bpermute_b32 v10, v12, v9
	ds_bpermute_b32 v11, v12, v8
	v_xor_b32_e32 v12, 1, v7
	v_cmp_gt_i32_e32 vcc_lo, 32, v12
	v_cndmask_b32_e32 v7, v7, v12, vcc_lo
	v_cmp_eq_u32_e32 vcc_lo, 63, v0
	v_lshlrev_b32_e32 v12, 2, v7
	s_waitcnt lgkmcnt(1)
	v_add_f32_e32 v7, v9, v10
	s_waitcnt lgkmcnt(0)
	v_add_f32_e32 v9, v8, v11
	ds_bpermute_b32 v8, v12, v7
	ds_bpermute_b32 v10, v12, v9
	s_and_b32 exec_lo, exec_lo, vcc_lo
	s_cbranch_execz .LBB191_13
; %bb.9:
	s_waitcnt lgkmcnt(0)
	v_add_f32_e32 v0, v9, v10
	v_add_f32_e32 v9, v7, v8
	v_cmp_eq_f32_e32 vcc_lo, 0, v1
	v_cmp_eq_f32_e64 s0, 0, v2
	v_lshlrev_b64 v[5:6], 3, v[5:6]
	v_mul_f32_e64 v7, v0, -v4
	v_mul_f32_e32 v8, v3, v0
	s_and_b32 s0, vcc_lo, s0
	v_fmac_f32_e32 v7, v3, v9
	v_fmac_f32_e32 v8, v4, v9
	s_and_saveexec_b32 s1, s0
	s_xor_b32 s0, exec_lo, s1
	s_cbranch_execz .LBB191_11
; %bb.10:
	v_add_co_u32 v0, vcc_lo, s6, v5
	v_add_co_ci_u32_e64 v1, null, s7, v6, vcc_lo
                                        ; implicit-def: $vgpr5_vgpr6
	global_store_dwordx2 v[0:1], v[7:8], off
                                        ; implicit-def: $vgpr1_vgpr2
                                        ; implicit-def: $vgpr7
.LBB191_11:
	s_andn2_saveexec_b32 s0, s0
	s_cbranch_execz .LBB191_13
; %bb.12:
	v_add_co_u32 v3, vcc_lo, s6, v5
	v_add_co_ci_u32_e64 v4, null, s7, v6, vcc_lo
	global_load_dwordx2 v[5:6], v[3:4], off
	s_waitcnt vmcnt(0)
	v_fmac_f32_e32 v7, v1, v5
	v_fmac_f32_e32 v8, v2, v5
	v_fma_f32 v7, -v2, v6, v7
	v_fmac_f32_e32 v8, v1, v6
	global_store_dwordx2 v[3:4], v[7:8], off
.LBB191_13:
	s_endpgm
	.section	.rodata,"a",@progbits
	.p2align	6, 0x0
	.amdhsa_kernel _ZN9rocsparseL19gebsrmvn_1xn_kernelILj128ELj9ELj64E21rocsparse_complex_numIfEEEvi20rocsparse_direction_NS_24const_host_device_scalarIT2_EEPKiS8_PKS5_SA_S6_PS5_21rocsparse_index_base_b
		.amdhsa_group_segment_fixed_size 0
		.amdhsa_private_segment_fixed_size 0
		.amdhsa_kernarg_size 72
		.amdhsa_user_sgpr_count 6
		.amdhsa_user_sgpr_private_segment_buffer 1
		.amdhsa_user_sgpr_dispatch_ptr 0
		.amdhsa_user_sgpr_queue_ptr 0
		.amdhsa_user_sgpr_kernarg_segment_ptr 1
		.amdhsa_user_sgpr_dispatch_id 0
		.amdhsa_user_sgpr_flat_scratch_init 0
		.amdhsa_user_sgpr_private_segment_size 0
		.amdhsa_wavefront_size32 1
		.amdhsa_uses_dynamic_stack 0
		.amdhsa_system_sgpr_private_segment_wavefront_offset 0
		.amdhsa_system_sgpr_workgroup_id_x 1
		.amdhsa_system_sgpr_workgroup_id_y 0
		.amdhsa_system_sgpr_workgroup_id_z 0
		.amdhsa_system_sgpr_workgroup_info 0
		.amdhsa_system_vgpr_workitem_id 0
		.amdhsa_next_free_vgpr 52
		.amdhsa_next_free_sgpr 13
		.amdhsa_reserve_vcc 1
		.amdhsa_reserve_flat_scratch 0
		.amdhsa_float_round_mode_32 0
		.amdhsa_float_round_mode_16_64 0
		.amdhsa_float_denorm_mode_32 3
		.amdhsa_float_denorm_mode_16_64 3
		.amdhsa_dx10_clamp 1
		.amdhsa_ieee_mode 1
		.amdhsa_fp16_overflow 0
		.amdhsa_workgroup_processor_mode 1
		.amdhsa_memory_ordered 1
		.amdhsa_forward_progress 1
		.amdhsa_shared_vgpr_count 0
		.amdhsa_exception_fp_ieee_invalid_op 0
		.amdhsa_exception_fp_denorm_src 0
		.amdhsa_exception_fp_ieee_div_zero 0
		.amdhsa_exception_fp_ieee_overflow 0
		.amdhsa_exception_fp_ieee_underflow 0
		.amdhsa_exception_fp_ieee_inexact 0
		.amdhsa_exception_int_div_zero 0
	.end_amdhsa_kernel
	.section	.text._ZN9rocsparseL19gebsrmvn_1xn_kernelILj128ELj9ELj64E21rocsparse_complex_numIfEEEvi20rocsparse_direction_NS_24const_host_device_scalarIT2_EEPKiS8_PKS5_SA_S6_PS5_21rocsparse_index_base_b,"axG",@progbits,_ZN9rocsparseL19gebsrmvn_1xn_kernelILj128ELj9ELj64E21rocsparse_complex_numIfEEEvi20rocsparse_direction_NS_24const_host_device_scalarIT2_EEPKiS8_PKS5_SA_S6_PS5_21rocsparse_index_base_b,comdat
.Lfunc_end191:
	.size	_ZN9rocsparseL19gebsrmvn_1xn_kernelILj128ELj9ELj64E21rocsparse_complex_numIfEEEvi20rocsparse_direction_NS_24const_host_device_scalarIT2_EEPKiS8_PKS5_SA_S6_PS5_21rocsparse_index_base_b, .Lfunc_end191-_ZN9rocsparseL19gebsrmvn_1xn_kernelILj128ELj9ELj64E21rocsparse_complex_numIfEEEvi20rocsparse_direction_NS_24const_host_device_scalarIT2_EEPKiS8_PKS5_SA_S6_PS5_21rocsparse_index_base_b
                                        ; -- End function
	.set _ZN9rocsparseL19gebsrmvn_1xn_kernelILj128ELj9ELj64E21rocsparse_complex_numIfEEEvi20rocsparse_direction_NS_24const_host_device_scalarIT2_EEPKiS8_PKS5_SA_S6_PS5_21rocsparse_index_base_b.num_vgpr, 52
	.set _ZN9rocsparseL19gebsrmvn_1xn_kernelILj128ELj9ELj64E21rocsparse_complex_numIfEEEvi20rocsparse_direction_NS_24const_host_device_scalarIT2_EEPKiS8_PKS5_SA_S6_PS5_21rocsparse_index_base_b.num_agpr, 0
	.set _ZN9rocsparseL19gebsrmvn_1xn_kernelILj128ELj9ELj64E21rocsparse_complex_numIfEEEvi20rocsparse_direction_NS_24const_host_device_scalarIT2_EEPKiS8_PKS5_SA_S6_PS5_21rocsparse_index_base_b.numbered_sgpr, 13
	.set _ZN9rocsparseL19gebsrmvn_1xn_kernelILj128ELj9ELj64E21rocsparse_complex_numIfEEEvi20rocsparse_direction_NS_24const_host_device_scalarIT2_EEPKiS8_PKS5_SA_S6_PS5_21rocsparse_index_base_b.num_named_barrier, 0
	.set _ZN9rocsparseL19gebsrmvn_1xn_kernelILj128ELj9ELj64E21rocsparse_complex_numIfEEEvi20rocsparse_direction_NS_24const_host_device_scalarIT2_EEPKiS8_PKS5_SA_S6_PS5_21rocsparse_index_base_b.private_seg_size, 0
	.set _ZN9rocsparseL19gebsrmvn_1xn_kernelILj128ELj9ELj64E21rocsparse_complex_numIfEEEvi20rocsparse_direction_NS_24const_host_device_scalarIT2_EEPKiS8_PKS5_SA_S6_PS5_21rocsparse_index_base_b.uses_vcc, 1
	.set _ZN9rocsparseL19gebsrmvn_1xn_kernelILj128ELj9ELj64E21rocsparse_complex_numIfEEEvi20rocsparse_direction_NS_24const_host_device_scalarIT2_EEPKiS8_PKS5_SA_S6_PS5_21rocsparse_index_base_b.uses_flat_scratch, 0
	.set _ZN9rocsparseL19gebsrmvn_1xn_kernelILj128ELj9ELj64E21rocsparse_complex_numIfEEEvi20rocsparse_direction_NS_24const_host_device_scalarIT2_EEPKiS8_PKS5_SA_S6_PS5_21rocsparse_index_base_b.has_dyn_sized_stack, 0
	.set _ZN9rocsparseL19gebsrmvn_1xn_kernelILj128ELj9ELj64E21rocsparse_complex_numIfEEEvi20rocsparse_direction_NS_24const_host_device_scalarIT2_EEPKiS8_PKS5_SA_S6_PS5_21rocsparse_index_base_b.has_recursion, 0
	.set _ZN9rocsparseL19gebsrmvn_1xn_kernelILj128ELj9ELj64E21rocsparse_complex_numIfEEEvi20rocsparse_direction_NS_24const_host_device_scalarIT2_EEPKiS8_PKS5_SA_S6_PS5_21rocsparse_index_base_b.has_indirect_call, 0
	.section	.AMDGPU.csdata,"",@progbits
; Kernel info:
; codeLenInByte = 1764
; TotalNumSgprs: 15
; NumVgprs: 52
; ScratchSize: 0
; MemoryBound: 0
; FloatMode: 240
; IeeeMode: 1
; LDSByteSize: 0 bytes/workgroup (compile time only)
; SGPRBlocks: 0
; VGPRBlocks: 6
; NumSGPRsForWavesPerEU: 15
; NumVGPRsForWavesPerEU: 52
; Occupancy: 16
; WaveLimiterHint : 1
; COMPUTE_PGM_RSRC2:SCRATCH_EN: 0
; COMPUTE_PGM_RSRC2:USER_SGPR: 6
; COMPUTE_PGM_RSRC2:TRAP_HANDLER: 0
; COMPUTE_PGM_RSRC2:TGID_X_EN: 1
; COMPUTE_PGM_RSRC2:TGID_Y_EN: 0
; COMPUTE_PGM_RSRC2:TGID_Z_EN: 0
; COMPUTE_PGM_RSRC2:TIDIG_COMP_CNT: 0
	.section	.text._ZN9rocsparseL19gebsrmvn_1xn_kernelILj128ELj10ELj4E21rocsparse_complex_numIfEEEvi20rocsparse_direction_NS_24const_host_device_scalarIT2_EEPKiS8_PKS5_SA_S6_PS5_21rocsparse_index_base_b,"axG",@progbits,_ZN9rocsparseL19gebsrmvn_1xn_kernelILj128ELj10ELj4E21rocsparse_complex_numIfEEEvi20rocsparse_direction_NS_24const_host_device_scalarIT2_EEPKiS8_PKS5_SA_S6_PS5_21rocsparse_index_base_b,comdat
	.globl	_ZN9rocsparseL19gebsrmvn_1xn_kernelILj128ELj10ELj4E21rocsparse_complex_numIfEEEvi20rocsparse_direction_NS_24const_host_device_scalarIT2_EEPKiS8_PKS5_SA_S6_PS5_21rocsparse_index_base_b ; -- Begin function _ZN9rocsparseL19gebsrmvn_1xn_kernelILj128ELj10ELj4E21rocsparse_complex_numIfEEEvi20rocsparse_direction_NS_24const_host_device_scalarIT2_EEPKiS8_PKS5_SA_S6_PS5_21rocsparse_index_base_b
	.p2align	8
	.type	_ZN9rocsparseL19gebsrmvn_1xn_kernelILj128ELj10ELj4E21rocsparse_complex_numIfEEEvi20rocsparse_direction_NS_24const_host_device_scalarIT2_EEPKiS8_PKS5_SA_S6_PS5_21rocsparse_index_base_b,@function
_ZN9rocsparseL19gebsrmvn_1xn_kernelILj128ELj10ELj4E21rocsparse_complex_numIfEEEvi20rocsparse_direction_NS_24const_host_device_scalarIT2_EEPKiS8_PKS5_SA_S6_PS5_21rocsparse_index_base_b: ; @_ZN9rocsparseL19gebsrmvn_1xn_kernelILj128ELj10ELj4E21rocsparse_complex_numIfEEEvi20rocsparse_direction_NS_24const_host_device_scalarIT2_EEPKiS8_PKS5_SA_S6_PS5_21rocsparse_index_base_b
; %bb.0:
	s_clause 0x2
	s_load_dwordx2 s[8:9], s[4:5], 0x40
	s_load_dwordx2 s[0:1], s[4:5], 0x8
	;; [unrolled: 1-line block ×3, first 2 shown]
	s_add_u32 s7, s4, 8
	s_addc_u32 s10, s5, 0
	s_add_u32 s11, s4, 48
	s_addc_u32 s12, s5, 0
	s_waitcnt lgkmcnt(0)
	s_bitcmp1_b32 s9, 0
	s_cselect_b32 s0, s7, s0
	s_cselect_b32 s1, s10, s1
	v_mov_b32_e32 v1, s0
	v_mov_b32_e32 v2, s1
	s_cselect_b32 s0, s11, s2
	s_cselect_b32 s1, s12, s3
	flat_load_dwordx2 v[3:4], v[1:2]
	v_mov_b32_e32 v1, s0
	v_mov_b32_e32 v2, s1
	flat_load_dwordx2 v[1:2], v[1:2]
	s_waitcnt vmcnt(1) lgkmcnt(1)
	v_cmp_eq_f32_e32 vcc_lo, 0, v3
	v_cmp_eq_f32_e64 s0, 0, v4
	s_and_b32 s2, vcc_lo, s0
	s_mov_b32 s0, -1
	s_and_saveexec_b32 s1, s2
	s_cbranch_execz .LBB192_2
; %bb.1:
	s_waitcnt vmcnt(0) lgkmcnt(0)
	v_cmp_neq_f32_e32 vcc_lo, 1.0, v1
	v_cmp_neq_f32_e64 s0, 0, v2
	s_or_b32 s0, vcc_lo, s0
	s_orn2_b32 s0, s0, exec_lo
.LBB192_2:
	s_or_b32 exec_lo, exec_lo, s1
	s_and_saveexec_b32 s1, s0
	s_cbranch_execz .LBB192_13
; %bb.3:
	s_load_dword s0, s[4:5], 0x0
	v_lshrrev_b32_e32 v5, 2, v0
	v_lshl_or_b32 v5, s6, 5, v5
	s_waitcnt lgkmcnt(0)
	v_cmp_gt_i32_e32 vcc_lo, s0, v5
	s_and_b32 exec_lo, exec_lo, vcc_lo
	s_cbranch_execz .LBB192_13
; %bb.4:
	s_clause 0x1
	s_load_dwordx2 s[0:1], s[4:5], 0x10
	s_load_dwordx2 s[6:7], s[4:5], 0x38
	v_ashrrev_i32_e32 v6, 31, v5
	v_and_b32_e32 v0, 3, v0
	v_mov_b32_e32 v13, 0
	v_mov_b32_e32 v15, 0
	s_mov_b32 s9, exec_lo
	v_lshlrev_b64 v[7:8], 2, v[5:6]
	v_subrev_nc_u32_e32 v9, s8, v0
	s_waitcnt lgkmcnt(0)
	v_add_co_u32 v7, vcc_lo, s0, v7
	v_add_co_ci_u32_e64 v8, null, s1, v8, vcc_lo
	global_load_dwordx2 v[7:8], v[7:8], off
	s_waitcnt vmcnt(0)
	v_subrev_nc_u32_e32 v14, s8, v8
	v_add_nc_u32_e32 v7, v7, v9
	v_cmpx_lt_i32_e64 v7, v14
	s_cbranch_execz .LBB192_8
; %bb.5:
	s_clause 0x1
	s_load_dwordx4 s[0:3], s[4:5], 0x18
	s_load_dwordx2 s[4:5], s[4:5], 0x28
	v_mad_u64_u32 v[9:10], null, v7, 10, 9
	v_mov_b32_e32 v12, 0
	v_mov_b32_e32 v13, 0
	;; [unrolled: 1-line block ×3, first 2 shown]
	s_mov_b32 s10, 0
.LBB192_6:                              ; =>This Inner Loop Header: Depth=1
	v_ashrrev_i32_e32 v8, 31, v7
	v_mov_b32_e32 v33, v12
	v_lshlrev_b64 v[10:11], 2, v[7:8]
	v_add_nc_u32_e32 v7, 4, v7
	s_waitcnt lgkmcnt(0)
	v_add_co_u32 v10, vcc_lo, s0, v10
	v_add_co_ci_u32_e64 v11, null, s1, v11, vcc_lo
	global_load_dword v8, v[10:11], off
	v_add_nc_u32_e32 v11, -9, v9
	v_mov_b32_e32 v10, v12
	v_lshlrev_b64 v[16:17], 3, v[11:12]
	v_add_nc_u32_e32 v11, -7, v9
	v_lshlrev_b64 v[18:19], 3, v[11:12]
	v_add_co_u32 v16, vcc_lo, s2, v16
	v_add_co_ci_u32_e64 v17, null, s3, v17, vcc_lo
	v_add_co_u32 v20, vcc_lo, s2, v18
	v_add_co_ci_u32_e64 v21, null, s3, v19, vcc_lo
	s_clause 0x1
	global_load_dwordx4 v[16:19], v[16:17], off
	global_load_dwordx2 v[40:41], v[20:21], off
	s_waitcnt vmcnt(2)
	v_subrev_nc_u32_e32 v8, s8, v8
	v_mul_lo_u32 v32, v8, 10
	v_lshlrev_b64 v[20:21], 3, v[32:33]
	v_add_nc_u32_e32 v11, 2, v32
	v_lshlrev_b64 v[24:25], 3, v[11:12]
	v_add_co_u32 v20, vcc_lo, s4, v20
	v_add_co_ci_u32_e64 v21, null, s5, v21, vcc_lo
	v_add_nc_u32_e32 v11, -6, v9
	v_add_co_u32 v24, vcc_lo, s4, v24
	global_load_dwordx4 v[20:23], v[20:21], off
	v_add_co_ci_u32_e64 v25, null, s5, v25, vcc_lo
	v_lshlrev_b64 v[28:29], 3, v[11:12]
	v_add_nc_u32_e32 v11, -5, v9
	global_load_dwordx4 v[24:27], v[24:25], off
	v_lshlrev_b64 v[30:31], 3, v[11:12]
	v_add_nc_u32_e32 v11, 4, v32
	v_add_co_u32 v28, vcc_lo, s2, v28
	v_add_co_ci_u32_e64 v29, null, s3, v29, vcc_lo
	v_add_co_u32 v30, vcc_lo, s2, v30
	v_lshlrev_b64 v[33:34], 3, v[11:12]
	v_add_nc_u32_e32 v11, -4, v9
	v_add_co_ci_u32_e64 v31, null, s3, v31, vcc_lo
	s_clause 0x1
	global_load_dwordx2 v[42:43], v[28:29], off
	global_load_dwordx2 v[44:45], v[30:31], off
	v_lshlrev_b64 v[28:29], 3, v[11:12]
	v_add_co_u32 v30, vcc_lo, s4, v33
	v_add_nc_u32_e32 v11, -3, v9
	v_add_co_ci_u32_e64 v31, null, s5, v34, vcc_lo
	v_add_co_u32 v35, vcc_lo, s2, v28
	v_lshlrev_b64 v[33:34], 3, v[11:12]
	v_add_co_ci_u32_e64 v36, null, s3, v29, vcc_lo
	global_load_dwordx4 v[28:31], v[30:31], off
	v_add_nc_u32_e32 v11, 6, v32
	v_add_co_u32 v33, vcc_lo, s2, v33
	v_add_co_ci_u32_e64 v34, null, s3, v34, vcc_lo
	v_lshlrev_b64 v[37:38], 3, v[11:12]
	v_add_nc_u32_e32 v11, -2, v9
	s_clause 0x1
	global_load_dwordx2 v[46:47], v[35:36], off
	global_load_dwordx2 v[50:51], v[33:34], off
	v_add_co_u32 v35, vcc_lo, s4, v37
	v_lshlrev_b64 v[48:49], 3, v[11:12]
	v_add_nc_u32_e32 v11, -1, v9
	v_add_co_ci_u32_e64 v36, null, s5, v38, vcc_lo
	v_lshlrev_b64 v[37:38], 3, v[11:12]
	v_add_nc_u32_e32 v11, 8, v32
	global_load_dwordx4 v[32:35], v[35:36], off
	v_add_co_u32 v48, vcc_lo, s2, v48
	v_add_co_ci_u32_e64 v49, null, s3, v49, vcc_lo
	v_lshlrev_b64 v[52:53], 3, v[11:12]
	v_add_co_u32 v36, vcc_lo, s2, v37
	global_load_dwordx2 v[48:49], v[48:49], off
	v_add_co_ci_u32_e64 v37, null, s3, v38, vcc_lo
	v_add_co_u32 v38, vcc_lo, s4, v52
	v_add_co_ci_u32_e64 v39, null, s5, v53, vcc_lo
	v_lshlrev_b64 v[10:11], 3, v[9:10]
	global_load_dwordx2 v[52:53], v[36:37], off
	global_load_dwordx4 v[36:39], v[38:39], off
	v_add_nc_u32_e32 v9, 40, v9
	v_add_co_u32 v10, vcc_lo, s2, v10
	v_add_co_ci_u32_e64 v11, null, s3, v11, vcc_lo
	v_cmp_ge_i32_e32 vcc_lo, v7, v14
	global_load_dwordx2 v[10:11], v[10:11], off
	s_or_b32 s10, vcc_lo, s10
	s_waitcnt vmcnt(11)
	v_fmac_f32_e32 v15, v16, v20
	v_fmac_f32_e32 v13, v17, v20
	v_fma_f32 v8, -v17, v21, v15
	v_fmac_f32_e32 v13, v16, v21
	v_fmac_f32_e32 v8, v18, v22
	v_fmac_f32_e32 v13, v19, v22
	v_fma_f32 v8, -v19, v23, v8
	v_fmac_f32_e32 v13, v18, v23
	s_waitcnt vmcnt(10)
	v_fmac_f32_e32 v8, v40, v24
	v_fmac_f32_e32 v13, v41, v24
	v_fma_f32 v8, -v41, v25, v8
	v_fmac_f32_e32 v13, v40, v25
	s_waitcnt vmcnt(9)
	v_fmac_f32_e32 v8, v42, v26
	v_fmac_f32_e32 v13, v43, v26
	;; [unrolled: 5-line block ×8, first 2 shown]
	v_fma_f32 v15, -v11, v39, v8
	v_fmac_f32_e32 v13, v10, v39
	s_andn2_b32 exec_lo, exec_lo, s10
	s_cbranch_execnz .LBB192_6
; %bb.7:
	s_or_b32 exec_lo, exec_lo, s10
.LBB192_8:
	s_or_b32 exec_lo, exec_lo, s9
	v_mbcnt_lo_u32_b32 v7, -1, 0
	v_xor_b32_e32 v8, 2, v7
	v_xor_b32_e32 v10, 1, v7
	v_cmp_gt_i32_e32 vcc_lo, 32, v8
	v_cndmask_b32_e32 v8, v7, v8, vcc_lo
	v_cmp_gt_i32_e32 vcc_lo, 32, v10
	v_lshlrev_b32_e32 v8, 2, v8
	v_cndmask_b32_e32 v7, v7, v10, vcc_lo
	v_cmp_eq_u32_e32 vcc_lo, 3, v0
	ds_bpermute_b32 v9, v8, v15
	ds_bpermute_b32 v8, v8, v13
	v_lshlrev_b32_e32 v10, 2, v7
	s_waitcnt lgkmcnt(1)
	v_add_f32_e32 v7, v15, v9
	s_waitcnt lgkmcnt(0)
	v_add_f32_e32 v9, v13, v8
	ds_bpermute_b32 v8, v10, v7
	ds_bpermute_b32 v10, v10, v9
	s_and_b32 exec_lo, exec_lo, vcc_lo
	s_cbranch_execz .LBB192_13
; %bb.9:
	s_waitcnt lgkmcnt(0)
	v_add_f32_e32 v0, v9, v10
	v_add_f32_e32 v9, v7, v8
	v_cmp_eq_f32_e32 vcc_lo, 0, v1
	v_cmp_eq_f32_e64 s0, 0, v2
	v_lshlrev_b64 v[5:6], 3, v[5:6]
	v_mul_f32_e64 v7, v0, -v4
	v_mul_f32_e32 v8, v3, v0
	s_and_b32 s0, vcc_lo, s0
	v_fmac_f32_e32 v7, v3, v9
	v_fmac_f32_e32 v8, v4, v9
	s_and_saveexec_b32 s1, s0
	s_xor_b32 s0, exec_lo, s1
	s_cbranch_execz .LBB192_11
; %bb.10:
	v_add_co_u32 v0, vcc_lo, s6, v5
	v_add_co_ci_u32_e64 v1, null, s7, v6, vcc_lo
                                        ; implicit-def: $vgpr5_vgpr6
	global_store_dwordx2 v[0:1], v[7:8], off
                                        ; implicit-def: $vgpr1_vgpr2
                                        ; implicit-def: $vgpr7
.LBB192_11:
	s_andn2_saveexec_b32 s0, s0
	s_cbranch_execz .LBB192_13
; %bb.12:
	v_add_co_u32 v3, vcc_lo, s6, v5
	v_add_co_ci_u32_e64 v4, null, s7, v6, vcc_lo
	global_load_dwordx2 v[5:6], v[3:4], off
	s_waitcnt vmcnt(0)
	v_fmac_f32_e32 v7, v1, v5
	v_fmac_f32_e32 v8, v2, v5
	v_fma_f32 v7, -v2, v6, v7
	v_fmac_f32_e32 v8, v1, v6
	global_store_dwordx2 v[3:4], v[7:8], off
.LBB192_13:
	s_endpgm
	.section	.rodata,"a",@progbits
	.p2align	6, 0x0
	.amdhsa_kernel _ZN9rocsparseL19gebsrmvn_1xn_kernelILj128ELj10ELj4E21rocsparse_complex_numIfEEEvi20rocsparse_direction_NS_24const_host_device_scalarIT2_EEPKiS8_PKS5_SA_S6_PS5_21rocsparse_index_base_b
		.amdhsa_group_segment_fixed_size 0
		.amdhsa_private_segment_fixed_size 0
		.amdhsa_kernarg_size 72
		.amdhsa_user_sgpr_count 6
		.amdhsa_user_sgpr_private_segment_buffer 1
		.amdhsa_user_sgpr_dispatch_ptr 0
		.amdhsa_user_sgpr_queue_ptr 0
		.amdhsa_user_sgpr_kernarg_segment_ptr 1
		.amdhsa_user_sgpr_dispatch_id 0
		.amdhsa_user_sgpr_flat_scratch_init 0
		.amdhsa_user_sgpr_private_segment_size 0
		.amdhsa_wavefront_size32 1
		.amdhsa_uses_dynamic_stack 0
		.amdhsa_system_sgpr_private_segment_wavefront_offset 0
		.amdhsa_system_sgpr_workgroup_id_x 1
		.amdhsa_system_sgpr_workgroup_id_y 0
		.amdhsa_system_sgpr_workgroup_id_z 0
		.amdhsa_system_sgpr_workgroup_info 0
		.amdhsa_system_vgpr_workitem_id 0
		.amdhsa_next_free_vgpr 54
		.amdhsa_next_free_sgpr 13
		.amdhsa_reserve_vcc 1
		.amdhsa_reserve_flat_scratch 0
		.amdhsa_float_round_mode_32 0
		.amdhsa_float_round_mode_16_64 0
		.amdhsa_float_denorm_mode_32 3
		.amdhsa_float_denorm_mode_16_64 3
		.amdhsa_dx10_clamp 1
		.amdhsa_ieee_mode 1
		.amdhsa_fp16_overflow 0
		.amdhsa_workgroup_processor_mode 1
		.amdhsa_memory_ordered 1
		.amdhsa_forward_progress 1
		.amdhsa_shared_vgpr_count 0
		.amdhsa_exception_fp_ieee_invalid_op 0
		.amdhsa_exception_fp_denorm_src 0
		.amdhsa_exception_fp_ieee_div_zero 0
		.amdhsa_exception_fp_ieee_overflow 0
		.amdhsa_exception_fp_ieee_underflow 0
		.amdhsa_exception_fp_ieee_inexact 0
		.amdhsa_exception_int_div_zero 0
	.end_amdhsa_kernel
	.section	.text._ZN9rocsparseL19gebsrmvn_1xn_kernelILj128ELj10ELj4E21rocsparse_complex_numIfEEEvi20rocsparse_direction_NS_24const_host_device_scalarIT2_EEPKiS8_PKS5_SA_S6_PS5_21rocsparse_index_base_b,"axG",@progbits,_ZN9rocsparseL19gebsrmvn_1xn_kernelILj128ELj10ELj4E21rocsparse_complex_numIfEEEvi20rocsparse_direction_NS_24const_host_device_scalarIT2_EEPKiS8_PKS5_SA_S6_PS5_21rocsparse_index_base_b,comdat
.Lfunc_end192:
	.size	_ZN9rocsparseL19gebsrmvn_1xn_kernelILj128ELj10ELj4E21rocsparse_complex_numIfEEEvi20rocsparse_direction_NS_24const_host_device_scalarIT2_EEPKiS8_PKS5_SA_S6_PS5_21rocsparse_index_base_b, .Lfunc_end192-_ZN9rocsparseL19gebsrmvn_1xn_kernelILj128ELj10ELj4E21rocsparse_complex_numIfEEEvi20rocsparse_direction_NS_24const_host_device_scalarIT2_EEPKiS8_PKS5_SA_S6_PS5_21rocsparse_index_base_b
                                        ; -- End function
	.set _ZN9rocsparseL19gebsrmvn_1xn_kernelILj128ELj10ELj4E21rocsparse_complex_numIfEEEvi20rocsparse_direction_NS_24const_host_device_scalarIT2_EEPKiS8_PKS5_SA_S6_PS5_21rocsparse_index_base_b.num_vgpr, 54
	.set _ZN9rocsparseL19gebsrmvn_1xn_kernelILj128ELj10ELj4E21rocsparse_complex_numIfEEEvi20rocsparse_direction_NS_24const_host_device_scalarIT2_EEPKiS8_PKS5_SA_S6_PS5_21rocsparse_index_base_b.num_agpr, 0
	.set _ZN9rocsparseL19gebsrmvn_1xn_kernelILj128ELj10ELj4E21rocsparse_complex_numIfEEEvi20rocsparse_direction_NS_24const_host_device_scalarIT2_EEPKiS8_PKS5_SA_S6_PS5_21rocsparse_index_base_b.numbered_sgpr, 13
	.set _ZN9rocsparseL19gebsrmvn_1xn_kernelILj128ELj10ELj4E21rocsparse_complex_numIfEEEvi20rocsparse_direction_NS_24const_host_device_scalarIT2_EEPKiS8_PKS5_SA_S6_PS5_21rocsparse_index_base_b.num_named_barrier, 0
	.set _ZN9rocsparseL19gebsrmvn_1xn_kernelILj128ELj10ELj4E21rocsparse_complex_numIfEEEvi20rocsparse_direction_NS_24const_host_device_scalarIT2_EEPKiS8_PKS5_SA_S6_PS5_21rocsparse_index_base_b.private_seg_size, 0
	.set _ZN9rocsparseL19gebsrmvn_1xn_kernelILj128ELj10ELj4E21rocsparse_complex_numIfEEEvi20rocsparse_direction_NS_24const_host_device_scalarIT2_EEPKiS8_PKS5_SA_S6_PS5_21rocsparse_index_base_b.uses_vcc, 1
	.set _ZN9rocsparseL19gebsrmvn_1xn_kernelILj128ELj10ELj4E21rocsparse_complex_numIfEEEvi20rocsparse_direction_NS_24const_host_device_scalarIT2_EEPKiS8_PKS5_SA_S6_PS5_21rocsparse_index_base_b.uses_flat_scratch, 0
	.set _ZN9rocsparseL19gebsrmvn_1xn_kernelILj128ELj10ELj4E21rocsparse_complex_numIfEEEvi20rocsparse_direction_NS_24const_host_device_scalarIT2_EEPKiS8_PKS5_SA_S6_PS5_21rocsparse_index_base_b.has_dyn_sized_stack, 0
	.set _ZN9rocsparseL19gebsrmvn_1xn_kernelILj128ELj10ELj4E21rocsparse_complex_numIfEEEvi20rocsparse_direction_NS_24const_host_device_scalarIT2_EEPKiS8_PKS5_SA_S6_PS5_21rocsparse_index_base_b.has_recursion, 0
	.set _ZN9rocsparseL19gebsrmvn_1xn_kernelILj128ELj10ELj4E21rocsparse_complex_numIfEEEvi20rocsparse_direction_NS_24const_host_device_scalarIT2_EEPKiS8_PKS5_SA_S6_PS5_21rocsparse_index_base_b.has_indirect_call, 0
	.section	.AMDGPU.csdata,"",@progbits
; Kernel info:
; codeLenInByte = 1452
; TotalNumSgprs: 15
; NumVgprs: 54
; ScratchSize: 0
; MemoryBound: 0
; FloatMode: 240
; IeeeMode: 1
; LDSByteSize: 0 bytes/workgroup (compile time only)
; SGPRBlocks: 0
; VGPRBlocks: 6
; NumSGPRsForWavesPerEU: 15
; NumVGPRsForWavesPerEU: 54
; Occupancy: 16
; WaveLimiterHint : 1
; COMPUTE_PGM_RSRC2:SCRATCH_EN: 0
; COMPUTE_PGM_RSRC2:USER_SGPR: 6
; COMPUTE_PGM_RSRC2:TRAP_HANDLER: 0
; COMPUTE_PGM_RSRC2:TGID_X_EN: 1
; COMPUTE_PGM_RSRC2:TGID_Y_EN: 0
; COMPUTE_PGM_RSRC2:TGID_Z_EN: 0
; COMPUTE_PGM_RSRC2:TIDIG_COMP_CNT: 0
	.section	.text._ZN9rocsparseL19gebsrmvn_1xn_kernelILj128ELj10ELj8E21rocsparse_complex_numIfEEEvi20rocsparse_direction_NS_24const_host_device_scalarIT2_EEPKiS8_PKS5_SA_S6_PS5_21rocsparse_index_base_b,"axG",@progbits,_ZN9rocsparseL19gebsrmvn_1xn_kernelILj128ELj10ELj8E21rocsparse_complex_numIfEEEvi20rocsparse_direction_NS_24const_host_device_scalarIT2_EEPKiS8_PKS5_SA_S6_PS5_21rocsparse_index_base_b,comdat
	.globl	_ZN9rocsparseL19gebsrmvn_1xn_kernelILj128ELj10ELj8E21rocsparse_complex_numIfEEEvi20rocsparse_direction_NS_24const_host_device_scalarIT2_EEPKiS8_PKS5_SA_S6_PS5_21rocsparse_index_base_b ; -- Begin function _ZN9rocsparseL19gebsrmvn_1xn_kernelILj128ELj10ELj8E21rocsparse_complex_numIfEEEvi20rocsparse_direction_NS_24const_host_device_scalarIT2_EEPKiS8_PKS5_SA_S6_PS5_21rocsparse_index_base_b
	.p2align	8
	.type	_ZN9rocsparseL19gebsrmvn_1xn_kernelILj128ELj10ELj8E21rocsparse_complex_numIfEEEvi20rocsparse_direction_NS_24const_host_device_scalarIT2_EEPKiS8_PKS5_SA_S6_PS5_21rocsparse_index_base_b,@function
_ZN9rocsparseL19gebsrmvn_1xn_kernelILj128ELj10ELj8E21rocsparse_complex_numIfEEEvi20rocsparse_direction_NS_24const_host_device_scalarIT2_EEPKiS8_PKS5_SA_S6_PS5_21rocsparse_index_base_b: ; @_ZN9rocsparseL19gebsrmvn_1xn_kernelILj128ELj10ELj8E21rocsparse_complex_numIfEEEvi20rocsparse_direction_NS_24const_host_device_scalarIT2_EEPKiS8_PKS5_SA_S6_PS5_21rocsparse_index_base_b
; %bb.0:
	s_clause 0x2
	s_load_dwordx2 s[8:9], s[4:5], 0x40
	s_load_dwordx2 s[0:1], s[4:5], 0x8
	;; [unrolled: 1-line block ×3, first 2 shown]
	s_add_u32 s7, s4, 8
	s_addc_u32 s10, s5, 0
	s_add_u32 s11, s4, 48
	s_addc_u32 s12, s5, 0
	s_waitcnt lgkmcnt(0)
	s_bitcmp1_b32 s9, 0
	s_cselect_b32 s0, s7, s0
	s_cselect_b32 s1, s10, s1
	v_mov_b32_e32 v1, s0
	v_mov_b32_e32 v2, s1
	s_cselect_b32 s0, s11, s2
	s_cselect_b32 s1, s12, s3
	flat_load_dwordx2 v[3:4], v[1:2]
	v_mov_b32_e32 v1, s0
	v_mov_b32_e32 v2, s1
	flat_load_dwordx2 v[1:2], v[1:2]
	s_waitcnt vmcnt(1) lgkmcnt(1)
	v_cmp_eq_f32_e32 vcc_lo, 0, v3
	v_cmp_eq_f32_e64 s0, 0, v4
	s_and_b32 s2, vcc_lo, s0
	s_mov_b32 s0, -1
	s_and_saveexec_b32 s1, s2
	s_cbranch_execz .LBB193_2
; %bb.1:
	s_waitcnt vmcnt(0) lgkmcnt(0)
	v_cmp_neq_f32_e32 vcc_lo, 1.0, v1
	v_cmp_neq_f32_e64 s0, 0, v2
	s_or_b32 s0, vcc_lo, s0
	s_orn2_b32 s0, s0, exec_lo
.LBB193_2:
	s_or_b32 exec_lo, exec_lo, s1
	s_and_saveexec_b32 s1, s0
	s_cbranch_execz .LBB193_13
; %bb.3:
	s_load_dword s0, s[4:5], 0x0
	v_lshrrev_b32_e32 v5, 3, v0
	v_lshl_or_b32 v5, s6, 4, v5
	s_waitcnt lgkmcnt(0)
	v_cmp_gt_i32_e32 vcc_lo, s0, v5
	s_and_b32 exec_lo, exec_lo, vcc_lo
	s_cbranch_execz .LBB193_13
; %bb.4:
	s_clause 0x1
	s_load_dwordx2 s[0:1], s[4:5], 0x10
	s_load_dwordx2 s[6:7], s[4:5], 0x38
	v_ashrrev_i32_e32 v6, 31, v5
	v_and_b32_e32 v0, 7, v0
	v_mov_b32_e32 v13, 0
	v_mov_b32_e32 v15, 0
	s_mov_b32 s9, exec_lo
	v_lshlrev_b64 v[7:8], 2, v[5:6]
	v_subrev_nc_u32_e32 v9, s8, v0
	s_waitcnt lgkmcnt(0)
	v_add_co_u32 v7, vcc_lo, s0, v7
	v_add_co_ci_u32_e64 v8, null, s1, v8, vcc_lo
	global_load_dwordx2 v[7:8], v[7:8], off
	s_waitcnt vmcnt(0)
	v_subrev_nc_u32_e32 v14, s8, v8
	v_add_nc_u32_e32 v7, v7, v9
	v_cmpx_lt_i32_e64 v7, v14
	s_cbranch_execz .LBB193_8
; %bb.5:
	s_clause 0x1
	s_load_dwordx4 s[0:3], s[4:5], 0x18
	s_load_dwordx2 s[4:5], s[4:5], 0x28
	v_mad_u64_u32 v[9:10], null, v7, 10, 9
	v_mov_b32_e32 v12, 0
	v_mov_b32_e32 v13, 0
	;; [unrolled: 1-line block ×3, first 2 shown]
	s_mov_b32 s10, 0
.LBB193_6:                              ; =>This Inner Loop Header: Depth=1
	v_ashrrev_i32_e32 v8, 31, v7
	v_mov_b32_e32 v33, v12
	v_lshlrev_b64 v[10:11], 2, v[7:8]
	v_add_nc_u32_e32 v7, 8, v7
	s_waitcnt lgkmcnt(0)
	v_add_co_u32 v10, vcc_lo, s0, v10
	v_add_co_ci_u32_e64 v11, null, s1, v11, vcc_lo
	global_load_dword v8, v[10:11], off
	v_add_nc_u32_e32 v11, -9, v9
	v_mov_b32_e32 v10, v12
	v_lshlrev_b64 v[16:17], 3, v[11:12]
	v_add_nc_u32_e32 v11, -7, v9
	v_lshlrev_b64 v[18:19], 3, v[11:12]
	v_add_co_u32 v16, vcc_lo, s2, v16
	v_add_co_ci_u32_e64 v17, null, s3, v17, vcc_lo
	v_add_co_u32 v20, vcc_lo, s2, v18
	v_add_co_ci_u32_e64 v21, null, s3, v19, vcc_lo
	s_clause 0x1
	global_load_dwordx4 v[16:19], v[16:17], off
	global_load_dwordx2 v[40:41], v[20:21], off
	s_waitcnt vmcnt(2)
	v_subrev_nc_u32_e32 v8, s8, v8
	v_mul_lo_u32 v32, v8, 10
	v_lshlrev_b64 v[20:21], 3, v[32:33]
	v_add_nc_u32_e32 v11, 2, v32
	v_lshlrev_b64 v[24:25], 3, v[11:12]
	v_add_co_u32 v20, vcc_lo, s4, v20
	v_add_co_ci_u32_e64 v21, null, s5, v21, vcc_lo
	v_add_nc_u32_e32 v11, -6, v9
	v_add_co_u32 v24, vcc_lo, s4, v24
	global_load_dwordx4 v[20:23], v[20:21], off
	v_add_co_ci_u32_e64 v25, null, s5, v25, vcc_lo
	v_lshlrev_b64 v[28:29], 3, v[11:12]
	v_add_nc_u32_e32 v11, -5, v9
	global_load_dwordx4 v[24:27], v[24:25], off
	v_lshlrev_b64 v[30:31], 3, v[11:12]
	v_add_nc_u32_e32 v11, 4, v32
	v_add_co_u32 v28, vcc_lo, s2, v28
	v_add_co_ci_u32_e64 v29, null, s3, v29, vcc_lo
	v_add_co_u32 v30, vcc_lo, s2, v30
	v_lshlrev_b64 v[33:34], 3, v[11:12]
	v_add_nc_u32_e32 v11, -4, v9
	v_add_co_ci_u32_e64 v31, null, s3, v31, vcc_lo
	s_clause 0x1
	global_load_dwordx2 v[42:43], v[28:29], off
	global_load_dwordx2 v[44:45], v[30:31], off
	v_lshlrev_b64 v[28:29], 3, v[11:12]
	v_add_co_u32 v30, vcc_lo, s4, v33
	v_add_nc_u32_e32 v11, -3, v9
	v_add_co_ci_u32_e64 v31, null, s5, v34, vcc_lo
	v_add_co_u32 v35, vcc_lo, s2, v28
	v_lshlrev_b64 v[33:34], 3, v[11:12]
	v_add_co_ci_u32_e64 v36, null, s3, v29, vcc_lo
	global_load_dwordx4 v[28:31], v[30:31], off
	v_add_nc_u32_e32 v11, 6, v32
	v_add_co_u32 v33, vcc_lo, s2, v33
	v_add_co_ci_u32_e64 v34, null, s3, v34, vcc_lo
	v_lshlrev_b64 v[37:38], 3, v[11:12]
	v_add_nc_u32_e32 v11, -2, v9
	s_clause 0x1
	global_load_dwordx2 v[46:47], v[35:36], off
	global_load_dwordx2 v[50:51], v[33:34], off
	v_add_co_u32 v35, vcc_lo, s4, v37
	v_lshlrev_b64 v[48:49], 3, v[11:12]
	v_add_nc_u32_e32 v11, -1, v9
	v_add_co_ci_u32_e64 v36, null, s5, v38, vcc_lo
	v_lshlrev_b64 v[37:38], 3, v[11:12]
	v_add_nc_u32_e32 v11, 8, v32
	global_load_dwordx4 v[32:35], v[35:36], off
	v_add_co_u32 v48, vcc_lo, s2, v48
	v_add_co_ci_u32_e64 v49, null, s3, v49, vcc_lo
	v_lshlrev_b64 v[52:53], 3, v[11:12]
	v_add_co_u32 v36, vcc_lo, s2, v37
	global_load_dwordx2 v[48:49], v[48:49], off
	v_add_co_ci_u32_e64 v37, null, s3, v38, vcc_lo
	v_add_co_u32 v38, vcc_lo, s4, v52
	v_add_co_ci_u32_e64 v39, null, s5, v53, vcc_lo
	v_lshlrev_b64 v[10:11], 3, v[9:10]
	global_load_dwordx2 v[52:53], v[36:37], off
	global_load_dwordx4 v[36:39], v[38:39], off
	v_add_nc_u32_e32 v9, 0x50, v9
	v_add_co_u32 v10, vcc_lo, s2, v10
	v_add_co_ci_u32_e64 v11, null, s3, v11, vcc_lo
	v_cmp_ge_i32_e32 vcc_lo, v7, v14
	global_load_dwordx2 v[10:11], v[10:11], off
	s_or_b32 s10, vcc_lo, s10
	s_waitcnt vmcnt(11)
	v_fmac_f32_e32 v15, v16, v20
	v_fmac_f32_e32 v13, v17, v20
	v_fma_f32 v8, -v17, v21, v15
	v_fmac_f32_e32 v13, v16, v21
	v_fmac_f32_e32 v8, v18, v22
	;; [unrolled: 1-line block ×3, first 2 shown]
	v_fma_f32 v8, -v19, v23, v8
	v_fmac_f32_e32 v13, v18, v23
	s_waitcnt vmcnt(10)
	v_fmac_f32_e32 v8, v40, v24
	v_fmac_f32_e32 v13, v41, v24
	v_fma_f32 v8, -v41, v25, v8
	v_fmac_f32_e32 v13, v40, v25
	s_waitcnt vmcnt(9)
	v_fmac_f32_e32 v8, v42, v26
	v_fmac_f32_e32 v13, v43, v26
	v_fma_f32 v8, -v43, v27, v8
	v_fmac_f32_e32 v13, v42, v27
	s_waitcnt vmcnt(7)
	v_fmac_f32_e32 v8, v44, v28
	v_fmac_f32_e32 v13, v45, v28
	v_fma_f32 v8, -v45, v29, v8
	v_fmac_f32_e32 v13, v44, v29
	s_waitcnt vmcnt(6)
	v_fmac_f32_e32 v8, v46, v30
	v_fmac_f32_e32 v13, v47, v30
	v_fma_f32 v8, -v47, v31, v8
	v_fmac_f32_e32 v13, v46, v31
	s_waitcnt vmcnt(4)
	v_fmac_f32_e32 v8, v50, v32
	v_fmac_f32_e32 v13, v51, v32
	v_fma_f32 v8, -v51, v33, v8
	v_fmac_f32_e32 v13, v50, v33
	s_waitcnt vmcnt(3)
	v_fmac_f32_e32 v8, v48, v34
	v_fmac_f32_e32 v13, v49, v34
	v_fma_f32 v8, -v49, v35, v8
	v_fmac_f32_e32 v13, v48, v35
	s_waitcnt vmcnt(1)
	v_fmac_f32_e32 v8, v52, v36
	v_fmac_f32_e32 v13, v53, v36
	v_fma_f32 v8, -v53, v37, v8
	v_fmac_f32_e32 v13, v52, v37
	s_waitcnt vmcnt(0)
	v_fmac_f32_e32 v8, v10, v38
	v_fmac_f32_e32 v13, v11, v38
	v_fma_f32 v15, -v11, v39, v8
	v_fmac_f32_e32 v13, v10, v39
	s_andn2_b32 exec_lo, exec_lo, s10
	s_cbranch_execnz .LBB193_6
; %bb.7:
	s_or_b32 exec_lo, exec_lo, s10
.LBB193_8:
	s_or_b32 exec_lo, exec_lo, s9
	v_mbcnt_lo_u32_b32 v7, -1, 0
	v_xor_b32_e32 v8, 4, v7
	v_xor_b32_e32 v10, 2, v7
	;; [unrolled: 1-line block ×3, first 2 shown]
	v_cmp_gt_i32_e32 vcc_lo, 32, v8
	v_cndmask_b32_e32 v8, v7, v8, vcc_lo
	v_cmp_gt_i32_e32 vcc_lo, 32, v10
	v_lshlrev_b32_e32 v8, 2, v8
	v_cndmask_b32_e32 v10, v7, v10, vcc_lo
	v_cmp_gt_i32_e32 vcc_lo, 32, v12
	ds_bpermute_b32 v9, v8, v15
	ds_bpermute_b32 v8, v8, v13
	v_lshlrev_b32_e32 v10, 2, v10
	v_cndmask_b32_e32 v7, v7, v12, vcc_lo
	v_cmp_eq_u32_e32 vcc_lo, 7, v0
	v_lshlrev_b32_e32 v12, 2, v7
	s_waitcnt lgkmcnt(1)
	v_add_f32_e32 v9, v15, v9
	s_waitcnt lgkmcnt(0)
	v_add_f32_e32 v8, v13, v8
	ds_bpermute_b32 v11, v10, v9
	ds_bpermute_b32 v10, v10, v8
	s_waitcnt lgkmcnt(1)
	v_add_f32_e32 v7, v9, v11
	s_waitcnt lgkmcnt(0)
	v_add_f32_e32 v9, v8, v10
	ds_bpermute_b32 v8, v12, v7
	ds_bpermute_b32 v10, v12, v9
	s_and_b32 exec_lo, exec_lo, vcc_lo
	s_cbranch_execz .LBB193_13
; %bb.9:
	s_waitcnt lgkmcnt(0)
	v_add_f32_e32 v0, v9, v10
	v_add_f32_e32 v9, v7, v8
	v_cmp_eq_f32_e32 vcc_lo, 0, v1
	v_cmp_eq_f32_e64 s0, 0, v2
	v_lshlrev_b64 v[5:6], 3, v[5:6]
	v_mul_f32_e64 v7, v0, -v4
	v_mul_f32_e32 v8, v3, v0
	s_and_b32 s0, vcc_lo, s0
	v_fmac_f32_e32 v7, v3, v9
	v_fmac_f32_e32 v8, v4, v9
	s_and_saveexec_b32 s1, s0
	s_xor_b32 s0, exec_lo, s1
	s_cbranch_execz .LBB193_11
; %bb.10:
	v_add_co_u32 v0, vcc_lo, s6, v5
	v_add_co_ci_u32_e64 v1, null, s7, v6, vcc_lo
                                        ; implicit-def: $vgpr5_vgpr6
	global_store_dwordx2 v[0:1], v[7:8], off
                                        ; implicit-def: $vgpr1_vgpr2
                                        ; implicit-def: $vgpr7
.LBB193_11:
	s_andn2_saveexec_b32 s0, s0
	s_cbranch_execz .LBB193_13
; %bb.12:
	v_add_co_u32 v3, vcc_lo, s6, v5
	v_add_co_ci_u32_e64 v4, null, s7, v6, vcc_lo
	global_load_dwordx2 v[5:6], v[3:4], off
	s_waitcnt vmcnt(0)
	v_fmac_f32_e32 v7, v1, v5
	v_fmac_f32_e32 v8, v2, v5
	v_fma_f32 v7, -v2, v6, v7
	v_fmac_f32_e32 v8, v1, v6
	global_store_dwordx2 v[3:4], v[7:8], off
.LBB193_13:
	s_endpgm
	.section	.rodata,"a",@progbits
	.p2align	6, 0x0
	.amdhsa_kernel _ZN9rocsparseL19gebsrmvn_1xn_kernelILj128ELj10ELj8E21rocsparse_complex_numIfEEEvi20rocsparse_direction_NS_24const_host_device_scalarIT2_EEPKiS8_PKS5_SA_S6_PS5_21rocsparse_index_base_b
		.amdhsa_group_segment_fixed_size 0
		.amdhsa_private_segment_fixed_size 0
		.amdhsa_kernarg_size 72
		.amdhsa_user_sgpr_count 6
		.amdhsa_user_sgpr_private_segment_buffer 1
		.amdhsa_user_sgpr_dispatch_ptr 0
		.amdhsa_user_sgpr_queue_ptr 0
		.amdhsa_user_sgpr_kernarg_segment_ptr 1
		.amdhsa_user_sgpr_dispatch_id 0
		.amdhsa_user_sgpr_flat_scratch_init 0
		.amdhsa_user_sgpr_private_segment_size 0
		.amdhsa_wavefront_size32 1
		.amdhsa_uses_dynamic_stack 0
		.amdhsa_system_sgpr_private_segment_wavefront_offset 0
		.amdhsa_system_sgpr_workgroup_id_x 1
		.amdhsa_system_sgpr_workgroup_id_y 0
		.amdhsa_system_sgpr_workgroup_id_z 0
		.amdhsa_system_sgpr_workgroup_info 0
		.amdhsa_system_vgpr_workitem_id 0
		.amdhsa_next_free_vgpr 54
		.amdhsa_next_free_sgpr 13
		.amdhsa_reserve_vcc 1
		.amdhsa_reserve_flat_scratch 0
		.amdhsa_float_round_mode_32 0
		.amdhsa_float_round_mode_16_64 0
		.amdhsa_float_denorm_mode_32 3
		.amdhsa_float_denorm_mode_16_64 3
		.amdhsa_dx10_clamp 1
		.amdhsa_ieee_mode 1
		.amdhsa_fp16_overflow 0
		.amdhsa_workgroup_processor_mode 1
		.amdhsa_memory_ordered 1
		.amdhsa_forward_progress 1
		.amdhsa_shared_vgpr_count 0
		.amdhsa_exception_fp_ieee_invalid_op 0
		.amdhsa_exception_fp_denorm_src 0
		.amdhsa_exception_fp_ieee_div_zero 0
		.amdhsa_exception_fp_ieee_overflow 0
		.amdhsa_exception_fp_ieee_underflow 0
		.amdhsa_exception_fp_ieee_inexact 0
		.amdhsa_exception_int_div_zero 0
	.end_amdhsa_kernel
	.section	.text._ZN9rocsparseL19gebsrmvn_1xn_kernelILj128ELj10ELj8E21rocsparse_complex_numIfEEEvi20rocsparse_direction_NS_24const_host_device_scalarIT2_EEPKiS8_PKS5_SA_S6_PS5_21rocsparse_index_base_b,"axG",@progbits,_ZN9rocsparseL19gebsrmvn_1xn_kernelILj128ELj10ELj8E21rocsparse_complex_numIfEEEvi20rocsparse_direction_NS_24const_host_device_scalarIT2_EEPKiS8_PKS5_SA_S6_PS5_21rocsparse_index_base_b,comdat
.Lfunc_end193:
	.size	_ZN9rocsparseL19gebsrmvn_1xn_kernelILj128ELj10ELj8E21rocsparse_complex_numIfEEEvi20rocsparse_direction_NS_24const_host_device_scalarIT2_EEPKiS8_PKS5_SA_S6_PS5_21rocsparse_index_base_b, .Lfunc_end193-_ZN9rocsparseL19gebsrmvn_1xn_kernelILj128ELj10ELj8E21rocsparse_complex_numIfEEEvi20rocsparse_direction_NS_24const_host_device_scalarIT2_EEPKiS8_PKS5_SA_S6_PS5_21rocsparse_index_base_b
                                        ; -- End function
	.set _ZN9rocsparseL19gebsrmvn_1xn_kernelILj128ELj10ELj8E21rocsparse_complex_numIfEEEvi20rocsparse_direction_NS_24const_host_device_scalarIT2_EEPKiS8_PKS5_SA_S6_PS5_21rocsparse_index_base_b.num_vgpr, 54
	.set _ZN9rocsparseL19gebsrmvn_1xn_kernelILj128ELj10ELj8E21rocsparse_complex_numIfEEEvi20rocsparse_direction_NS_24const_host_device_scalarIT2_EEPKiS8_PKS5_SA_S6_PS5_21rocsparse_index_base_b.num_agpr, 0
	.set _ZN9rocsparseL19gebsrmvn_1xn_kernelILj128ELj10ELj8E21rocsparse_complex_numIfEEEvi20rocsparse_direction_NS_24const_host_device_scalarIT2_EEPKiS8_PKS5_SA_S6_PS5_21rocsparse_index_base_b.numbered_sgpr, 13
	.set _ZN9rocsparseL19gebsrmvn_1xn_kernelILj128ELj10ELj8E21rocsparse_complex_numIfEEEvi20rocsparse_direction_NS_24const_host_device_scalarIT2_EEPKiS8_PKS5_SA_S6_PS5_21rocsparse_index_base_b.num_named_barrier, 0
	.set _ZN9rocsparseL19gebsrmvn_1xn_kernelILj128ELj10ELj8E21rocsparse_complex_numIfEEEvi20rocsparse_direction_NS_24const_host_device_scalarIT2_EEPKiS8_PKS5_SA_S6_PS5_21rocsparse_index_base_b.private_seg_size, 0
	.set _ZN9rocsparseL19gebsrmvn_1xn_kernelILj128ELj10ELj8E21rocsparse_complex_numIfEEEvi20rocsparse_direction_NS_24const_host_device_scalarIT2_EEPKiS8_PKS5_SA_S6_PS5_21rocsparse_index_base_b.uses_vcc, 1
	.set _ZN9rocsparseL19gebsrmvn_1xn_kernelILj128ELj10ELj8E21rocsparse_complex_numIfEEEvi20rocsparse_direction_NS_24const_host_device_scalarIT2_EEPKiS8_PKS5_SA_S6_PS5_21rocsparse_index_base_b.uses_flat_scratch, 0
	.set _ZN9rocsparseL19gebsrmvn_1xn_kernelILj128ELj10ELj8E21rocsparse_complex_numIfEEEvi20rocsparse_direction_NS_24const_host_device_scalarIT2_EEPKiS8_PKS5_SA_S6_PS5_21rocsparse_index_base_b.has_dyn_sized_stack, 0
	.set _ZN9rocsparseL19gebsrmvn_1xn_kernelILj128ELj10ELj8E21rocsparse_complex_numIfEEEvi20rocsparse_direction_NS_24const_host_device_scalarIT2_EEPKiS8_PKS5_SA_S6_PS5_21rocsparse_index_base_b.has_recursion, 0
	.set _ZN9rocsparseL19gebsrmvn_1xn_kernelILj128ELj10ELj8E21rocsparse_complex_numIfEEEvi20rocsparse_direction_NS_24const_host_device_scalarIT2_EEPKiS8_PKS5_SA_S6_PS5_21rocsparse_index_base_b.has_indirect_call, 0
	.section	.AMDGPU.csdata,"",@progbits
; Kernel info:
; codeLenInByte = 1504
; TotalNumSgprs: 15
; NumVgprs: 54
; ScratchSize: 0
; MemoryBound: 0
; FloatMode: 240
; IeeeMode: 1
; LDSByteSize: 0 bytes/workgroup (compile time only)
; SGPRBlocks: 0
; VGPRBlocks: 6
; NumSGPRsForWavesPerEU: 15
; NumVGPRsForWavesPerEU: 54
; Occupancy: 16
; WaveLimiterHint : 1
; COMPUTE_PGM_RSRC2:SCRATCH_EN: 0
; COMPUTE_PGM_RSRC2:USER_SGPR: 6
; COMPUTE_PGM_RSRC2:TRAP_HANDLER: 0
; COMPUTE_PGM_RSRC2:TGID_X_EN: 1
; COMPUTE_PGM_RSRC2:TGID_Y_EN: 0
; COMPUTE_PGM_RSRC2:TGID_Z_EN: 0
; COMPUTE_PGM_RSRC2:TIDIG_COMP_CNT: 0
	.section	.text._ZN9rocsparseL19gebsrmvn_1xn_kernelILj128ELj10ELj16E21rocsparse_complex_numIfEEEvi20rocsparse_direction_NS_24const_host_device_scalarIT2_EEPKiS8_PKS5_SA_S6_PS5_21rocsparse_index_base_b,"axG",@progbits,_ZN9rocsparseL19gebsrmvn_1xn_kernelILj128ELj10ELj16E21rocsparse_complex_numIfEEEvi20rocsparse_direction_NS_24const_host_device_scalarIT2_EEPKiS8_PKS5_SA_S6_PS5_21rocsparse_index_base_b,comdat
	.globl	_ZN9rocsparseL19gebsrmvn_1xn_kernelILj128ELj10ELj16E21rocsparse_complex_numIfEEEvi20rocsparse_direction_NS_24const_host_device_scalarIT2_EEPKiS8_PKS5_SA_S6_PS5_21rocsparse_index_base_b ; -- Begin function _ZN9rocsparseL19gebsrmvn_1xn_kernelILj128ELj10ELj16E21rocsparse_complex_numIfEEEvi20rocsparse_direction_NS_24const_host_device_scalarIT2_EEPKiS8_PKS5_SA_S6_PS5_21rocsparse_index_base_b
	.p2align	8
	.type	_ZN9rocsparseL19gebsrmvn_1xn_kernelILj128ELj10ELj16E21rocsparse_complex_numIfEEEvi20rocsparse_direction_NS_24const_host_device_scalarIT2_EEPKiS8_PKS5_SA_S6_PS5_21rocsparse_index_base_b,@function
_ZN9rocsparseL19gebsrmvn_1xn_kernelILj128ELj10ELj16E21rocsparse_complex_numIfEEEvi20rocsparse_direction_NS_24const_host_device_scalarIT2_EEPKiS8_PKS5_SA_S6_PS5_21rocsparse_index_base_b: ; @_ZN9rocsparseL19gebsrmvn_1xn_kernelILj128ELj10ELj16E21rocsparse_complex_numIfEEEvi20rocsparse_direction_NS_24const_host_device_scalarIT2_EEPKiS8_PKS5_SA_S6_PS5_21rocsparse_index_base_b
; %bb.0:
	s_clause 0x2
	s_load_dwordx2 s[8:9], s[4:5], 0x40
	s_load_dwordx2 s[0:1], s[4:5], 0x8
	;; [unrolled: 1-line block ×3, first 2 shown]
	s_add_u32 s7, s4, 8
	s_addc_u32 s10, s5, 0
	s_add_u32 s11, s4, 48
	s_addc_u32 s12, s5, 0
	s_waitcnt lgkmcnt(0)
	s_bitcmp1_b32 s9, 0
	s_cselect_b32 s0, s7, s0
	s_cselect_b32 s1, s10, s1
	v_mov_b32_e32 v1, s0
	v_mov_b32_e32 v2, s1
	s_cselect_b32 s0, s11, s2
	s_cselect_b32 s1, s12, s3
	flat_load_dwordx2 v[3:4], v[1:2]
	v_mov_b32_e32 v1, s0
	v_mov_b32_e32 v2, s1
	flat_load_dwordx2 v[1:2], v[1:2]
	s_waitcnt vmcnt(1) lgkmcnt(1)
	v_cmp_eq_f32_e32 vcc_lo, 0, v3
	v_cmp_eq_f32_e64 s0, 0, v4
	s_and_b32 s2, vcc_lo, s0
	s_mov_b32 s0, -1
	s_and_saveexec_b32 s1, s2
	s_cbranch_execz .LBB194_2
; %bb.1:
	s_waitcnt vmcnt(0) lgkmcnt(0)
	v_cmp_neq_f32_e32 vcc_lo, 1.0, v1
	v_cmp_neq_f32_e64 s0, 0, v2
	s_or_b32 s0, vcc_lo, s0
	s_orn2_b32 s0, s0, exec_lo
.LBB194_2:
	s_or_b32 exec_lo, exec_lo, s1
	s_and_saveexec_b32 s1, s0
	s_cbranch_execz .LBB194_13
; %bb.3:
	s_load_dword s0, s[4:5], 0x0
	v_lshrrev_b32_e32 v5, 4, v0
	v_lshl_or_b32 v5, s6, 3, v5
	s_waitcnt lgkmcnt(0)
	v_cmp_gt_i32_e32 vcc_lo, s0, v5
	s_and_b32 exec_lo, exec_lo, vcc_lo
	s_cbranch_execz .LBB194_13
; %bb.4:
	s_clause 0x1
	s_load_dwordx2 s[0:1], s[4:5], 0x10
	s_load_dwordx2 s[6:7], s[4:5], 0x38
	v_ashrrev_i32_e32 v6, 31, v5
	v_and_b32_e32 v0, 15, v0
	v_mov_b32_e32 v13, 0
	v_mov_b32_e32 v15, 0
	s_mov_b32 s9, exec_lo
	v_lshlrev_b64 v[7:8], 2, v[5:6]
	v_subrev_nc_u32_e32 v9, s8, v0
	s_waitcnt lgkmcnt(0)
	v_add_co_u32 v7, vcc_lo, s0, v7
	v_add_co_ci_u32_e64 v8, null, s1, v8, vcc_lo
	global_load_dwordx2 v[7:8], v[7:8], off
	s_waitcnt vmcnt(0)
	v_subrev_nc_u32_e32 v14, s8, v8
	v_add_nc_u32_e32 v7, v7, v9
	v_cmpx_lt_i32_e64 v7, v14
	s_cbranch_execz .LBB194_8
; %bb.5:
	s_clause 0x1
	s_load_dwordx4 s[0:3], s[4:5], 0x18
	s_load_dwordx2 s[4:5], s[4:5], 0x28
	v_mad_u64_u32 v[9:10], null, v7, 10, 9
	v_mov_b32_e32 v12, 0
	v_mov_b32_e32 v13, 0
	;; [unrolled: 1-line block ×3, first 2 shown]
	s_mov_b32 s10, 0
.LBB194_6:                              ; =>This Inner Loop Header: Depth=1
	v_ashrrev_i32_e32 v8, 31, v7
	v_mov_b32_e32 v33, v12
	v_lshlrev_b64 v[10:11], 2, v[7:8]
	v_add_nc_u32_e32 v7, 16, v7
	s_waitcnt lgkmcnt(0)
	v_add_co_u32 v10, vcc_lo, s0, v10
	v_add_co_ci_u32_e64 v11, null, s1, v11, vcc_lo
	global_load_dword v8, v[10:11], off
	v_add_nc_u32_e32 v11, -9, v9
	v_mov_b32_e32 v10, v12
	v_lshlrev_b64 v[16:17], 3, v[11:12]
	v_add_nc_u32_e32 v11, -7, v9
	v_lshlrev_b64 v[18:19], 3, v[11:12]
	v_add_co_u32 v16, vcc_lo, s2, v16
	v_add_co_ci_u32_e64 v17, null, s3, v17, vcc_lo
	v_add_co_u32 v20, vcc_lo, s2, v18
	v_add_co_ci_u32_e64 v21, null, s3, v19, vcc_lo
	s_clause 0x1
	global_load_dwordx4 v[16:19], v[16:17], off
	global_load_dwordx2 v[40:41], v[20:21], off
	s_waitcnt vmcnt(2)
	v_subrev_nc_u32_e32 v8, s8, v8
	v_mul_lo_u32 v32, v8, 10
	v_lshlrev_b64 v[20:21], 3, v[32:33]
	v_add_nc_u32_e32 v11, 2, v32
	v_lshlrev_b64 v[24:25], 3, v[11:12]
	v_add_co_u32 v20, vcc_lo, s4, v20
	v_add_co_ci_u32_e64 v21, null, s5, v21, vcc_lo
	v_add_nc_u32_e32 v11, -6, v9
	v_add_co_u32 v24, vcc_lo, s4, v24
	global_load_dwordx4 v[20:23], v[20:21], off
	v_add_co_ci_u32_e64 v25, null, s5, v25, vcc_lo
	v_lshlrev_b64 v[28:29], 3, v[11:12]
	v_add_nc_u32_e32 v11, -5, v9
	global_load_dwordx4 v[24:27], v[24:25], off
	v_lshlrev_b64 v[30:31], 3, v[11:12]
	v_add_nc_u32_e32 v11, 4, v32
	v_add_co_u32 v28, vcc_lo, s2, v28
	v_add_co_ci_u32_e64 v29, null, s3, v29, vcc_lo
	v_add_co_u32 v30, vcc_lo, s2, v30
	v_lshlrev_b64 v[33:34], 3, v[11:12]
	v_add_nc_u32_e32 v11, -4, v9
	v_add_co_ci_u32_e64 v31, null, s3, v31, vcc_lo
	s_clause 0x1
	global_load_dwordx2 v[42:43], v[28:29], off
	global_load_dwordx2 v[44:45], v[30:31], off
	v_lshlrev_b64 v[28:29], 3, v[11:12]
	v_add_co_u32 v30, vcc_lo, s4, v33
	v_add_nc_u32_e32 v11, -3, v9
	v_add_co_ci_u32_e64 v31, null, s5, v34, vcc_lo
	v_add_co_u32 v35, vcc_lo, s2, v28
	v_lshlrev_b64 v[33:34], 3, v[11:12]
	v_add_co_ci_u32_e64 v36, null, s3, v29, vcc_lo
	global_load_dwordx4 v[28:31], v[30:31], off
	v_add_nc_u32_e32 v11, 6, v32
	v_add_co_u32 v33, vcc_lo, s2, v33
	v_add_co_ci_u32_e64 v34, null, s3, v34, vcc_lo
	v_lshlrev_b64 v[37:38], 3, v[11:12]
	v_add_nc_u32_e32 v11, -2, v9
	s_clause 0x1
	global_load_dwordx2 v[46:47], v[35:36], off
	global_load_dwordx2 v[50:51], v[33:34], off
	v_add_co_u32 v35, vcc_lo, s4, v37
	v_lshlrev_b64 v[48:49], 3, v[11:12]
	v_add_nc_u32_e32 v11, -1, v9
	v_add_co_ci_u32_e64 v36, null, s5, v38, vcc_lo
	v_lshlrev_b64 v[37:38], 3, v[11:12]
	v_add_nc_u32_e32 v11, 8, v32
	global_load_dwordx4 v[32:35], v[35:36], off
	v_add_co_u32 v48, vcc_lo, s2, v48
	v_add_co_ci_u32_e64 v49, null, s3, v49, vcc_lo
	v_lshlrev_b64 v[52:53], 3, v[11:12]
	v_add_co_u32 v36, vcc_lo, s2, v37
	global_load_dwordx2 v[48:49], v[48:49], off
	v_add_co_ci_u32_e64 v37, null, s3, v38, vcc_lo
	v_add_co_u32 v38, vcc_lo, s4, v52
	v_add_co_ci_u32_e64 v39, null, s5, v53, vcc_lo
	v_lshlrev_b64 v[10:11], 3, v[9:10]
	global_load_dwordx2 v[52:53], v[36:37], off
	global_load_dwordx4 v[36:39], v[38:39], off
	v_add_nc_u32_e32 v9, 0xa0, v9
	v_add_co_u32 v10, vcc_lo, s2, v10
	v_add_co_ci_u32_e64 v11, null, s3, v11, vcc_lo
	v_cmp_ge_i32_e32 vcc_lo, v7, v14
	global_load_dwordx2 v[10:11], v[10:11], off
	s_or_b32 s10, vcc_lo, s10
	s_waitcnt vmcnt(11)
	v_fmac_f32_e32 v15, v16, v20
	v_fmac_f32_e32 v13, v17, v20
	v_fma_f32 v8, -v17, v21, v15
	v_fmac_f32_e32 v13, v16, v21
	v_fmac_f32_e32 v8, v18, v22
	v_fmac_f32_e32 v13, v19, v22
	v_fma_f32 v8, -v19, v23, v8
	v_fmac_f32_e32 v13, v18, v23
	s_waitcnt vmcnt(10)
	v_fmac_f32_e32 v8, v40, v24
	v_fmac_f32_e32 v13, v41, v24
	v_fma_f32 v8, -v41, v25, v8
	v_fmac_f32_e32 v13, v40, v25
	s_waitcnt vmcnt(9)
	v_fmac_f32_e32 v8, v42, v26
	v_fmac_f32_e32 v13, v43, v26
	;; [unrolled: 5-line block ×8, first 2 shown]
	v_fma_f32 v15, -v11, v39, v8
	v_fmac_f32_e32 v13, v10, v39
	s_andn2_b32 exec_lo, exec_lo, s10
	s_cbranch_execnz .LBB194_6
; %bb.7:
	s_or_b32 exec_lo, exec_lo, s10
.LBB194_8:
	s_or_b32 exec_lo, exec_lo, s9
	v_mbcnt_lo_u32_b32 v7, -1, 0
	v_xor_b32_e32 v8, 8, v7
	v_xor_b32_e32 v10, 4, v7
	;; [unrolled: 1-line block ×3, first 2 shown]
	v_cmp_gt_i32_e32 vcc_lo, 32, v8
	v_cndmask_b32_e32 v8, v7, v8, vcc_lo
	v_cmp_gt_i32_e32 vcc_lo, 32, v10
	v_lshlrev_b32_e32 v8, 2, v8
	v_cndmask_b32_e32 v10, v7, v10, vcc_lo
	v_cmp_gt_i32_e32 vcc_lo, 32, v12
	ds_bpermute_b32 v9, v8, v15
	ds_bpermute_b32 v8, v8, v13
	v_lshlrev_b32_e32 v10, 2, v10
	v_cndmask_b32_e32 v12, v7, v12, vcc_lo
	v_lshlrev_b32_e32 v12, 2, v12
	s_waitcnt lgkmcnt(1)
	v_add_f32_e32 v9, v15, v9
	s_waitcnt lgkmcnt(0)
	v_add_f32_e32 v8, v13, v8
	ds_bpermute_b32 v11, v10, v9
	ds_bpermute_b32 v10, v10, v8
	s_waitcnt lgkmcnt(1)
	v_add_f32_e32 v9, v9, v11
	s_waitcnt lgkmcnt(0)
	v_add_f32_e32 v8, v8, v10
	ds_bpermute_b32 v10, v12, v9
	ds_bpermute_b32 v11, v12, v8
	v_xor_b32_e32 v12, 1, v7
	v_cmp_gt_i32_e32 vcc_lo, 32, v12
	v_cndmask_b32_e32 v7, v7, v12, vcc_lo
	v_cmp_eq_u32_e32 vcc_lo, 15, v0
	v_lshlrev_b32_e32 v12, 2, v7
	s_waitcnt lgkmcnt(1)
	v_add_f32_e32 v7, v9, v10
	s_waitcnt lgkmcnt(0)
	v_add_f32_e32 v9, v8, v11
	ds_bpermute_b32 v8, v12, v7
	ds_bpermute_b32 v10, v12, v9
	s_and_b32 exec_lo, exec_lo, vcc_lo
	s_cbranch_execz .LBB194_13
; %bb.9:
	s_waitcnt lgkmcnt(0)
	v_add_f32_e32 v0, v9, v10
	v_add_f32_e32 v9, v7, v8
	v_cmp_eq_f32_e32 vcc_lo, 0, v1
	v_cmp_eq_f32_e64 s0, 0, v2
	v_lshlrev_b64 v[5:6], 3, v[5:6]
	v_mul_f32_e64 v7, v0, -v4
	v_mul_f32_e32 v8, v3, v0
	s_and_b32 s0, vcc_lo, s0
	v_fmac_f32_e32 v7, v3, v9
	v_fmac_f32_e32 v8, v4, v9
	s_and_saveexec_b32 s1, s0
	s_xor_b32 s0, exec_lo, s1
	s_cbranch_execz .LBB194_11
; %bb.10:
	v_add_co_u32 v0, vcc_lo, s6, v5
	v_add_co_ci_u32_e64 v1, null, s7, v6, vcc_lo
                                        ; implicit-def: $vgpr5_vgpr6
	global_store_dwordx2 v[0:1], v[7:8], off
                                        ; implicit-def: $vgpr1_vgpr2
                                        ; implicit-def: $vgpr7
.LBB194_11:
	s_andn2_saveexec_b32 s0, s0
	s_cbranch_execz .LBB194_13
; %bb.12:
	v_add_co_u32 v3, vcc_lo, s6, v5
	v_add_co_ci_u32_e64 v4, null, s7, v6, vcc_lo
	global_load_dwordx2 v[5:6], v[3:4], off
	s_waitcnt vmcnt(0)
	v_fmac_f32_e32 v7, v1, v5
	v_fmac_f32_e32 v8, v2, v5
	v_fma_f32 v7, -v2, v6, v7
	v_fmac_f32_e32 v8, v1, v6
	global_store_dwordx2 v[3:4], v[7:8], off
.LBB194_13:
	s_endpgm
	.section	.rodata,"a",@progbits
	.p2align	6, 0x0
	.amdhsa_kernel _ZN9rocsparseL19gebsrmvn_1xn_kernelILj128ELj10ELj16E21rocsparse_complex_numIfEEEvi20rocsparse_direction_NS_24const_host_device_scalarIT2_EEPKiS8_PKS5_SA_S6_PS5_21rocsparse_index_base_b
		.amdhsa_group_segment_fixed_size 0
		.amdhsa_private_segment_fixed_size 0
		.amdhsa_kernarg_size 72
		.amdhsa_user_sgpr_count 6
		.amdhsa_user_sgpr_private_segment_buffer 1
		.amdhsa_user_sgpr_dispatch_ptr 0
		.amdhsa_user_sgpr_queue_ptr 0
		.amdhsa_user_sgpr_kernarg_segment_ptr 1
		.amdhsa_user_sgpr_dispatch_id 0
		.amdhsa_user_sgpr_flat_scratch_init 0
		.amdhsa_user_sgpr_private_segment_size 0
		.amdhsa_wavefront_size32 1
		.amdhsa_uses_dynamic_stack 0
		.amdhsa_system_sgpr_private_segment_wavefront_offset 0
		.amdhsa_system_sgpr_workgroup_id_x 1
		.amdhsa_system_sgpr_workgroup_id_y 0
		.amdhsa_system_sgpr_workgroup_id_z 0
		.amdhsa_system_sgpr_workgroup_info 0
		.amdhsa_system_vgpr_workitem_id 0
		.amdhsa_next_free_vgpr 54
		.amdhsa_next_free_sgpr 13
		.amdhsa_reserve_vcc 1
		.amdhsa_reserve_flat_scratch 0
		.amdhsa_float_round_mode_32 0
		.amdhsa_float_round_mode_16_64 0
		.amdhsa_float_denorm_mode_32 3
		.amdhsa_float_denorm_mode_16_64 3
		.amdhsa_dx10_clamp 1
		.amdhsa_ieee_mode 1
		.amdhsa_fp16_overflow 0
		.amdhsa_workgroup_processor_mode 1
		.amdhsa_memory_ordered 1
		.amdhsa_forward_progress 1
		.amdhsa_shared_vgpr_count 0
		.amdhsa_exception_fp_ieee_invalid_op 0
		.amdhsa_exception_fp_denorm_src 0
		.amdhsa_exception_fp_ieee_div_zero 0
		.amdhsa_exception_fp_ieee_overflow 0
		.amdhsa_exception_fp_ieee_underflow 0
		.amdhsa_exception_fp_ieee_inexact 0
		.amdhsa_exception_int_div_zero 0
	.end_amdhsa_kernel
	.section	.text._ZN9rocsparseL19gebsrmvn_1xn_kernelILj128ELj10ELj16E21rocsparse_complex_numIfEEEvi20rocsparse_direction_NS_24const_host_device_scalarIT2_EEPKiS8_PKS5_SA_S6_PS5_21rocsparse_index_base_b,"axG",@progbits,_ZN9rocsparseL19gebsrmvn_1xn_kernelILj128ELj10ELj16E21rocsparse_complex_numIfEEEvi20rocsparse_direction_NS_24const_host_device_scalarIT2_EEPKiS8_PKS5_SA_S6_PS5_21rocsparse_index_base_b,comdat
.Lfunc_end194:
	.size	_ZN9rocsparseL19gebsrmvn_1xn_kernelILj128ELj10ELj16E21rocsparse_complex_numIfEEEvi20rocsparse_direction_NS_24const_host_device_scalarIT2_EEPKiS8_PKS5_SA_S6_PS5_21rocsparse_index_base_b, .Lfunc_end194-_ZN9rocsparseL19gebsrmvn_1xn_kernelILj128ELj10ELj16E21rocsparse_complex_numIfEEEvi20rocsparse_direction_NS_24const_host_device_scalarIT2_EEPKiS8_PKS5_SA_S6_PS5_21rocsparse_index_base_b
                                        ; -- End function
	.set _ZN9rocsparseL19gebsrmvn_1xn_kernelILj128ELj10ELj16E21rocsparse_complex_numIfEEEvi20rocsparse_direction_NS_24const_host_device_scalarIT2_EEPKiS8_PKS5_SA_S6_PS5_21rocsparse_index_base_b.num_vgpr, 54
	.set _ZN9rocsparseL19gebsrmvn_1xn_kernelILj128ELj10ELj16E21rocsparse_complex_numIfEEEvi20rocsparse_direction_NS_24const_host_device_scalarIT2_EEPKiS8_PKS5_SA_S6_PS5_21rocsparse_index_base_b.num_agpr, 0
	.set _ZN9rocsparseL19gebsrmvn_1xn_kernelILj128ELj10ELj16E21rocsparse_complex_numIfEEEvi20rocsparse_direction_NS_24const_host_device_scalarIT2_EEPKiS8_PKS5_SA_S6_PS5_21rocsparse_index_base_b.numbered_sgpr, 13
	.set _ZN9rocsparseL19gebsrmvn_1xn_kernelILj128ELj10ELj16E21rocsparse_complex_numIfEEEvi20rocsparse_direction_NS_24const_host_device_scalarIT2_EEPKiS8_PKS5_SA_S6_PS5_21rocsparse_index_base_b.num_named_barrier, 0
	.set _ZN9rocsparseL19gebsrmvn_1xn_kernelILj128ELj10ELj16E21rocsparse_complex_numIfEEEvi20rocsparse_direction_NS_24const_host_device_scalarIT2_EEPKiS8_PKS5_SA_S6_PS5_21rocsparse_index_base_b.private_seg_size, 0
	.set _ZN9rocsparseL19gebsrmvn_1xn_kernelILj128ELj10ELj16E21rocsparse_complex_numIfEEEvi20rocsparse_direction_NS_24const_host_device_scalarIT2_EEPKiS8_PKS5_SA_S6_PS5_21rocsparse_index_base_b.uses_vcc, 1
	.set _ZN9rocsparseL19gebsrmvn_1xn_kernelILj128ELj10ELj16E21rocsparse_complex_numIfEEEvi20rocsparse_direction_NS_24const_host_device_scalarIT2_EEPKiS8_PKS5_SA_S6_PS5_21rocsparse_index_base_b.uses_flat_scratch, 0
	.set _ZN9rocsparseL19gebsrmvn_1xn_kernelILj128ELj10ELj16E21rocsparse_complex_numIfEEEvi20rocsparse_direction_NS_24const_host_device_scalarIT2_EEPKiS8_PKS5_SA_S6_PS5_21rocsparse_index_base_b.has_dyn_sized_stack, 0
	.set _ZN9rocsparseL19gebsrmvn_1xn_kernelILj128ELj10ELj16E21rocsparse_complex_numIfEEEvi20rocsparse_direction_NS_24const_host_device_scalarIT2_EEPKiS8_PKS5_SA_S6_PS5_21rocsparse_index_base_b.has_recursion, 0
	.set _ZN9rocsparseL19gebsrmvn_1xn_kernelILj128ELj10ELj16E21rocsparse_complex_numIfEEEvi20rocsparse_direction_NS_24const_host_device_scalarIT2_EEPKiS8_PKS5_SA_S6_PS5_21rocsparse_index_base_b.has_indirect_call, 0
	.section	.AMDGPU.csdata,"",@progbits
; Kernel info:
; codeLenInByte = 1552
; TotalNumSgprs: 15
; NumVgprs: 54
; ScratchSize: 0
; MemoryBound: 0
; FloatMode: 240
; IeeeMode: 1
; LDSByteSize: 0 bytes/workgroup (compile time only)
; SGPRBlocks: 0
; VGPRBlocks: 6
; NumSGPRsForWavesPerEU: 15
; NumVGPRsForWavesPerEU: 54
; Occupancy: 16
; WaveLimiterHint : 1
; COMPUTE_PGM_RSRC2:SCRATCH_EN: 0
; COMPUTE_PGM_RSRC2:USER_SGPR: 6
; COMPUTE_PGM_RSRC2:TRAP_HANDLER: 0
; COMPUTE_PGM_RSRC2:TGID_X_EN: 1
; COMPUTE_PGM_RSRC2:TGID_Y_EN: 0
; COMPUTE_PGM_RSRC2:TGID_Z_EN: 0
; COMPUTE_PGM_RSRC2:TIDIG_COMP_CNT: 0
	.section	.text._ZN9rocsparseL19gebsrmvn_1xn_kernelILj128ELj10ELj32E21rocsparse_complex_numIfEEEvi20rocsparse_direction_NS_24const_host_device_scalarIT2_EEPKiS8_PKS5_SA_S6_PS5_21rocsparse_index_base_b,"axG",@progbits,_ZN9rocsparseL19gebsrmvn_1xn_kernelILj128ELj10ELj32E21rocsparse_complex_numIfEEEvi20rocsparse_direction_NS_24const_host_device_scalarIT2_EEPKiS8_PKS5_SA_S6_PS5_21rocsparse_index_base_b,comdat
	.globl	_ZN9rocsparseL19gebsrmvn_1xn_kernelILj128ELj10ELj32E21rocsparse_complex_numIfEEEvi20rocsparse_direction_NS_24const_host_device_scalarIT2_EEPKiS8_PKS5_SA_S6_PS5_21rocsparse_index_base_b ; -- Begin function _ZN9rocsparseL19gebsrmvn_1xn_kernelILj128ELj10ELj32E21rocsparse_complex_numIfEEEvi20rocsparse_direction_NS_24const_host_device_scalarIT2_EEPKiS8_PKS5_SA_S6_PS5_21rocsparse_index_base_b
	.p2align	8
	.type	_ZN9rocsparseL19gebsrmvn_1xn_kernelILj128ELj10ELj32E21rocsparse_complex_numIfEEEvi20rocsparse_direction_NS_24const_host_device_scalarIT2_EEPKiS8_PKS5_SA_S6_PS5_21rocsparse_index_base_b,@function
_ZN9rocsparseL19gebsrmvn_1xn_kernelILj128ELj10ELj32E21rocsparse_complex_numIfEEEvi20rocsparse_direction_NS_24const_host_device_scalarIT2_EEPKiS8_PKS5_SA_S6_PS5_21rocsparse_index_base_b: ; @_ZN9rocsparseL19gebsrmvn_1xn_kernelILj128ELj10ELj32E21rocsparse_complex_numIfEEEvi20rocsparse_direction_NS_24const_host_device_scalarIT2_EEPKiS8_PKS5_SA_S6_PS5_21rocsparse_index_base_b
; %bb.0:
	s_clause 0x2
	s_load_dwordx2 s[8:9], s[4:5], 0x40
	s_load_dwordx2 s[0:1], s[4:5], 0x8
	;; [unrolled: 1-line block ×3, first 2 shown]
	s_add_u32 s7, s4, 8
	s_addc_u32 s10, s5, 0
	s_add_u32 s11, s4, 48
	s_addc_u32 s12, s5, 0
	s_waitcnt lgkmcnt(0)
	s_bitcmp1_b32 s9, 0
	s_cselect_b32 s0, s7, s0
	s_cselect_b32 s1, s10, s1
	v_mov_b32_e32 v1, s0
	v_mov_b32_e32 v2, s1
	s_cselect_b32 s0, s11, s2
	s_cselect_b32 s1, s12, s3
	flat_load_dwordx2 v[3:4], v[1:2]
	v_mov_b32_e32 v1, s0
	v_mov_b32_e32 v2, s1
	flat_load_dwordx2 v[1:2], v[1:2]
	s_waitcnt vmcnt(1) lgkmcnt(1)
	v_cmp_eq_f32_e32 vcc_lo, 0, v3
	v_cmp_eq_f32_e64 s0, 0, v4
	s_and_b32 s2, vcc_lo, s0
	s_mov_b32 s0, -1
	s_and_saveexec_b32 s1, s2
	s_cbranch_execz .LBB195_2
; %bb.1:
	s_waitcnt vmcnt(0) lgkmcnt(0)
	v_cmp_neq_f32_e32 vcc_lo, 1.0, v1
	v_cmp_neq_f32_e64 s0, 0, v2
	s_or_b32 s0, vcc_lo, s0
	s_orn2_b32 s0, s0, exec_lo
.LBB195_2:
	s_or_b32 exec_lo, exec_lo, s1
	s_and_saveexec_b32 s1, s0
	s_cbranch_execz .LBB195_13
; %bb.3:
	s_load_dword s0, s[4:5], 0x0
	v_lshrrev_b32_e32 v5, 5, v0
	v_lshl_or_b32 v5, s6, 2, v5
	s_waitcnt lgkmcnt(0)
	v_cmp_gt_i32_e32 vcc_lo, s0, v5
	s_and_b32 exec_lo, exec_lo, vcc_lo
	s_cbranch_execz .LBB195_13
; %bb.4:
	s_clause 0x1
	s_load_dwordx2 s[0:1], s[4:5], 0x10
	s_load_dwordx2 s[6:7], s[4:5], 0x38
	v_ashrrev_i32_e32 v6, 31, v5
	v_and_b32_e32 v0, 31, v0
	v_mov_b32_e32 v13, 0
	v_mov_b32_e32 v15, 0
	s_mov_b32 s9, exec_lo
	v_lshlrev_b64 v[7:8], 2, v[5:6]
	v_subrev_nc_u32_e32 v9, s8, v0
	s_waitcnt lgkmcnt(0)
	v_add_co_u32 v7, vcc_lo, s0, v7
	v_add_co_ci_u32_e64 v8, null, s1, v8, vcc_lo
	global_load_dwordx2 v[7:8], v[7:8], off
	s_waitcnt vmcnt(0)
	v_subrev_nc_u32_e32 v14, s8, v8
	v_add_nc_u32_e32 v7, v7, v9
	v_cmpx_lt_i32_e64 v7, v14
	s_cbranch_execz .LBB195_8
; %bb.5:
	s_clause 0x1
	s_load_dwordx4 s[0:3], s[4:5], 0x18
	s_load_dwordx2 s[4:5], s[4:5], 0x28
	v_mad_u64_u32 v[9:10], null, v7, 10, 9
	v_mov_b32_e32 v12, 0
	v_mov_b32_e32 v13, 0
	;; [unrolled: 1-line block ×3, first 2 shown]
	s_mov_b32 s10, 0
.LBB195_6:                              ; =>This Inner Loop Header: Depth=1
	v_ashrrev_i32_e32 v8, 31, v7
	v_mov_b32_e32 v33, v12
	v_lshlrev_b64 v[10:11], 2, v[7:8]
	v_add_nc_u32_e32 v7, 32, v7
	s_waitcnt lgkmcnt(0)
	v_add_co_u32 v10, vcc_lo, s0, v10
	v_add_co_ci_u32_e64 v11, null, s1, v11, vcc_lo
	global_load_dword v8, v[10:11], off
	v_add_nc_u32_e32 v11, -9, v9
	v_mov_b32_e32 v10, v12
	v_lshlrev_b64 v[16:17], 3, v[11:12]
	v_add_nc_u32_e32 v11, -7, v9
	v_lshlrev_b64 v[18:19], 3, v[11:12]
	v_add_co_u32 v16, vcc_lo, s2, v16
	v_add_co_ci_u32_e64 v17, null, s3, v17, vcc_lo
	v_add_co_u32 v20, vcc_lo, s2, v18
	v_add_co_ci_u32_e64 v21, null, s3, v19, vcc_lo
	s_clause 0x1
	global_load_dwordx4 v[16:19], v[16:17], off
	global_load_dwordx2 v[40:41], v[20:21], off
	s_waitcnt vmcnt(2)
	v_subrev_nc_u32_e32 v8, s8, v8
	v_mul_lo_u32 v32, v8, 10
	v_lshlrev_b64 v[20:21], 3, v[32:33]
	v_add_nc_u32_e32 v11, 2, v32
	v_lshlrev_b64 v[24:25], 3, v[11:12]
	v_add_co_u32 v20, vcc_lo, s4, v20
	v_add_co_ci_u32_e64 v21, null, s5, v21, vcc_lo
	v_add_nc_u32_e32 v11, -6, v9
	v_add_co_u32 v24, vcc_lo, s4, v24
	global_load_dwordx4 v[20:23], v[20:21], off
	v_add_co_ci_u32_e64 v25, null, s5, v25, vcc_lo
	v_lshlrev_b64 v[28:29], 3, v[11:12]
	v_add_nc_u32_e32 v11, -5, v9
	global_load_dwordx4 v[24:27], v[24:25], off
	v_lshlrev_b64 v[30:31], 3, v[11:12]
	v_add_nc_u32_e32 v11, 4, v32
	v_add_co_u32 v28, vcc_lo, s2, v28
	v_add_co_ci_u32_e64 v29, null, s3, v29, vcc_lo
	v_add_co_u32 v30, vcc_lo, s2, v30
	v_lshlrev_b64 v[33:34], 3, v[11:12]
	v_add_nc_u32_e32 v11, -4, v9
	v_add_co_ci_u32_e64 v31, null, s3, v31, vcc_lo
	s_clause 0x1
	global_load_dwordx2 v[42:43], v[28:29], off
	global_load_dwordx2 v[44:45], v[30:31], off
	v_lshlrev_b64 v[28:29], 3, v[11:12]
	v_add_co_u32 v30, vcc_lo, s4, v33
	v_add_nc_u32_e32 v11, -3, v9
	v_add_co_ci_u32_e64 v31, null, s5, v34, vcc_lo
	v_add_co_u32 v35, vcc_lo, s2, v28
	v_lshlrev_b64 v[33:34], 3, v[11:12]
	v_add_co_ci_u32_e64 v36, null, s3, v29, vcc_lo
	global_load_dwordx4 v[28:31], v[30:31], off
	v_add_nc_u32_e32 v11, 6, v32
	v_add_co_u32 v33, vcc_lo, s2, v33
	v_add_co_ci_u32_e64 v34, null, s3, v34, vcc_lo
	v_lshlrev_b64 v[37:38], 3, v[11:12]
	v_add_nc_u32_e32 v11, -2, v9
	s_clause 0x1
	global_load_dwordx2 v[46:47], v[35:36], off
	global_load_dwordx2 v[50:51], v[33:34], off
	v_add_co_u32 v35, vcc_lo, s4, v37
	v_lshlrev_b64 v[48:49], 3, v[11:12]
	v_add_nc_u32_e32 v11, -1, v9
	v_add_co_ci_u32_e64 v36, null, s5, v38, vcc_lo
	v_lshlrev_b64 v[37:38], 3, v[11:12]
	v_add_nc_u32_e32 v11, 8, v32
	global_load_dwordx4 v[32:35], v[35:36], off
	v_add_co_u32 v48, vcc_lo, s2, v48
	v_add_co_ci_u32_e64 v49, null, s3, v49, vcc_lo
	v_lshlrev_b64 v[52:53], 3, v[11:12]
	v_add_co_u32 v36, vcc_lo, s2, v37
	global_load_dwordx2 v[48:49], v[48:49], off
	v_add_co_ci_u32_e64 v37, null, s3, v38, vcc_lo
	v_add_co_u32 v38, vcc_lo, s4, v52
	v_add_co_ci_u32_e64 v39, null, s5, v53, vcc_lo
	v_lshlrev_b64 v[10:11], 3, v[9:10]
	global_load_dwordx2 v[52:53], v[36:37], off
	global_load_dwordx4 v[36:39], v[38:39], off
	v_add_nc_u32_e32 v9, 0x140, v9
	v_add_co_u32 v10, vcc_lo, s2, v10
	v_add_co_ci_u32_e64 v11, null, s3, v11, vcc_lo
	v_cmp_ge_i32_e32 vcc_lo, v7, v14
	global_load_dwordx2 v[10:11], v[10:11], off
	s_or_b32 s10, vcc_lo, s10
	s_waitcnt vmcnt(11)
	v_fmac_f32_e32 v15, v16, v20
	v_fmac_f32_e32 v13, v17, v20
	v_fma_f32 v8, -v17, v21, v15
	v_fmac_f32_e32 v13, v16, v21
	v_fmac_f32_e32 v8, v18, v22
	;; [unrolled: 1-line block ×3, first 2 shown]
	v_fma_f32 v8, -v19, v23, v8
	v_fmac_f32_e32 v13, v18, v23
	s_waitcnt vmcnt(10)
	v_fmac_f32_e32 v8, v40, v24
	v_fmac_f32_e32 v13, v41, v24
	v_fma_f32 v8, -v41, v25, v8
	v_fmac_f32_e32 v13, v40, v25
	s_waitcnt vmcnt(9)
	v_fmac_f32_e32 v8, v42, v26
	v_fmac_f32_e32 v13, v43, v26
	v_fma_f32 v8, -v43, v27, v8
	v_fmac_f32_e32 v13, v42, v27
	s_waitcnt vmcnt(7)
	v_fmac_f32_e32 v8, v44, v28
	v_fmac_f32_e32 v13, v45, v28
	v_fma_f32 v8, -v45, v29, v8
	v_fmac_f32_e32 v13, v44, v29
	s_waitcnt vmcnt(6)
	v_fmac_f32_e32 v8, v46, v30
	v_fmac_f32_e32 v13, v47, v30
	v_fma_f32 v8, -v47, v31, v8
	v_fmac_f32_e32 v13, v46, v31
	s_waitcnt vmcnt(4)
	v_fmac_f32_e32 v8, v50, v32
	v_fmac_f32_e32 v13, v51, v32
	v_fma_f32 v8, -v51, v33, v8
	v_fmac_f32_e32 v13, v50, v33
	s_waitcnt vmcnt(3)
	v_fmac_f32_e32 v8, v48, v34
	v_fmac_f32_e32 v13, v49, v34
	v_fma_f32 v8, -v49, v35, v8
	v_fmac_f32_e32 v13, v48, v35
	s_waitcnt vmcnt(1)
	v_fmac_f32_e32 v8, v52, v36
	v_fmac_f32_e32 v13, v53, v36
	v_fma_f32 v8, -v53, v37, v8
	v_fmac_f32_e32 v13, v52, v37
	s_waitcnt vmcnt(0)
	v_fmac_f32_e32 v8, v10, v38
	v_fmac_f32_e32 v13, v11, v38
	v_fma_f32 v15, -v11, v39, v8
	v_fmac_f32_e32 v13, v10, v39
	s_andn2_b32 exec_lo, exec_lo, s10
	s_cbranch_execnz .LBB195_6
; %bb.7:
	s_or_b32 exec_lo, exec_lo, s10
.LBB195_8:
	s_or_b32 exec_lo, exec_lo, s9
	v_mbcnt_lo_u32_b32 v7, -1, 0
	v_xor_b32_e32 v8, 16, v7
	v_xor_b32_e32 v10, 8, v7
	;; [unrolled: 1-line block ×3, first 2 shown]
	v_cmp_gt_i32_e32 vcc_lo, 32, v8
	v_cndmask_b32_e32 v8, v7, v8, vcc_lo
	v_cmp_gt_i32_e32 vcc_lo, 32, v10
	v_lshlrev_b32_e32 v8, 2, v8
	v_cndmask_b32_e32 v10, v7, v10, vcc_lo
	v_cmp_gt_i32_e32 vcc_lo, 32, v12
	ds_bpermute_b32 v9, v8, v15
	ds_bpermute_b32 v8, v8, v13
	v_lshlrev_b32_e32 v10, 2, v10
	v_cndmask_b32_e32 v12, v7, v12, vcc_lo
	v_lshlrev_b32_e32 v12, 2, v12
	s_waitcnt lgkmcnt(1)
	v_add_f32_e32 v9, v15, v9
	s_waitcnt lgkmcnt(0)
	v_add_f32_e32 v8, v13, v8
	ds_bpermute_b32 v11, v10, v9
	ds_bpermute_b32 v10, v10, v8
	s_waitcnt lgkmcnt(1)
	v_add_f32_e32 v9, v9, v11
	s_waitcnt lgkmcnt(0)
	v_add_f32_e32 v8, v8, v10
	ds_bpermute_b32 v10, v12, v9
	ds_bpermute_b32 v11, v12, v8
	v_xor_b32_e32 v12, 2, v7
	v_cmp_gt_i32_e32 vcc_lo, 32, v12
	v_cndmask_b32_e32 v12, v7, v12, vcc_lo
	v_lshlrev_b32_e32 v12, 2, v12
	s_waitcnt lgkmcnt(1)
	v_add_f32_e32 v9, v9, v10
	s_waitcnt lgkmcnt(0)
	v_add_f32_e32 v8, v8, v11
	ds_bpermute_b32 v10, v12, v9
	ds_bpermute_b32 v11, v12, v8
	v_xor_b32_e32 v12, 1, v7
	v_cmp_gt_i32_e32 vcc_lo, 32, v12
	v_cndmask_b32_e32 v7, v7, v12, vcc_lo
	v_cmp_eq_u32_e32 vcc_lo, 31, v0
	v_lshlrev_b32_e32 v12, 2, v7
	s_waitcnt lgkmcnt(1)
	v_add_f32_e32 v7, v9, v10
	s_waitcnt lgkmcnt(0)
	v_add_f32_e32 v9, v8, v11
	ds_bpermute_b32 v8, v12, v7
	ds_bpermute_b32 v10, v12, v9
	s_and_b32 exec_lo, exec_lo, vcc_lo
	s_cbranch_execz .LBB195_13
; %bb.9:
	s_waitcnt lgkmcnt(0)
	v_add_f32_e32 v0, v9, v10
	v_add_f32_e32 v9, v7, v8
	v_cmp_eq_f32_e32 vcc_lo, 0, v1
	v_cmp_eq_f32_e64 s0, 0, v2
	v_lshlrev_b64 v[5:6], 3, v[5:6]
	v_mul_f32_e64 v7, v0, -v4
	v_mul_f32_e32 v8, v3, v0
	s_and_b32 s0, vcc_lo, s0
	v_fmac_f32_e32 v7, v3, v9
	v_fmac_f32_e32 v8, v4, v9
	s_and_saveexec_b32 s1, s0
	s_xor_b32 s0, exec_lo, s1
	s_cbranch_execz .LBB195_11
; %bb.10:
	v_add_co_u32 v0, vcc_lo, s6, v5
	v_add_co_ci_u32_e64 v1, null, s7, v6, vcc_lo
                                        ; implicit-def: $vgpr5_vgpr6
	global_store_dwordx2 v[0:1], v[7:8], off
                                        ; implicit-def: $vgpr1_vgpr2
                                        ; implicit-def: $vgpr7
.LBB195_11:
	s_andn2_saveexec_b32 s0, s0
	s_cbranch_execz .LBB195_13
; %bb.12:
	v_add_co_u32 v3, vcc_lo, s6, v5
	v_add_co_ci_u32_e64 v4, null, s7, v6, vcc_lo
	global_load_dwordx2 v[5:6], v[3:4], off
	s_waitcnt vmcnt(0)
	v_fmac_f32_e32 v7, v1, v5
	v_fmac_f32_e32 v8, v2, v5
	v_fma_f32 v7, -v2, v6, v7
	v_fmac_f32_e32 v8, v1, v6
	global_store_dwordx2 v[3:4], v[7:8], off
.LBB195_13:
	s_endpgm
	.section	.rodata,"a",@progbits
	.p2align	6, 0x0
	.amdhsa_kernel _ZN9rocsparseL19gebsrmvn_1xn_kernelILj128ELj10ELj32E21rocsparse_complex_numIfEEEvi20rocsparse_direction_NS_24const_host_device_scalarIT2_EEPKiS8_PKS5_SA_S6_PS5_21rocsparse_index_base_b
		.amdhsa_group_segment_fixed_size 0
		.amdhsa_private_segment_fixed_size 0
		.amdhsa_kernarg_size 72
		.amdhsa_user_sgpr_count 6
		.amdhsa_user_sgpr_private_segment_buffer 1
		.amdhsa_user_sgpr_dispatch_ptr 0
		.amdhsa_user_sgpr_queue_ptr 0
		.amdhsa_user_sgpr_kernarg_segment_ptr 1
		.amdhsa_user_sgpr_dispatch_id 0
		.amdhsa_user_sgpr_flat_scratch_init 0
		.amdhsa_user_sgpr_private_segment_size 0
		.amdhsa_wavefront_size32 1
		.amdhsa_uses_dynamic_stack 0
		.amdhsa_system_sgpr_private_segment_wavefront_offset 0
		.amdhsa_system_sgpr_workgroup_id_x 1
		.amdhsa_system_sgpr_workgroup_id_y 0
		.amdhsa_system_sgpr_workgroup_id_z 0
		.amdhsa_system_sgpr_workgroup_info 0
		.amdhsa_system_vgpr_workitem_id 0
		.amdhsa_next_free_vgpr 54
		.amdhsa_next_free_sgpr 13
		.amdhsa_reserve_vcc 1
		.amdhsa_reserve_flat_scratch 0
		.amdhsa_float_round_mode_32 0
		.amdhsa_float_round_mode_16_64 0
		.amdhsa_float_denorm_mode_32 3
		.amdhsa_float_denorm_mode_16_64 3
		.amdhsa_dx10_clamp 1
		.amdhsa_ieee_mode 1
		.amdhsa_fp16_overflow 0
		.amdhsa_workgroup_processor_mode 1
		.amdhsa_memory_ordered 1
		.amdhsa_forward_progress 1
		.amdhsa_shared_vgpr_count 0
		.amdhsa_exception_fp_ieee_invalid_op 0
		.amdhsa_exception_fp_denorm_src 0
		.amdhsa_exception_fp_ieee_div_zero 0
		.amdhsa_exception_fp_ieee_overflow 0
		.amdhsa_exception_fp_ieee_underflow 0
		.amdhsa_exception_fp_ieee_inexact 0
		.amdhsa_exception_int_div_zero 0
	.end_amdhsa_kernel
	.section	.text._ZN9rocsparseL19gebsrmvn_1xn_kernelILj128ELj10ELj32E21rocsparse_complex_numIfEEEvi20rocsparse_direction_NS_24const_host_device_scalarIT2_EEPKiS8_PKS5_SA_S6_PS5_21rocsparse_index_base_b,"axG",@progbits,_ZN9rocsparseL19gebsrmvn_1xn_kernelILj128ELj10ELj32E21rocsparse_complex_numIfEEEvi20rocsparse_direction_NS_24const_host_device_scalarIT2_EEPKiS8_PKS5_SA_S6_PS5_21rocsparse_index_base_b,comdat
.Lfunc_end195:
	.size	_ZN9rocsparseL19gebsrmvn_1xn_kernelILj128ELj10ELj32E21rocsparse_complex_numIfEEEvi20rocsparse_direction_NS_24const_host_device_scalarIT2_EEPKiS8_PKS5_SA_S6_PS5_21rocsparse_index_base_b, .Lfunc_end195-_ZN9rocsparseL19gebsrmvn_1xn_kernelILj128ELj10ELj32E21rocsparse_complex_numIfEEEvi20rocsparse_direction_NS_24const_host_device_scalarIT2_EEPKiS8_PKS5_SA_S6_PS5_21rocsparse_index_base_b
                                        ; -- End function
	.set _ZN9rocsparseL19gebsrmvn_1xn_kernelILj128ELj10ELj32E21rocsparse_complex_numIfEEEvi20rocsparse_direction_NS_24const_host_device_scalarIT2_EEPKiS8_PKS5_SA_S6_PS5_21rocsparse_index_base_b.num_vgpr, 54
	.set _ZN9rocsparseL19gebsrmvn_1xn_kernelILj128ELj10ELj32E21rocsparse_complex_numIfEEEvi20rocsparse_direction_NS_24const_host_device_scalarIT2_EEPKiS8_PKS5_SA_S6_PS5_21rocsparse_index_base_b.num_agpr, 0
	.set _ZN9rocsparseL19gebsrmvn_1xn_kernelILj128ELj10ELj32E21rocsparse_complex_numIfEEEvi20rocsparse_direction_NS_24const_host_device_scalarIT2_EEPKiS8_PKS5_SA_S6_PS5_21rocsparse_index_base_b.numbered_sgpr, 13
	.set _ZN9rocsparseL19gebsrmvn_1xn_kernelILj128ELj10ELj32E21rocsparse_complex_numIfEEEvi20rocsparse_direction_NS_24const_host_device_scalarIT2_EEPKiS8_PKS5_SA_S6_PS5_21rocsparse_index_base_b.num_named_barrier, 0
	.set _ZN9rocsparseL19gebsrmvn_1xn_kernelILj128ELj10ELj32E21rocsparse_complex_numIfEEEvi20rocsparse_direction_NS_24const_host_device_scalarIT2_EEPKiS8_PKS5_SA_S6_PS5_21rocsparse_index_base_b.private_seg_size, 0
	.set _ZN9rocsparseL19gebsrmvn_1xn_kernelILj128ELj10ELj32E21rocsparse_complex_numIfEEEvi20rocsparse_direction_NS_24const_host_device_scalarIT2_EEPKiS8_PKS5_SA_S6_PS5_21rocsparse_index_base_b.uses_vcc, 1
	.set _ZN9rocsparseL19gebsrmvn_1xn_kernelILj128ELj10ELj32E21rocsparse_complex_numIfEEEvi20rocsparse_direction_NS_24const_host_device_scalarIT2_EEPKiS8_PKS5_SA_S6_PS5_21rocsparse_index_base_b.uses_flat_scratch, 0
	.set _ZN9rocsparseL19gebsrmvn_1xn_kernelILj128ELj10ELj32E21rocsparse_complex_numIfEEEvi20rocsparse_direction_NS_24const_host_device_scalarIT2_EEPKiS8_PKS5_SA_S6_PS5_21rocsparse_index_base_b.has_dyn_sized_stack, 0
	.set _ZN9rocsparseL19gebsrmvn_1xn_kernelILj128ELj10ELj32E21rocsparse_complex_numIfEEEvi20rocsparse_direction_NS_24const_host_device_scalarIT2_EEPKiS8_PKS5_SA_S6_PS5_21rocsparse_index_base_b.has_recursion, 0
	.set _ZN9rocsparseL19gebsrmvn_1xn_kernelILj128ELj10ELj32E21rocsparse_complex_numIfEEEvi20rocsparse_direction_NS_24const_host_device_scalarIT2_EEPKiS8_PKS5_SA_S6_PS5_21rocsparse_index_base_b.has_indirect_call, 0
	.section	.AMDGPU.csdata,"",@progbits
; Kernel info:
; codeLenInByte = 1600
; TotalNumSgprs: 15
; NumVgprs: 54
; ScratchSize: 0
; MemoryBound: 0
; FloatMode: 240
; IeeeMode: 1
; LDSByteSize: 0 bytes/workgroup (compile time only)
; SGPRBlocks: 0
; VGPRBlocks: 6
; NumSGPRsForWavesPerEU: 15
; NumVGPRsForWavesPerEU: 54
; Occupancy: 16
; WaveLimiterHint : 1
; COMPUTE_PGM_RSRC2:SCRATCH_EN: 0
; COMPUTE_PGM_RSRC2:USER_SGPR: 6
; COMPUTE_PGM_RSRC2:TRAP_HANDLER: 0
; COMPUTE_PGM_RSRC2:TGID_X_EN: 1
; COMPUTE_PGM_RSRC2:TGID_Y_EN: 0
; COMPUTE_PGM_RSRC2:TGID_Z_EN: 0
; COMPUTE_PGM_RSRC2:TIDIG_COMP_CNT: 0
	.section	.text._ZN9rocsparseL19gebsrmvn_1xn_kernelILj128ELj10ELj64E21rocsparse_complex_numIfEEEvi20rocsparse_direction_NS_24const_host_device_scalarIT2_EEPKiS8_PKS5_SA_S6_PS5_21rocsparse_index_base_b,"axG",@progbits,_ZN9rocsparseL19gebsrmvn_1xn_kernelILj128ELj10ELj64E21rocsparse_complex_numIfEEEvi20rocsparse_direction_NS_24const_host_device_scalarIT2_EEPKiS8_PKS5_SA_S6_PS5_21rocsparse_index_base_b,comdat
	.globl	_ZN9rocsparseL19gebsrmvn_1xn_kernelILj128ELj10ELj64E21rocsparse_complex_numIfEEEvi20rocsparse_direction_NS_24const_host_device_scalarIT2_EEPKiS8_PKS5_SA_S6_PS5_21rocsparse_index_base_b ; -- Begin function _ZN9rocsparseL19gebsrmvn_1xn_kernelILj128ELj10ELj64E21rocsparse_complex_numIfEEEvi20rocsparse_direction_NS_24const_host_device_scalarIT2_EEPKiS8_PKS5_SA_S6_PS5_21rocsparse_index_base_b
	.p2align	8
	.type	_ZN9rocsparseL19gebsrmvn_1xn_kernelILj128ELj10ELj64E21rocsparse_complex_numIfEEEvi20rocsparse_direction_NS_24const_host_device_scalarIT2_EEPKiS8_PKS5_SA_S6_PS5_21rocsparse_index_base_b,@function
_ZN9rocsparseL19gebsrmvn_1xn_kernelILj128ELj10ELj64E21rocsparse_complex_numIfEEEvi20rocsparse_direction_NS_24const_host_device_scalarIT2_EEPKiS8_PKS5_SA_S6_PS5_21rocsparse_index_base_b: ; @_ZN9rocsparseL19gebsrmvn_1xn_kernelILj128ELj10ELj64E21rocsparse_complex_numIfEEEvi20rocsparse_direction_NS_24const_host_device_scalarIT2_EEPKiS8_PKS5_SA_S6_PS5_21rocsparse_index_base_b
; %bb.0:
	s_clause 0x2
	s_load_dwordx2 s[8:9], s[4:5], 0x40
	s_load_dwordx2 s[0:1], s[4:5], 0x8
	;; [unrolled: 1-line block ×3, first 2 shown]
	s_add_u32 s7, s4, 8
	s_addc_u32 s10, s5, 0
	s_add_u32 s11, s4, 48
	s_addc_u32 s12, s5, 0
	s_waitcnt lgkmcnt(0)
	s_bitcmp1_b32 s9, 0
	s_cselect_b32 s0, s7, s0
	s_cselect_b32 s1, s10, s1
	v_mov_b32_e32 v1, s0
	v_mov_b32_e32 v2, s1
	s_cselect_b32 s0, s11, s2
	s_cselect_b32 s1, s12, s3
	flat_load_dwordx2 v[3:4], v[1:2]
	v_mov_b32_e32 v1, s0
	v_mov_b32_e32 v2, s1
	flat_load_dwordx2 v[1:2], v[1:2]
	s_waitcnt vmcnt(1) lgkmcnt(1)
	v_cmp_eq_f32_e32 vcc_lo, 0, v3
	v_cmp_eq_f32_e64 s0, 0, v4
	s_and_b32 s2, vcc_lo, s0
	s_mov_b32 s0, -1
	s_and_saveexec_b32 s1, s2
	s_cbranch_execz .LBB196_2
; %bb.1:
	s_waitcnt vmcnt(0) lgkmcnt(0)
	v_cmp_neq_f32_e32 vcc_lo, 1.0, v1
	v_cmp_neq_f32_e64 s0, 0, v2
	s_or_b32 s0, vcc_lo, s0
	s_orn2_b32 s0, s0, exec_lo
.LBB196_2:
	s_or_b32 exec_lo, exec_lo, s1
	s_and_saveexec_b32 s1, s0
	s_cbranch_execz .LBB196_13
; %bb.3:
	s_load_dword s0, s[4:5], 0x0
	v_lshrrev_b32_e32 v5, 6, v0
	v_lshl_or_b32 v5, s6, 1, v5
	s_waitcnt lgkmcnt(0)
	v_cmp_gt_i32_e32 vcc_lo, s0, v5
	s_and_b32 exec_lo, exec_lo, vcc_lo
	s_cbranch_execz .LBB196_13
; %bb.4:
	s_clause 0x1
	s_load_dwordx2 s[0:1], s[4:5], 0x10
	s_load_dwordx2 s[6:7], s[4:5], 0x38
	v_ashrrev_i32_e32 v6, 31, v5
	v_and_b32_e32 v0, 63, v0
	v_mov_b32_e32 v13, 0
	v_mov_b32_e32 v15, 0
	s_mov_b32 s9, exec_lo
	v_lshlrev_b64 v[7:8], 2, v[5:6]
	v_subrev_nc_u32_e32 v9, s8, v0
	s_waitcnt lgkmcnt(0)
	v_add_co_u32 v7, vcc_lo, s0, v7
	v_add_co_ci_u32_e64 v8, null, s1, v8, vcc_lo
	global_load_dwordx2 v[7:8], v[7:8], off
	s_waitcnt vmcnt(0)
	v_subrev_nc_u32_e32 v14, s8, v8
	v_add_nc_u32_e32 v7, v7, v9
	v_cmpx_lt_i32_e64 v7, v14
	s_cbranch_execz .LBB196_8
; %bb.5:
	s_clause 0x1
	s_load_dwordx4 s[0:3], s[4:5], 0x18
	s_load_dwordx2 s[4:5], s[4:5], 0x28
	v_mad_u64_u32 v[9:10], null, v7, 10, 9
	v_mov_b32_e32 v12, 0
	v_mov_b32_e32 v13, 0
	;; [unrolled: 1-line block ×3, first 2 shown]
	s_mov_b32 s10, 0
.LBB196_6:                              ; =>This Inner Loop Header: Depth=1
	v_ashrrev_i32_e32 v8, 31, v7
	v_mov_b32_e32 v33, v12
	v_lshlrev_b64 v[10:11], 2, v[7:8]
	v_add_nc_u32_e32 v7, 64, v7
	s_waitcnt lgkmcnt(0)
	v_add_co_u32 v10, vcc_lo, s0, v10
	v_add_co_ci_u32_e64 v11, null, s1, v11, vcc_lo
	global_load_dword v8, v[10:11], off
	v_add_nc_u32_e32 v11, -9, v9
	v_mov_b32_e32 v10, v12
	v_lshlrev_b64 v[16:17], 3, v[11:12]
	v_add_nc_u32_e32 v11, -7, v9
	v_lshlrev_b64 v[18:19], 3, v[11:12]
	v_add_co_u32 v16, vcc_lo, s2, v16
	v_add_co_ci_u32_e64 v17, null, s3, v17, vcc_lo
	v_add_co_u32 v20, vcc_lo, s2, v18
	v_add_co_ci_u32_e64 v21, null, s3, v19, vcc_lo
	s_clause 0x1
	global_load_dwordx4 v[16:19], v[16:17], off
	global_load_dwordx2 v[40:41], v[20:21], off
	s_waitcnt vmcnt(2)
	v_subrev_nc_u32_e32 v8, s8, v8
	v_mul_lo_u32 v32, v8, 10
	v_lshlrev_b64 v[20:21], 3, v[32:33]
	v_add_nc_u32_e32 v11, 2, v32
	v_lshlrev_b64 v[24:25], 3, v[11:12]
	v_add_co_u32 v20, vcc_lo, s4, v20
	v_add_co_ci_u32_e64 v21, null, s5, v21, vcc_lo
	v_add_nc_u32_e32 v11, -6, v9
	v_add_co_u32 v24, vcc_lo, s4, v24
	global_load_dwordx4 v[20:23], v[20:21], off
	v_add_co_ci_u32_e64 v25, null, s5, v25, vcc_lo
	v_lshlrev_b64 v[28:29], 3, v[11:12]
	v_add_nc_u32_e32 v11, -5, v9
	global_load_dwordx4 v[24:27], v[24:25], off
	v_lshlrev_b64 v[30:31], 3, v[11:12]
	v_add_nc_u32_e32 v11, 4, v32
	v_add_co_u32 v28, vcc_lo, s2, v28
	v_add_co_ci_u32_e64 v29, null, s3, v29, vcc_lo
	v_add_co_u32 v30, vcc_lo, s2, v30
	v_lshlrev_b64 v[33:34], 3, v[11:12]
	v_add_nc_u32_e32 v11, -4, v9
	v_add_co_ci_u32_e64 v31, null, s3, v31, vcc_lo
	s_clause 0x1
	global_load_dwordx2 v[42:43], v[28:29], off
	global_load_dwordx2 v[44:45], v[30:31], off
	v_lshlrev_b64 v[28:29], 3, v[11:12]
	v_add_co_u32 v30, vcc_lo, s4, v33
	v_add_nc_u32_e32 v11, -3, v9
	v_add_co_ci_u32_e64 v31, null, s5, v34, vcc_lo
	v_add_co_u32 v35, vcc_lo, s2, v28
	v_lshlrev_b64 v[33:34], 3, v[11:12]
	v_add_co_ci_u32_e64 v36, null, s3, v29, vcc_lo
	global_load_dwordx4 v[28:31], v[30:31], off
	v_add_nc_u32_e32 v11, 6, v32
	v_add_co_u32 v33, vcc_lo, s2, v33
	v_add_co_ci_u32_e64 v34, null, s3, v34, vcc_lo
	v_lshlrev_b64 v[37:38], 3, v[11:12]
	v_add_nc_u32_e32 v11, -2, v9
	s_clause 0x1
	global_load_dwordx2 v[46:47], v[35:36], off
	global_load_dwordx2 v[50:51], v[33:34], off
	v_add_co_u32 v35, vcc_lo, s4, v37
	v_lshlrev_b64 v[48:49], 3, v[11:12]
	v_add_nc_u32_e32 v11, -1, v9
	v_add_co_ci_u32_e64 v36, null, s5, v38, vcc_lo
	v_lshlrev_b64 v[37:38], 3, v[11:12]
	v_add_nc_u32_e32 v11, 8, v32
	global_load_dwordx4 v[32:35], v[35:36], off
	v_add_co_u32 v48, vcc_lo, s2, v48
	v_add_co_ci_u32_e64 v49, null, s3, v49, vcc_lo
	v_lshlrev_b64 v[52:53], 3, v[11:12]
	v_add_co_u32 v36, vcc_lo, s2, v37
	global_load_dwordx2 v[48:49], v[48:49], off
	v_add_co_ci_u32_e64 v37, null, s3, v38, vcc_lo
	v_add_co_u32 v38, vcc_lo, s4, v52
	v_add_co_ci_u32_e64 v39, null, s5, v53, vcc_lo
	v_lshlrev_b64 v[10:11], 3, v[9:10]
	global_load_dwordx2 v[52:53], v[36:37], off
	global_load_dwordx4 v[36:39], v[38:39], off
	v_add_nc_u32_e32 v9, 0x280, v9
	v_add_co_u32 v10, vcc_lo, s2, v10
	v_add_co_ci_u32_e64 v11, null, s3, v11, vcc_lo
	v_cmp_ge_i32_e32 vcc_lo, v7, v14
	global_load_dwordx2 v[10:11], v[10:11], off
	s_or_b32 s10, vcc_lo, s10
	s_waitcnt vmcnt(11)
	v_fmac_f32_e32 v15, v16, v20
	v_fmac_f32_e32 v13, v17, v20
	v_fma_f32 v8, -v17, v21, v15
	v_fmac_f32_e32 v13, v16, v21
	v_fmac_f32_e32 v8, v18, v22
	;; [unrolled: 1-line block ×3, first 2 shown]
	v_fma_f32 v8, -v19, v23, v8
	v_fmac_f32_e32 v13, v18, v23
	s_waitcnt vmcnt(10)
	v_fmac_f32_e32 v8, v40, v24
	v_fmac_f32_e32 v13, v41, v24
	v_fma_f32 v8, -v41, v25, v8
	v_fmac_f32_e32 v13, v40, v25
	s_waitcnt vmcnt(9)
	v_fmac_f32_e32 v8, v42, v26
	v_fmac_f32_e32 v13, v43, v26
	;; [unrolled: 5-line block ×8, first 2 shown]
	v_fma_f32 v15, -v11, v39, v8
	v_fmac_f32_e32 v13, v10, v39
	s_andn2_b32 exec_lo, exec_lo, s10
	s_cbranch_execnz .LBB196_6
; %bb.7:
	s_or_b32 exec_lo, exec_lo, s10
.LBB196_8:
	s_or_b32 exec_lo, exec_lo, s9
	v_mbcnt_lo_u32_b32 v7, -1, 0
	v_or_b32_e32 v8, 32, v7
	v_xor_b32_e32 v10, 16, v7
	v_xor_b32_e32 v12, 8, v7
	v_cmp_gt_i32_e32 vcc_lo, 32, v8
	v_cndmask_b32_e32 v8, v7, v8, vcc_lo
	v_cmp_gt_i32_e32 vcc_lo, 32, v10
	v_lshlrev_b32_e32 v8, 2, v8
	v_cndmask_b32_e32 v10, v7, v10, vcc_lo
	v_cmp_gt_i32_e32 vcc_lo, 32, v12
	ds_bpermute_b32 v9, v8, v15
	ds_bpermute_b32 v8, v8, v13
	v_lshlrev_b32_e32 v10, 2, v10
	v_cndmask_b32_e32 v12, v7, v12, vcc_lo
	v_lshlrev_b32_e32 v12, 2, v12
	s_waitcnt lgkmcnt(1)
	v_add_f32_e32 v9, v15, v9
	s_waitcnt lgkmcnt(0)
	v_add_f32_e32 v8, v13, v8
	ds_bpermute_b32 v11, v10, v9
	ds_bpermute_b32 v10, v10, v8
	s_waitcnt lgkmcnt(1)
	v_add_f32_e32 v9, v9, v11
	s_waitcnt lgkmcnt(0)
	v_add_f32_e32 v8, v8, v10
	ds_bpermute_b32 v10, v12, v9
	ds_bpermute_b32 v11, v12, v8
	v_xor_b32_e32 v12, 4, v7
	v_cmp_gt_i32_e32 vcc_lo, 32, v12
	v_cndmask_b32_e32 v12, v7, v12, vcc_lo
	v_lshlrev_b32_e32 v12, 2, v12
	s_waitcnt lgkmcnt(1)
	v_add_f32_e32 v9, v9, v10
	s_waitcnt lgkmcnt(0)
	v_add_f32_e32 v8, v8, v11
	ds_bpermute_b32 v10, v12, v9
	ds_bpermute_b32 v11, v12, v8
	v_xor_b32_e32 v12, 2, v7
	v_cmp_gt_i32_e32 vcc_lo, 32, v12
	v_cndmask_b32_e32 v12, v7, v12, vcc_lo
	v_lshlrev_b32_e32 v12, 2, v12
	s_waitcnt lgkmcnt(1)
	v_add_f32_e32 v9, v9, v10
	s_waitcnt lgkmcnt(0)
	v_add_f32_e32 v8, v8, v11
	ds_bpermute_b32 v10, v12, v9
	ds_bpermute_b32 v11, v12, v8
	v_xor_b32_e32 v12, 1, v7
	v_cmp_gt_i32_e32 vcc_lo, 32, v12
	v_cndmask_b32_e32 v7, v7, v12, vcc_lo
	v_cmp_eq_u32_e32 vcc_lo, 63, v0
	v_lshlrev_b32_e32 v12, 2, v7
	s_waitcnt lgkmcnt(1)
	v_add_f32_e32 v7, v9, v10
	s_waitcnt lgkmcnt(0)
	v_add_f32_e32 v9, v8, v11
	ds_bpermute_b32 v8, v12, v7
	ds_bpermute_b32 v10, v12, v9
	s_and_b32 exec_lo, exec_lo, vcc_lo
	s_cbranch_execz .LBB196_13
; %bb.9:
	s_waitcnt lgkmcnt(0)
	v_add_f32_e32 v0, v9, v10
	v_add_f32_e32 v9, v7, v8
	v_cmp_eq_f32_e32 vcc_lo, 0, v1
	v_cmp_eq_f32_e64 s0, 0, v2
	v_lshlrev_b64 v[5:6], 3, v[5:6]
	v_mul_f32_e64 v7, v0, -v4
	v_mul_f32_e32 v8, v3, v0
	s_and_b32 s0, vcc_lo, s0
	v_fmac_f32_e32 v7, v3, v9
	v_fmac_f32_e32 v8, v4, v9
	s_and_saveexec_b32 s1, s0
	s_xor_b32 s0, exec_lo, s1
	s_cbranch_execz .LBB196_11
; %bb.10:
	v_add_co_u32 v0, vcc_lo, s6, v5
	v_add_co_ci_u32_e64 v1, null, s7, v6, vcc_lo
                                        ; implicit-def: $vgpr5_vgpr6
	global_store_dwordx2 v[0:1], v[7:8], off
                                        ; implicit-def: $vgpr1_vgpr2
                                        ; implicit-def: $vgpr7
.LBB196_11:
	s_andn2_saveexec_b32 s0, s0
	s_cbranch_execz .LBB196_13
; %bb.12:
	v_add_co_u32 v3, vcc_lo, s6, v5
	v_add_co_ci_u32_e64 v4, null, s7, v6, vcc_lo
	global_load_dwordx2 v[5:6], v[3:4], off
	s_waitcnt vmcnt(0)
	v_fmac_f32_e32 v7, v1, v5
	v_fmac_f32_e32 v8, v2, v5
	v_fma_f32 v7, -v2, v6, v7
	v_fmac_f32_e32 v8, v1, v6
	global_store_dwordx2 v[3:4], v[7:8], off
.LBB196_13:
	s_endpgm
	.section	.rodata,"a",@progbits
	.p2align	6, 0x0
	.amdhsa_kernel _ZN9rocsparseL19gebsrmvn_1xn_kernelILj128ELj10ELj64E21rocsparse_complex_numIfEEEvi20rocsparse_direction_NS_24const_host_device_scalarIT2_EEPKiS8_PKS5_SA_S6_PS5_21rocsparse_index_base_b
		.amdhsa_group_segment_fixed_size 0
		.amdhsa_private_segment_fixed_size 0
		.amdhsa_kernarg_size 72
		.amdhsa_user_sgpr_count 6
		.amdhsa_user_sgpr_private_segment_buffer 1
		.amdhsa_user_sgpr_dispatch_ptr 0
		.amdhsa_user_sgpr_queue_ptr 0
		.amdhsa_user_sgpr_kernarg_segment_ptr 1
		.amdhsa_user_sgpr_dispatch_id 0
		.amdhsa_user_sgpr_flat_scratch_init 0
		.amdhsa_user_sgpr_private_segment_size 0
		.amdhsa_wavefront_size32 1
		.amdhsa_uses_dynamic_stack 0
		.amdhsa_system_sgpr_private_segment_wavefront_offset 0
		.amdhsa_system_sgpr_workgroup_id_x 1
		.amdhsa_system_sgpr_workgroup_id_y 0
		.amdhsa_system_sgpr_workgroup_id_z 0
		.amdhsa_system_sgpr_workgroup_info 0
		.amdhsa_system_vgpr_workitem_id 0
		.amdhsa_next_free_vgpr 54
		.amdhsa_next_free_sgpr 13
		.amdhsa_reserve_vcc 1
		.amdhsa_reserve_flat_scratch 0
		.amdhsa_float_round_mode_32 0
		.amdhsa_float_round_mode_16_64 0
		.amdhsa_float_denorm_mode_32 3
		.amdhsa_float_denorm_mode_16_64 3
		.amdhsa_dx10_clamp 1
		.amdhsa_ieee_mode 1
		.amdhsa_fp16_overflow 0
		.amdhsa_workgroup_processor_mode 1
		.amdhsa_memory_ordered 1
		.amdhsa_forward_progress 1
		.amdhsa_shared_vgpr_count 0
		.amdhsa_exception_fp_ieee_invalid_op 0
		.amdhsa_exception_fp_denorm_src 0
		.amdhsa_exception_fp_ieee_div_zero 0
		.amdhsa_exception_fp_ieee_overflow 0
		.amdhsa_exception_fp_ieee_underflow 0
		.amdhsa_exception_fp_ieee_inexact 0
		.amdhsa_exception_int_div_zero 0
	.end_amdhsa_kernel
	.section	.text._ZN9rocsparseL19gebsrmvn_1xn_kernelILj128ELj10ELj64E21rocsparse_complex_numIfEEEvi20rocsparse_direction_NS_24const_host_device_scalarIT2_EEPKiS8_PKS5_SA_S6_PS5_21rocsparse_index_base_b,"axG",@progbits,_ZN9rocsparseL19gebsrmvn_1xn_kernelILj128ELj10ELj64E21rocsparse_complex_numIfEEEvi20rocsparse_direction_NS_24const_host_device_scalarIT2_EEPKiS8_PKS5_SA_S6_PS5_21rocsparse_index_base_b,comdat
.Lfunc_end196:
	.size	_ZN9rocsparseL19gebsrmvn_1xn_kernelILj128ELj10ELj64E21rocsparse_complex_numIfEEEvi20rocsparse_direction_NS_24const_host_device_scalarIT2_EEPKiS8_PKS5_SA_S6_PS5_21rocsparse_index_base_b, .Lfunc_end196-_ZN9rocsparseL19gebsrmvn_1xn_kernelILj128ELj10ELj64E21rocsparse_complex_numIfEEEvi20rocsparse_direction_NS_24const_host_device_scalarIT2_EEPKiS8_PKS5_SA_S6_PS5_21rocsparse_index_base_b
                                        ; -- End function
	.set _ZN9rocsparseL19gebsrmvn_1xn_kernelILj128ELj10ELj64E21rocsparse_complex_numIfEEEvi20rocsparse_direction_NS_24const_host_device_scalarIT2_EEPKiS8_PKS5_SA_S6_PS5_21rocsparse_index_base_b.num_vgpr, 54
	.set _ZN9rocsparseL19gebsrmvn_1xn_kernelILj128ELj10ELj64E21rocsparse_complex_numIfEEEvi20rocsparse_direction_NS_24const_host_device_scalarIT2_EEPKiS8_PKS5_SA_S6_PS5_21rocsparse_index_base_b.num_agpr, 0
	.set _ZN9rocsparseL19gebsrmvn_1xn_kernelILj128ELj10ELj64E21rocsparse_complex_numIfEEEvi20rocsparse_direction_NS_24const_host_device_scalarIT2_EEPKiS8_PKS5_SA_S6_PS5_21rocsparse_index_base_b.numbered_sgpr, 13
	.set _ZN9rocsparseL19gebsrmvn_1xn_kernelILj128ELj10ELj64E21rocsparse_complex_numIfEEEvi20rocsparse_direction_NS_24const_host_device_scalarIT2_EEPKiS8_PKS5_SA_S6_PS5_21rocsparse_index_base_b.num_named_barrier, 0
	.set _ZN9rocsparseL19gebsrmvn_1xn_kernelILj128ELj10ELj64E21rocsparse_complex_numIfEEEvi20rocsparse_direction_NS_24const_host_device_scalarIT2_EEPKiS8_PKS5_SA_S6_PS5_21rocsparse_index_base_b.private_seg_size, 0
	.set _ZN9rocsparseL19gebsrmvn_1xn_kernelILj128ELj10ELj64E21rocsparse_complex_numIfEEEvi20rocsparse_direction_NS_24const_host_device_scalarIT2_EEPKiS8_PKS5_SA_S6_PS5_21rocsparse_index_base_b.uses_vcc, 1
	.set _ZN9rocsparseL19gebsrmvn_1xn_kernelILj128ELj10ELj64E21rocsparse_complex_numIfEEEvi20rocsparse_direction_NS_24const_host_device_scalarIT2_EEPKiS8_PKS5_SA_S6_PS5_21rocsparse_index_base_b.uses_flat_scratch, 0
	.set _ZN9rocsparseL19gebsrmvn_1xn_kernelILj128ELj10ELj64E21rocsparse_complex_numIfEEEvi20rocsparse_direction_NS_24const_host_device_scalarIT2_EEPKiS8_PKS5_SA_S6_PS5_21rocsparse_index_base_b.has_dyn_sized_stack, 0
	.set _ZN9rocsparseL19gebsrmvn_1xn_kernelILj128ELj10ELj64E21rocsparse_complex_numIfEEEvi20rocsparse_direction_NS_24const_host_device_scalarIT2_EEPKiS8_PKS5_SA_S6_PS5_21rocsparse_index_base_b.has_recursion, 0
	.set _ZN9rocsparseL19gebsrmvn_1xn_kernelILj128ELj10ELj64E21rocsparse_complex_numIfEEEvi20rocsparse_direction_NS_24const_host_device_scalarIT2_EEPKiS8_PKS5_SA_S6_PS5_21rocsparse_index_base_b.has_indirect_call, 0
	.section	.AMDGPU.csdata,"",@progbits
; Kernel info:
; codeLenInByte = 1648
; TotalNumSgprs: 15
; NumVgprs: 54
; ScratchSize: 0
; MemoryBound: 0
; FloatMode: 240
; IeeeMode: 1
; LDSByteSize: 0 bytes/workgroup (compile time only)
; SGPRBlocks: 0
; VGPRBlocks: 6
; NumSGPRsForWavesPerEU: 15
; NumVGPRsForWavesPerEU: 54
; Occupancy: 16
; WaveLimiterHint : 1
; COMPUTE_PGM_RSRC2:SCRATCH_EN: 0
; COMPUTE_PGM_RSRC2:USER_SGPR: 6
; COMPUTE_PGM_RSRC2:TRAP_HANDLER: 0
; COMPUTE_PGM_RSRC2:TGID_X_EN: 1
; COMPUTE_PGM_RSRC2:TGID_Y_EN: 0
; COMPUTE_PGM_RSRC2:TGID_Z_EN: 0
; COMPUTE_PGM_RSRC2:TIDIG_COMP_CNT: 0
	.section	.text._ZN9rocsparseL19gebsrmvn_1xn_kernelILj128ELj11ELj4E21rocsparse_complex_numIfEEEvi20rocsparse_direction_NS_24const_host_device_scalarIT2_EEPKiS8_PKS5_SA_S6_PS5_21rocsparse_index_base_b,"axG",@progbits,_ZN9rocsparseL19gebsrmvn_1xn_kernelILj128ELj11ELj4E21rocsparse_complex_numIfEEEvi20rocsparse_direction_NS_24const_host_device_scalarIT2_EEPKiS8_PKS5_SA_S6_PS5_21rocsparse_index_base_b,comdat
	.globl	_ZN9rocsparseL19gebsrmvn_1xn_kernelILj128ELj11ELj4E21rocsparse_complex_numIfEEEvi20rocsparse_direction_NS_24const_host_device_scalarIT2_EEPKiS8_PKS5_SA_S6_PS5_21rocsparse_index_base_b ; -- Begin function _ZN9rocsparseL19gebsrmvn_1xn_kernelILj128ELj11ELj4E21rocsparse_complex_numIfEEEvi20rocsparse_direction_NS_24const_host_device_scalarIT2_EEPKiS8_PKS5_SA_S6_PS5_21rocsparse_index_base_b
	.p2align	8
	.type	_ZN9rocsparseL19gebsrmvn_1xn_kernelILj128ELj11ELj4E21rocsparse_complex_numIfEEEvi20rocsparse_direction_NS_24const_host_device_scalarIT2_EEPKiS8_PKS5_SA_S6_PS5_21rocsparse_index_base_b,@function
_ZN9rocsparseL19gebsrmvn_1xn_kernelILj128ELj11ELj4E21rocsparse_complex_numIfEEEvi20rocsparse_direction_NS_24const_host_device_scalarIT2_EEPKiS8_PKS5_SA_S6_PS5_21rocsparse_index_base_b: ; @_ZN9rocsparseL19gebsrmvn_1xn_kernelILj128ELj11ELj4E21rocsparse_complex_numIfEEEvi20rocsparse_direction_NS_24const_host_device_scalarIT2_EEPKiS8_PKS5_SA_S6_PS5_21rocsparse_index_base_b
; %bb.0:
	s_clause 0x2
	s_load_dwordx2 s[8:9], s[4:5], 0x40
	s_load_dwordx2 s[0:1], s[4:5], 0x8
	;; [unrolled: 1-line block ×3, first 2 shown]
	s_add_u32 s7, s4, 8
	s_addc_u32 s10, s5, 0
	s_add_u32 s11, s4, 48
	s_addc_u32 s12, s5, 0
	s_waitcnt lgkmcnt(0)
	s_bitcmp1_b32 s9, 0
	s_cselect_b32 s0, s7, s0
	s_cselect_b32 s1, s10, s1
	v_mov_b32_e32 v1, s0
	v_mov_b32_e32 v2, s1
	s_cselect_b32 s0, s11, s2
	s_cselect_b32 s1, s12, s3
	flat_load_dwordx2 v[3:4], v[1:2]
	v_mov_b32_e32 v1, s0
	v_mov_b32_e32 v2, s1
	flat_load_dwordx2 v[1:2], v[1:2]
	s_waitcnt vmcnt(1) lgkmcnt(1)
	v_cmp_eq_f32_e32 vcc_lo, 0, v3
	v_cmp_eq_f32_e64 s0, 0, v4
	s_and_b32 s2, vcc_lo, s0
	s_mov_b32 s0, -1
	s_and_saveexec_b32 s1, s2
	s_cbranch_execz .LBB197_2
; %bb.1:
	s_waitcnt vmcnt(0) lgkmcnt(0)
	v_cmp_neq_f32_e32 vcc_lo, 1.0, v1
	v_cmp_neq_f32_e64 s0, 0, v2
	s_or_b32 s0, vcc_lo, s0
	s_orn2_b32 s0, s0, exec_lo
.LBB197_2:
	s_or_b32 exec_lo, exec_lo, s1
	s_and_saveexec_b32 s1, s0
	s_cbranch_execz .LBB197_13
; %bb.3:
	s_load_dword s0, s[4:5], 0x0
	v_lshrrev_b32_e32 v5, 2, v0
	v_lshl_or_b32 v5, s6, 5, v5
	s_waitcnt lgkmcnt(0)
	v_cmp_gt_i32_e32 vcc_lo, s0, v5
	s_and_b32 exec_lo, exec_lo, vcc_lo
	s_cbranch_execz .LBB197_13
; %bb.4:
	s_clause 0x1
	s_load_dwordx2 s[0:1], s[4:5], 0x10
	s_load_dwordx2 s[6:7], s[4:5], 0x38
	v_ashrrev_i32_e32 v6, 31, v5
	v_and_b32_e32 v0, 3, v0
	v_mov_b32_e32 v13, 0
	v_mov_b32_e32 v15, 0
	s_mov_b32 s9, exec_lo
	v_lshlrev_b64 v[7:8], 2, v[5:6]
	v_subrev_nc_u32_e32 v9, s8, v0
	s_waitcnt lgkmcnt(0)
	v_add_co_u32 v7, vcc_lo, s0, v7
	v_add_co_ci_u32_e64 v8, null, s1, v8, vcc_lo
	global_load_dwordx2 v[7:8], v[7:8], off
	s_waitcnt vmcnt(0)
	v_subrev_nc_u32_e32 v14, s8, v8
	v_add_nc_u32_e32 v7, v7, v9
	v_cmpx_lt_i32_e64 v7, v14
	s_cbranch_execz .LBB197_8
; %bb.5:
	s_clause 0x1
	s_load_dwordx4 s[0:3], s[4:5], 0x18
	s_load_dwordx2 s[4:5], s[4:5], 0x28
	v_mad_u64_u32 v[9:10], null, v7, 11, 10
	v_mov_b32_e32 v12, 0
	v_mov_b32_e32 v13, 0
	;; [unrolled: 1-line block ×3, first 2 shown]
	s_mov_b32 s10, 0
.LBB197_6:                              ; =>This Inner Loop Header: Depth=1
	v_ashrrev_i32_e32 v8, 31, v7
	v_mov_b32_e32 v17, v12
	v_lshlrev_b64 v[10:11], 2, v[7:8]
	v_add_nc_u32_e32 v7, 4, v7
	s_waitcnt lgkmcnt(0)
	v_add_co_u32 v10, vcc_lo, s0, v10
	v_add_co_ci_u32_e64 v11, null, s1, v11, vcc_lo
	global_load_dword v8, v[10:11], off
	v_add_nc_u32_e32 v11, -10, v9
	v_mov_b32_e32 v10, v12
	v_lshlrev_b64 v[18:19], 3, v[11:12]
	v_add_nc_u32_e32 v11, -9, v9
	v_lshlrev_b64 v[20:21], 3, v[9:10]
	v_lshlrev_b64 v[10:11], 3, v[11:12]
	v_add_co_u32 v18, vcc_lo, s2, v18
	v_add_co_ci_u32_e64 v19, null, s3, v19, vcc_lo
	v_add_co_u32 v20, vcc_lo, s2, v20
	v_add_co_ci_u32_e64 v21, null, s3, v21, vcc_lo
	v_add_co_u32 v10, vcc_lo, s2, v10
	v_add_co_ci_u32_e64 v11, null, s3, v11, vcc_lo
	s_clause 0x1
	global_load_dwordx2 v[18:19], v[18:19], off
	global_load_dwordx2 v[22:23], v[10:11], off
	s_waitcnt vmcnt(2)
	v_subrev_nc_u32_e32 v8, s8, v8
	v_mul_lo_u32 v16, v8, 11
	v_lshlrev_b64 v[24:25], 3, v[16:17]
	v_add_nc_u32_e32 v11, 1, v16
	v_lshlrev_b64 v[26:27], 3, v[11:12]
	v_add_co_u32 v24, vcc_lo, s4, v24
	v_add_co_ci_u32_e64 v25, null, s5, v25, vcc_lo
	v_add_nc_u32_e32 v11, -8, v9
	v_add_co_u32 v26, vcc_lo, s4, v26
	global_load_dwordx2 v[24:25], v[24:25], off
	v_add_co_ci_u32_e64 v27, null, s5, v27, vcc_lo
	v_lshlrev_b64 v[28:29], 3, v[11:12]
	v_add_nc_u32_e32 v11, 2, v16
	global_load_dwordx2 v[26:27], v[26:27], off
	v_lshlrev_b64 v[30:31], 3, v[11:12]
	v_add_nc_u32_e32 v11, -7, v9
	v_add_co_u32 v28, vcc_lo, s2, v28
	v_add_co_ci_u32_e64 v29, null, s3, v29, vcc_lo
	v_lshlrev_b64 v[32:33], 3, v[11:12]
	v_add_nc_u32_e32 v11, 3, v16
	v_add_co_u32 v30, vcc_lo, s4, v30
	v_add_co_ci_u32_e64 v31, null, s5, v31, vcc_lo
	v_lshlrev_b64 v[34:35], 3, v[11:12]
	v_add_nc_u32_e32 v11, -6, v9
	global_load_dwordx2 v[28:29], v[28:29], off
	global_load_dwordx2 v[30:31], v[30:31], off
	v_add_co_u32 v32, vcc_lo, s2, v32
	v_lshlrev_b64 v[36:37], 3, v[11:12]
	v_add_nc_u32_e32 v11, 4, v16
	v_add_co_ci_u32_e64 v33, null, s3, v33, vcc_lo
	v_add_co_u32 v34, vcc_lo, s4, v34
	v_add_co_ci_u32_e64 v35, null, s5, v35, vcc_lo
	v_lshlrev_b64 v[38:39], 3, v[11:12]
	v_add_nc_u32_e32 v11, -5, v9
	global_load_dwordx2 v[32:33], v[32:33], off
	global_load_dwordx2 v[34:35], v[34:35], off
	v_add_co_u32 v36, vcc_lo, s2, v36
	v_lshlrev_b64 v[40:41], 3, v[11:12]
	v_add_nc_u32_e32 v11, 5, v16
	v_add_co_ci_u32_e64 v37, null, s3, v37, vcc_lo
	;; [unrolled: 10-line block ×5, first 2 shown]
	v_add_co_u32 v50, vcc_lo, s4, v50
	v_add_co_ci_u32_e64 v51, null, s5, v51, vcc_lo
	v_lshlrev_b64 v[54:55], 3, v[11:12]
	v_add_nc_u32_e32 v11, -1, v9
	global_load_dwordx2 v[48:49], v[48:49], off
	global_load_dwordx2 v[50:51], v[50:51], off
	v_add_co_u32 v52, vcc_lo, s2, v52
	v_add_co_ci_u32_e64 v53, null, s3, v53, vcc_lo
	v_lshlrev_b64 v[56:57], 3, v[11:12]
	v_add_nc_u32_e32 v11, 9, v16
	v_add_co_u32 v54, vcc_lo, s4, v54
	v_add_co_ci_u32_e64 v55, null, s5, v55, vcc_lo
	v_lshlrev_b64 v[58:59], 3, v[11:12]
	global_load_dwordx2 v[52:53], v[52:53], off
	v_add_nc_u32_e32 v11, 10, v16
	global_load_dwordx2 v[16:17], v[54:55], off
	v_add_co_u32 v54, vcc_lo, s2, v56
	v_add_co_ci_u32_e64 v55, null, s3, v57, vcc_lo
	v_add_co_u32 v56, vcc_lo, s4, v58
	v_add_co_ci_u32_e64 v57, null, s5, v59, vcc_lo
	v_lshlrev_b64 v[10:11], 3, v[11:12]
	global_load_dwordx2 v[54:55], v[54:55], off
	global_load_dwordx2 v[56:57], v[56:57], off
	v_add_nc_u32_e32 v9, 44, v9
	v_add_co_u32 v10, vcc_lo, s4, v10
	v_add_co_ci_u32_e64 v11, null, s5, v11, vcc_lo
	global_load_dwordx2 v[20:21], v[20:21], off
	global_load_dwordx2 v[10:11], v[10:11], off
	v_cmp_ge_i32_e32 vcc_lo, v7, v14
	s_or_b32 s10, vcc_lo, s10
	s_waitcnt vmcnt(19)
	v_fmac_f32_e32 v15, v18, v24
	v_fmac_f32_e32 v13, v19, v24
	v_fma_f32 v8, -v19, v25, v15
	v_fmac_f32_e32 v13, v18, v25
	s_waitcnt vmcnt(18)
	v_fmac_f32_e32 v8, v22, v26
	v_fmac_f32_e32 v13, v23, v26
	v_fma_f32 v8, -v23, v27, v8
	v_fmac_f32_e32 v13, v22, v27
	;; [unrolled: 5-line block ×11, first 2 shown]
	s_andn2_b32 exec_lo, exec_lo, s10
	s_cbranch_execnz .LBB197_6
; %bb.7:
	s_or_b32 exec_lo, exec_lo, s10
.LBB197_8:
	s_or_b32 exec_lo, exec_lo, s9
	v_mbcnt_lo_u32_b32 v7, -1, 0
	v_xor_b32_e32 v8, 2, v7
	v_xor_b32_e32 v10, 1, v7
	v_cmp_gt_i32_e32 vcc_lo, 32, v8
	v_cndmask_b32_e32 v8, v7, v8, vcc_lo
	v_cmp_gt_i32_e32 vcc_lo, 32, v10
	v_lshlrev_b32_e32 v8, 2, v8
	v_cndmask_b32_e32 v7, v7, v10, vcc_lo
	v_cmp_eq_u32_e32 vcc_lo, 3, v0
	ds_bpermute_b32 v9, v8, v15
	ds_bpermute_b32 v8, v8, v13
	v_lshlrev_b32_e32 v10, 2, v7
	s_waitcnt lgkmcnt(1)
	v_add_f32_e32 v7, v15, v9
	s_waitcnt lgkmcnt(0)
	v_add_f32_e32 v9, v13, v8
	ds_bpermute_b32 v8, v10, v7
	ds_bpermute_b32 v10, v10, v9
	s_and_b32 exec_lo, exec_lo, vcc_lo
	s_cbranch_execz .LBB197_13
; %bb.9:
	s_waitcnt lgkmcnt(0)
	v_add_f32_e32 v0, v9, v10
	v_add_f32_e32 v9, v7, v8
	v_cmp_eq_f32_e32 vcc_lo, 0, v1
	v_cmp_eq_f32_e64 s0, 0, v2
	v_lshlrev_b64 v[5:6], 3, v[5:6]
	v_mul_f32_e64 v7, v0, -v4
	v_mul_f32_e32 v8, v3, v0
	s_and_b32 s0, vcc_lo, s0
	v_fmac_f32_e32 v7, v3, v9
	v_fmac_f32_e32 v8, v4, v9
	s_and_saveexec_b32 s1, s0
	s_xor_b32 s0, exec_lo, s1
	s_cbranch_execz .LBB197_11
; %bb.10:
	v_add_co_u32 v0, vcc_lo, s6, v5
	v_add_co_ci_u32_e64 v1, null, s7, v6, vcc_lo
                                        ; implicit-def: $vgpr5_vgpr6
	global_store_dwordx2 v[0:1], v[7:8], off
                                        ; implicit-def: $vgpr1_vgpr2
                                        ; implicit-def: $vgpr7
.LBB197_11:
	s_andn2_saveexec_b32 s0, s0
	s_cbranch_execz .LBB197_13
; %bb.12:
	v_add_co_u32 v3, vcc_lo, s6, v5
	v_add_co_ci_u32_e64 v4, null, s7, v6, vcc_lo
	global_load_dwordx2 v[5:6], v[3:4], off
	s_waitcnt vmcnt(0)
	v_fmac_f32_e32 v7, v1, v5
	v_fmac_f32_e32 v8, v2, v5
	v_fma_f32 v7, -v2, v6, v7
	v_fmac_f32_e32 v8, v1, v6
	global_store_dwordx2 v[3:4], v[7:8], off
.LBB197_13:
	s_endpgm
	.section	.rodata,"a",@progbits
	.p2align	6, 0x0
	.amdhsa_kernel _ZN9rocsparseL19gebsrmvn_1xn_kernelILj128ELj11ELj4E21rocsparse_complex_numIfEEEvi20rocsparse_direction_NS_24const_host_device_scalarIT2_EEPKiS8_PKS5_SA_S6_PS5_21rocsparse_index_base_b
		.amdhsa_group_segment_fixed_size 0
		.amdhsa_private_segment_fixed_size 0
		.amdhsa_kernarg_size 72
		.amdhsa_user_sgpr_count 6
		.amdhsa_user_sgpr_private_segment_buffer 1
		.amdhsa_user_sgpr_dispatch_ptr 0
		.amdhsa_user_sgpr_queue_ptr 0
		.amdhsa_user_sgpr_kernarg_segment_ptr 1
		.amdhsa_user_sgpr_dispatch_id 0
		.amdhsa_user_sgpr_flat_scratch_init 0
		.amdhsa_user_sgpr_private_segment_size 0
		.amdhsa_wavefront_size32 1
		.amdhsa_uses_dynamic_stack 0
		.amdhsa_system_sgpr_private_segment_wavefront_offset 0
		.amdhsa_system_sgpr_workgroup_id_x 1
		.amdhsa_system_sgpr_workgroup_id_y 0
		.amdhsa_system_sgpr_workgroup_id_z 0
		.amdhsa_system_sgpr_workgroup_info 0
		.amdhsa_system_vgpr_workitem_id 0
		.amdhsa_next_free_vgpr 60
		.amdhsa_next_free_sgpr 13
		.amdhsa_reserve_vcc 1
		.amdhsa_reserve_flat_scratch 0
		.amdhsa_float_round_mode_32 0
		.amdhsa_float_round_mode_16_64 0
		.amdhsa_float_denorm_mode_32 3
		.amdhsa_float_denorm_mode_16_64 3
		.amdhsa_dx10_clamp 1
		.amdhsa_ieee_mode 1
		.amdhsa_fp16_overflow 0
		.amdhsa_workgroup_processor_mode 1
		.amdhsa_memory_ordered 1
		.amdhsa_forward_progress 1
		.amdhsa_shared_vgpr_count 0
		.amdhsa_exception_fp_ieee_invalid_op 0
		.amdhsa_exception_fp_denorm_src 0
		.amdhsa_exception_fp_ieee_div_zero 0
		.amdhsa_exception_fp_ieee_overflow 0
		.amdhsa_exception_fp_ieee_underflow 0
		.amdhsa_exception_fp_ieee_inexact 0
		.amdhsa_exception_int_div_zero 0
	.end_amdhsa_kernel
	.section	.text._ZN9rocsparseL19gebsrmvn_1xn_kernelILj128ELj11ELj4E21rocsparse_complex_numIfEEEvi20rocsparse_direction_NS_24const_host_device_scalarIT2_EEPKiS8_PKS5_SA_S6_PS5_21rocsparse_index_base_b,"axG",@progbits,_ZN9rocsparseL19gebsrmvn_1xn_kernelILj128ELj11ELj4E21rocsparse_complex_numIfEEEvi20rocsparse_direction_NS_24const_host_device_scalarIT2_EEPKiS8_PKS5_SA_S6_PS5_21rocsparse_index_base_b,comdat
.Lfunc_end197:
	.size	_ZN9rocsparseL19gebsrmvn_1xn_kernelILj128ELj11ELj4E21rocsparse_complex_numIfEEEvi20rocsparse_direction_NS_24const_host_device_scalarIT2_EEPKiS8_PKS5_SA_S6_PS5_21rocsparse_index_base_b, .Lfunc_end197-_ZN9rocsparseL19gebsrmvn_1xn_kernelILj128ELj11ELj4E21rocsparse_complex_numIfEEEvi20rocsparse_direction_NS_24const_host_device_scalarIT2_EEPKiS8_PKS5_SA_S6_PS5_21rocsparse_index_base_b
                                        ; -- End function
	.set _ZN9rocsparseL19gebsrmvn_1xn_kernelILj128ELj11ELj4E21rocsparse_complex_numIfEEEvi20rocsparse_direction_NS_24const_host_device_scalarIT2_EEPKiS8_PKS5_SA_S6_PS5_21rocsparse_index_base_b.num_vgpr, 60
	.set _ZN9rocsparseL19gebsrmvn_1xn_kernelILj128ELj11ELj4E21rocsparse_complex_numIfEEEvi20rocsparse_direction_NS_24const_host_device_scalarIT2_EEPKiS8_PKS5_SA_S6_PS5_21rocsparse_index_base_b.num_agpr, 0
	.set _ZN9rocsparseL19gebsrmvn_1xn_kernelILj128ELj11ELj4E21rocsparse_complex_numIfEEEvi20rocsparse_direction_NS_24const_host_device_scalarIT2_EEPKiS8_PKS5_SA_S6_PS5_21rocsparse_index_base_b.numbered_sgpr, 13
	.set _ZN9rocsparseL19gebsrmvn_1xn_kernelILj128ELj11ELj4E21rocsparse_complex_numIfEEEvi20rocsparse_direction_NS_24const_host_device_scalarIT2_EEPKiS8_PKS5_SA_S6_PS5_21rocsparse_index_base_b.num_named_barrier, 0
	.set _ZN9rocsparseL19gebsrmvn_1xn_kernelILj128ELj11ELj4E21rocsparse_complex_numIfEEEvi20rocsparse_direction_NS_24const_host_device_scalarIT2_EEPKiS8_PKS5_SA_S6_PS5_21rocsparse_index_base_b.private_seg_size, 0
	.set _ZN9rocsparseL19gebsrmvn_1xn_kernelILj128ELj11ELj4E21rocsparse_complex_numIfEEEvi20rocsparse_direction_NS_24const_host_device_scalarIT2_EEPKiS8_PKS5_SA_S6_PS5_21rocsparse_index_base_b.uses_vcc, 1
	.set _ZN9rocsparseL19gebsrmvn_1xn_kernelILj128ELj11ELj4E21rocsparse_complex_numIfEEEvi20rocsparse_direction_NS_24const_host_device_scalarIT2_EEPKiS8_PKS5_SA_S6_PS5_21rocsparse_index_base_b.uses_flat_scratch, 0
	.set _ZN9rocsparseL19gebsrmvn_1xn_kernelILj128ELj11ELj4E21rocsparse_complex_numIfEEEvi20rocsparse_direction_NS_24const_host_device_scalarIT2_EEPKiS8_PKS5_SA_S6_PS5_21rocsparse_index_base_b.has_dyn_sized_stack, 0
	.set _ZN9rocsparseL19gebsrmvn_1xn_kernelILj128ELj11ELj4E21rocsparse_complex_numIfEEEvi20rocsparse_direction_NS_24const_host_device_scalarIT2_EEPKiS8_PKS5_SA_S6_PS5_21rocsparse_index_base_b.has_recursion, 0
	.set _ZN9rocsparseL19gebsrmvn_1xn_kernelILj128ELj11ELj4E21rocsparse_complex_numIfEEEvi20rocsparse_direction_NS_24const_host_device_scalarIT2_EEPKiS8_PKS5_SA_S6_PS5_21rocsparse_index_base_b.has_indirect_call, 0
	.section	.AMDGPU.csdata,"",@progbits
; Kernel info:
; codeLenInByte = 1760
; TotalNumSgprs: 15
; NumVgprs: 60
; ScratchSize: 0
; MemoryBound: 0
; FloatMode: 240
; IeeeMode: 1
; LDSByteSize: 0 bytes/workgroup (compile time only)
; SGPRBlocks: 0
; VGPRBlocks: 7
; NumSGPRsForWavesPerEU: 15
; NumVGPRsForWavesPerEU: 60
; Occupancy: 16
; WaveLimiterHint : 1
; COMPUTE_PGM_RSRC2:SCRATCH_EN: 0
; COMPUTE_PGM_RSRC2:USER_SGPR: 6
; COMPUTE_PGM_RSRC2:TRAP_HANDLER: 0
; COMPUTE_PGM_RSRC2:TGID_X_EN: 1
; COMPUTE_PGM_RSRC2:TGID_Y_EN: 0
; COMPUTE_PGM_RSRC2:TGID_Z_EN: 0
; COMPUTE_PGM_RSRC2:TIDIG_COMP_CNT: 0
	.section	.text._ZN9rocsparseL19gebsrmvn_1xn_kernelILj128ELj11ELj8E21rocsparse_complex_numIfEEEvi20rocsparse_direction_NS_24const_host_device_scalarIT2_EEPKiS8_PKS5_SA_S6_PS5_21rocsparse_index_base_b,"axG",@progbits,_ZN9rocsparseL19gebsrmvn_1xn_kernelILj128ELj11ELj8E21rocsparse_complex_numIfEEEvi20rocsparse_direction_NS_24const_host_device_scalarIT2_EEPKiS8_PKS5_SA_S6_PS5_21rocsparse_index_base_b,comdat
	.globl	_ZN9rocsparseL19gebsrmvn_1xn_kernelILj128ELj11ELj8E21rocsparse_complex_numIfEEEvi20rocsparse_direction_NS_24const_host_device_scalarIT2_EEPKiS8_PKS5_SA_S6_PS5_21rocsparse_index_base_b ; -- Begin function _ZN9rocsparseL19gebsrmvn_1xn_kernelILj128ELj11ELj8E21rocsparse_complex_numIfEEEvi20rocsparse_direction_NS_24const_host_device_scalarIT2_EEPKiS8_PKS5_SA_S6_PS5_21rocsparse_index_base_b
	.p2align	8
	.type	_ZN9rocsparseL19gebsrmvn_1xn_kernelILj128ELj11ELj8E21rocsparse_complex_numIfEEEvi20rocsparse_direction_NS_24const_host_device_scalarIT2_EEPKiS8_PKS5_SA_S6_PS5_21rocsparse_index_base_b,@function
_ZN9rocsparseL19gebsrmvn_1xn_kernelILj128ELj11ELj8E21rocsparse_complex_numIfEEEvi20rocsparse_direction_NS_24const_host_device_scalarIT2_EEPKiS8_PKS5_SA_S6_PS5_21rocsparse_index_base_b: ; @_ZN9rocsparseL19gebsrmvn_1xn_kernelILj128ELj11ELj8E21rocsparse_complex_numIfEEEvi20rocsparse_direction_NS_24const_host_device_scalarIT2_EEPKiS8_PKS5_SA_S6_PS5_21rocsparse_index_base_b
; %bb.0:
	s_clause 0x2
	s_load_dwordx2 s[8:9], s[4:5], 0x40
	s_load_dwordx2 s[0:1], s[4:5], 0x8
	;; [unrolled: 1-line block ×3, first 2 shown]
	s_add_u32 s7, s4, 8
	s_addc_u32 s10, s5, 0
	s_add_u32 s11, s4, 48
	s_addc_u32 s12, s5, 0
	s_waitcnt lgkmcnt(0)
	s_bitcmp1_b32 s9, 0
	s_cselect_b32 s0, s7, s0
	s_cselect_b32 s1, s10, s1
	v_mov_b32_e32 v1, s0
	v_mov_b32_e32 v2, s1
	s_cselect_b32 s0, s11, s2
	s_cselect_b32 s1, s12, s3
	flat_load_dwordx2 v[3:4], v[1:2]
	v_mov_b32_e32 v1, s0
	v_mov_b32_e32 v2, s1
	flat_load_dwordx2 v[1:2], v[1:2]
	s_waitcnt vmcnt(1) lgkmcnt(1)
	v_cmp_eq_f32_e32 vcc_lo, 0, v3
	v_cmp_eq_f32_e64 s0, 0, v4
	s_and_b32 s2, vcc_lo, s0
	s_mov_b32 s0, -1
	s_and_saveexec_b32 s1, s2
	s_cbranch_execz .LBB198_2
; %bb.1:
	s_waitcnt vmcnt(0) lgkmcnt(0)
	v_cmp_neq_f32_e32 vcc_lo, 1.0, v1
	v_cmp_neq_f32_e64 s0, 0, v2
	s_or_b32 s0, vcc_lo, s0
	s_orn2_b32 s0, s0, exec_lo
.LBB198_2:
	s_or_b32 exec_lo, exec_lo, s1
	s_and_saveexec_b32 s1, s0
	s_cbranch_execz .LBB198_13
; %bb.3:
	s_load_dword s0, s[4:5], 0x0
	v_lshrrev_b32_e32 v5, 3, v0
	v_lshl_or_b32 v5, s6, 4, v5
	s_waitcnt lgkmcnt(0)
	v_cmp_gt_i32_e32 vcc_lo, s0, v5
	s_and_b32 exec_lo, exec_lo, vcc_lo
	s_cbranch_execz .LBB198_13
; %bb.4:
	s_clause 0x1
	s_load_dwordx2 s[0:1], s[4:5], 0x10
	s_load_dwordx2 s[6:7], s[4:5], 0x38
	v_ashrrev_i32_e32 v6, 31, v5
	v_and_b32_e32 v0, 7, v0
	v_mov_b32_e32 v13, 0
	v_mov_b32_e32 v15, 0
	s_mov_b32 s9, exec_lo
	v_lshlrev_b64 v[7:8], 2, v[5:6]
	v_subrev_nc_u32_e32 v9, s8, v0
	s_waitcnt lgkmcnt(0)
	v_add_co_u32 v7, vcc_lo, s0, v7
	v_add_co_ci_u32_e64 v8, null, s1, v8, vcc_lo
	global_load_dwordx2 v[7:8], v[7:8], off
	s_waitcnt vmcnt(0)
	v_subrev_nc_u32_e32 v14, s8, v8
	v_add_nc_u32_e32 v7, v7, v9
	v_cmpx_lt_i32_e64 v7, v14
	s_cbranch_execz .LBB198_8
; %bb.5:
	s_clause 0x1
	s_load_dwordx4 s[0:3], s[4:5], 0x18
	s_load_dwordx2 s[4:5], s[4:5], 0x28
	v_mad_u64_u32 v[9:10], null, v7, 11, 10
	v_mov_b32_e32 v12, 0
	v_mov_b32_e32 v13, 0
	;; [unrolled: 1-line block ×3, first 2 shown]
	s_mov_b32 s10, 0
.LBB198_6:                              ; =>This Inner Loop Header: Depth=1
	v_ashrrev_i32_e32 v8, 31, v7
	v_mov_b32_e32 v17, v12
	v_lshlrev_b64 v[10:11], 2, v[7:8]
	v_add_nc_u32_e32 v7, 8, v7
	s_waitcnt lgkmcnt(0)
	v_add_co_u32 v10, vcc_lo, s0, v10
	v_add_co_ci_u32_e64 v11, null, s1, v11, vcc_lo
	global_load_dword v8, v[10:11], off
	v_add_nc_u32_e32 v11, -10, v9
	v_mov_b32_e32 v10, v12
	v_lshlrev_b64 v[18:19], 3, v[11:12]
	v_add_nc_u32_e32 v11, -9, v9
	v_lshlrev_b64 v[20:21], 3, v[9:10]
	v_lshlrev_b64 v[10:11], 3, v[11:12]
	v_add_co_u32 v18, vcc_lo, s2, v18
	v_add_co_ci_u32_e64 v19, null, s3, v19, vcc_lo
	v_add_co_u32 v20, vcc_lo, s2, v20
	v_add_co_ci_u32_e64 v21, null, s3, v21, vcc_lo
	;; [unrolled: 2-line block ×3, first 2 shown]
	s_clause 0x1
	global_load_dwordx2 v[18:19], v[18:19], off
	global_load_dwordx2 v[22:23], v[10:11], off
	s_waitcnt vmcnt(2)
	v_subrev_nc_u32_e32 v8, s8, v8
	v_mul_lo_u32 v16, v8, 11
	v_lshlrev_b64 v[24:25], 3, v[16:17]
	v_add_nc_u32_e32 v11, 1, v16
	v_lshlrev_b64 v[26:27], 3, v[11:12]
	v_add_co_u32 v24, vcc_lo, s4, v24
	v_add_co_ci_u32_e64 v25, null, s5, v25, vcc_lo
	v_add_nc_u32_e32 v11, -8, v9
	v_add_co_u32 v26, vcc_lo, s4, v26
	global_load_dwordx2 v[24:25], v[24:25], off
	v_add_co_ci_u32_e64 v27, null, s5, v27, vcc_lo
	v_lshlrev_b64 v[28:29], 3, v[11:12]
	v_add_nc_u32_e32 v11, 2, v16
	global_load_dwordx2 v[26:27], v[26:27], off
	v_lshlrev_b64 v[30:31], 3, v[11:12]
	v_add_nc_u32_e32 v11, -7, v9
	v_add_co_u32 v28, vcc_lo, s2, v28
	v_add_co_ci_u32_e64 v29, null, s3, v29, vcc_lo
	v_lshlrev_b64 v[32:33], 3, v[11:12]
	v_add_nc_u32_e32 v11, 3, v16
	v_add_co_u32 v30, vcc_lo, s4, v30
	v_add_co_ci_u32_e64 v31, null, s5, v31, vcc_lo
	v_lshlrev_b64 v[34:35], 3, v[11:12]
	v_add_nc_u32_e32 v11, -6, v9
	global_load_dwordx2 v[28:29], v[28:29], off
	global_load_dwordx2 v[30:31], v[30:31], off
	v_add_co_u32 v32, vcc_lo, s2, v32
	v_lshlrev_b64 v[36:37], 3, v[11:12]
	v_add_nc_u32_e32 v11, 4, v16
	v_add_co_ci_u32_e64 v33, null, s3, v33, vcc_lo
	v_add_co_u32 v34, vcc_lo, s4, v34
	v_add_co_ci_u32_e64 v35, null, s5, v35, vcc_lo
	v_lshlrev_b64 v[38:39], 3, v[11:12]
	v_add_nc_u32_e32 v11, -5, v9
	global_load_dwordx2 v[32:33], v[32:33], off
	global_load_dwordx2 v[34:35], v[34:35], off
	v_add_co_u32 v36, vcc_lo, s2, v36
	v_lshlrev_b64 v[40:41], 3, v[11:12]
	v_add_nc_u32_e32 v11, 5, v16
	v_add_co_ci_u32_e64 v37, null, s3, v37, vcc_lo
	;; [unrolled: 10-line block ×5, first 2 shown]
	v_add_co_u32 v50, vcc_lo, s4, v50
	v_add_co_ci_u32_e64 v51, null, s5, v51, vcc_lo
	v_lshlrev_b64 v[54:55], 3, v[11:12]
	v_add_nc_u32_e32 v11, -1, v9
	global_load_dwordx2 v[48:49], v[48:49], off
	global_load_dwordx2 v[50:51], v[50:51], off
	v_add_co_u32 v52, vcc_lo, s2, v52
	v_add_co_ci_u32_e64 v53, null, s3, v53, vcc_lo
	v_lshlrev_b64 v[56:57], 3, v[11:12]
	v_add_nc_u32_e32 v11, 9, v16
	v_add_co_u32 v54, vcc_lo, s4, v54
	v_add_co_ci_u32_e64 v55, null, s5, v55, vcc_lo
	v_lshlrev_b64 v[58:59], 3, v[11:12]
	global_load_dwordx2 v[52:53], v[52:53], off
	v_add_nc_u32_e32 v11, 10, v16
	global_load_dwordx2 v[16:17], v[54:55], off
	v_add_co_u32 v54, vcc_lo, s2, v56
	v_add_co_ci_u32_e64 v55, null, s3, v57, vcc_lo
	v_add_co_u32 v56, vcc_lo, s4, v58
	v_add_co_ci_u32_e64 v57, null, s5, v59, vcc_lo
	v_lshlrev_b64 v[10:11], 3, v[11:12]
	global_load_dwordx2 v[54:55], v[54:55], off
	global_load_dwordx2 v[56:57], v[56:57], off
	v_add_nc_u32_e32 v9, 0x58, v9
	v_add_co_u32 v10, vcc_lo, s4, v10
	v_add_co_ci_u32_e64 v11, null, s5, v11, vcc_lo
	global_load_dwordx2 v[20:21], v[20:21], off
	global_load_dwordx2 v[10:11], v[10:11], off
	v_cmp_ge_i32_e32 vcc_lo, v7, v14
	s_or_b32 s10, vcc_lo, s10
	s_waitcnt vmcnt(19)
	v_fmac_f32_e32 v15, v18, v24
	v_fmac_f32_e32 v13, v19, v24
	v_fma_f32 v8, -v19, v25, v15
	v_fmac_f32_e32 v13, v18, v25
	s_waitcnt vmcnt(18)
	v_fmac_f32_e32 v8, v22, v26
	v_fmac_f32_e32 v13, v23, v26
	v_fma_f32 v8, -v23, v27, v8
	v_fmac_f32_e32 v13, v22, v27
	;; [unrolled: 5-line block ×11, first 2 shown]
	s_andn2_b32 exec_lo, exec_lo, s10
	s_cbranch_execnz .LBB198_6
; %bb.7:
	s_or_b32 exec_lo, exec_lo, s10
.LBB198_8:
	s_or_b32 exec_lo, exec_lo, s9
	v_mbcnt_lo_u32_b32 v7, -1, 0
	v_xor_b32_e32 v8, 4, v7
	v_xor_b32_e32 v10, 2, v7
	;; [unrolled: 1-line block ×3, first 2 shown]
	v_cmp_gt_i32_e32 vcc_lo, 32, v8
	v_cndmask_b32_e32 v8, v7, v8, vcc_lo
	v_cmp_gt_i32_e32 vcc_lo, 32, v10
	v_lshlrev_b32_e32 v8, 2, v8
	v_cndmask_b32_e32 v10, v7, v10, vcc_lo
	v_cmp_gt_i32_e32 vcc_lo, 32, v12
	ds_bpermute_b32 v9, v8, v15
	ds_bpermute_b32 v8, v8, v13
	v_lshlrev_b32_e32 v10, 2, v10
	v_cndmask_b32_e32 v7, v7, v12, vcc_lo
	v_cmp_eq_u32_e32 vcc_lo, 7, v0
	v_lshlrev_b32_e32 v12, 2, v7
	s_waitcnt lgkmcnt(1)
	v_add_f32_e32 v9, v15, v9
	s_waitcnt lgkmcnt(0)
	v_add_f32_e32 v8, v13, v8
	ds_bpermute_b32 v11, v10, v9
	ds_bpermute_b32 v10, v10, v8
	s_waitcnt lgkmcnt(1)
	v_add_f32_e32 v7, v9, v11
	s_waitcnt lgkmcnt(0)
	v_add_f32_e32 v9, v8, v10
	ds_bpermute_b32 v8, v12, v7
	ds_bpermute_b32 v10, v12, v9
	s_and_b32 exec_lo, exec_lo, vcc_lo
	s_cbranch_execz .LBB198_13
; %bb.9:
	s_waitcnt lgkmcnt(0)
	v_add_f32_e32 v0, v9, v10
	v_add_f32_e32 v9, v7, v8
	v_cmp_eq_f32_e32 vcc_lo, 0, v1
	v_cmp_eq_f32_e64 s0, 0, v2
	v_lshlrev_b64 v[5:6], 3, v[5:6]
	v_mul_f32_e64 v7, v0, -v4
	v_mul_f32_e32 v8, v3, v0
	s_and_b32 s0, vcc_lo, s0
	v_fmac_f32_e32 v7, v3, v9
	v_fmac_f32_e32 v8, v4, v9
	s_and_saveexec_b32 s1, s0
	s_xor_b32 s0, exec_lo, s1
	s_cbranch_execz .LBB198_11
; %bb.10:
	v_add_co_u32 v0, vcc_lo, s6, v5
	v_add_co_ci_u32_e64 v1, null, s7, v6, vcc_lo
                                        ; implicit-def: $vgpr5_vgpr6
	global_store_dwordx2 v[0:1], v[7:8], off
                                        ; implicit-def: $vgpr1_vgpr2
                                        ; implicit-def: $vgpr7
.LBB198_11:
	s_andn2_saveexec_b32 s0, s0
	s_cbranch_execz .LBB198_13
; %bb.12:
	v_add_co_u32 v3, vcc_lo, s6, v5
	v_add_co_ci_u32_e64 v4, null, s7, v6, vcc_lo
	global_load_dwordx2 v[5:6], v[3:4], off
	s_waitcnt vmcnt(0)
	v_fmac_f32_e32 v7, v1, v5
	v_fmac_f32_e32 v8, v2, v5
	v_fma_f32 v7, -v2, v6, v7
	v_fmac_f32_e32 v8, v1, v6
	global_store_dwordx2 v[3:4], v[7:8], off
.LBB198_13:
	s_endpgm
	.section	.rodata,"a",@progbits
	.p2align	6, 0x0
	.amdhsa_kernel _ZN9rocsparseL19gebsrmvn_1xn_kernelILj128ELj11ELj8E21rocsparse_complex_numIfEEEvi20rocsparse_direction_NS_24const_host_device_scalarIT2_EEPKiS8_PKS5_SA_S6_PS5_21rocsparse_index_base_b
		.amdhsa_group_segment_fixed_size 0
		.amdhsa_private_segment_fixed_size 0
		.amdhsa_kernarg_size 72
		.amdhsa_user_sgpr_count 6
		.amdhsa_user_sgpr_private_segment_buffer 1
		.amdhsa_user_sgpr_dispatch_ptr 0
		.amdhsa_user_sgpr_queue_ptr 0
		.amdhsa_user_sgpr_kernarg_segment_ptr 1
		.amdhsa_user_sgpr_dispatch_id 0
		.amdhsa_user_sgpr_flat_scratch_init 0
		.amdhsa_user_sgpr_private_segment_size 0
		.amdhsa_wavefront_size32 1
		.amdhsa_uses_dynamic_stack 0
		.amdhsa_system_sgpr_private_segment_wavefront_offset 0
		.amdhsa_system_sgpr_workgroup_id_x 1
		.amdhsa_system_sgpr_workgroup_id_y 0
		.amdhsa_system_sgpr_workgroup_id_z 0
		.amdhsa_system_sgpr_workgroup_info 0
		.amdhsa_system_vgpr_workitem_id 0
		.amdhsa_next_free_vgpr 60
		.amdhsa_next_free_sgpr 13
		.amdhsa_reserve_vcc 1
		.amdhsa_reserve_flat_scratch 0
		.amdhsa_float_round_mode_32 0
		.amdhsa_float_round_mode_16_64 0
		.amdhsa_float_denorm_mode_32 3
		.amdhsa_float_denorm_mode_16_64 3
		.amdhsa_dx10_clamp 1
		.amdhsa_ieee_mode 1
		.amdhsa_fp16_overflow 0
		.amdhsa_workgroup_processor_mode 1
		.amdhsa_memory_ordered 1
		.amdhsa_forward_progress 1
		.amdhsa_shared_vgpr_count 0
		.amdhsa_exception_fp_ieee_invalid_op 0
		.amdhsa_exception_fp_denorm_src 0
		.amdhsa_exception_fp_ieee_div_zero 0
		.amdhsa_exception_fp_ieee_overflow 0
		.amdhsa_exception_fp_ieee_underflow 0
		.amdhsa_exception_fp_ieee_inexact 0
		.amdhsa_exception_int_div_zero 0
	.end_amdhsa_kernel
	.section	.text._ZN9rocsparseL19gebsrmvn_1xn_kernelILj128ELj11ELj8E21rocsparse_complex_numIfEEEvi20rocsparse_direction_NS_24const_host_device_scalarIT2_EEPKiS8_PKS5_SA_S6_PS5_21rocsparse_index_base_b,"axG",@progbits,_ZN9rocsparseL19gebsrmvn_1xn_kernelILj128ELj11ELj8E21rocsparse_complex_numIfEEEvi20rocsparse_direction_NS_24const_host_device_scalarIT2_EEPKiS8_PKS5_SA_S6_PS5_21rocsparse_index_base_b,comdat
.Lfunc_end198:
	.size	_ZN9rocsparseL19gebsrmvn_1xn_kernelILj128ELj11ELj8E21rocsparse_complex_numIfEEEvi20rocsparse_direction_NS_24const_host_device_scalarIT2_EEPKiS8_PKS5_SA_S6_PS5_21rocsparse_index_base_b, .Lfunc_end198-_ZN9rocsparseL19gebsrmvn_1xn_kernelILj128ELj11ELj8E21rocsparse_complex_numIfEEEvi20rocsparse_direction_NS_24const_host_device_scalarIT2_EEPKiS8_PKS5_SA_S6_PS5_21rocsparse_index_base_b
                                        ; -- End function
	.set _ZN9rocsparseL19gebsrmvn_1xn_kernelILj128ELj11ELj8E21rocsparse_complex_numIfEEEvi20rocsparse_direction_NS_24const_host_device_scalarIT2_EEPKiS8_PKS5_SA_S6_PS5_21rocsparse_index_base_b.num_vgpr, 60
	.set _ZN9rocsparseL19gebsrmvn_1xn_kernelILj128ELj11ELj8E21rocsparse_complex_numIfEEEvi20rocsparse_direction_NS_24const_host_device_scalarIT2_EEPKiS8_PKS5_SA_S6_PS5_21rocsparse_index_base_b.num_agpr, 0
	.set _ZN9rocsparseL19gebsrmvn_1xn_kernelILj128ELj11ELj8E21rocsparse_complex_numIfEEEvi20rocsparse_direction_NS_24const_host_device_scalarIT2_EEPKiS8_PKS5_SA_S6_PS5_21rocsparse_index_base_b.numbered_sgpr, 13
	.set _ZN9rocsparseL19gebsrmvn_1xn_kernelILj128ELj11ELj8E21rocsparse_complex_numIfEEEvi20rocsparse_direction_NS_24const_host_device_scalarIT2_EEPKiS8_PKS5_SA_S6_PS5_21rocsparse_index_base_b.num_named_barrier, 0
	.set _ZN9rocsparseL19gebsrmvn_1xn_kernelILj128ELj11ELj8E21rocsparse_complex_numIfEEEvi20rocsparse_direction_NS_24const_host_device_scalarIT2_EEPKiS8_PKS5_SA_S6_PS5_21rocsparse_index_base_b.private_seg_size, 0
	.set _ZN9rocsparseL19gebsrmvn_1xn_kernelILj128ELj11ELj8E21rocsparse_complex_numIfEEEvi20rocsparse_direction_NS_24const_host_device_scalarIT2_EEPKiS8_PKS5_SA_S6_PS5_21rocsparse_index_base_b.uses_vcc, 1
	.set _ZN9rocsparseL19gebsrmvn_1xn_kernelILj128ELj11ELj8E21rocsparse_complex_numIfEEEvi20rocsparse_direction_NS_24const_host_device_scalarIT2_EEPKiS8_PKS5_SA_S6_PS5_21rocsparse_index_base_b.uses_flat_scratch, 0
	.set _ZN9rocsparseL19gebsrmvn_1xn_kernelILj128ELj11ELj8E21rocsparse_complex_numIfEEEvi20rocsparse_direction_NS_24const_host_device_scalarIT2_EEPKiS8_PKS5_SA_S6_PS5_21rocsparse_index_base_b.has_dyn_sized_stack, 0
	.set _ZN9rocsparseL19gebsrmvn_1xn_kernelILj128ELj11ELj8E21rocsparse_complex_numIfEEEvi20rocsparse_direction_NS_24const_host_device_scalarIT2_EEPKiS8_PKS5_SA_S6_PS5_21rocsparse_index_base_b.has_recursion, 0
	.set _ZN9rocsparseL19gebsrmvn_1xn_kernelILj128ELj11ELj8E21rocsparse_complex_numIfEEEvi20rocsparse_direction_NS_24const_host_device_scalarIT2_EEPKiS8_PKS5_SA_S6_PS5_21rocsparse_index_base_b.has_indirect_call, 0
	.section	.AMDGPU.csdata,"",@progbits
; Kernel info:
; codeLenInByte = 1812
; TotalNumSgprs: 15
; NumVgprs: 60
; ScratchSize: 0
; MemoryBound: 0
; FloatMode: 240
; IeeeMode: 1
; LDSByteSize: 0 bytes/workgroup (compile time only)
; SGPRBlocks: 0
; VGPRBlocks: 7
; NumSGPRsForWavesPerEU: 15
; NumVGPRsForWavesPerEU: 60
; Occupancy: 16
; WaveLimiterHint : 1
; COMPUTE_PGM_RSRC2:SCRATCH_EN: 0
; COMPUTE_PGM_RSRC2:USER_SGPR: 6
; COMPUTE_PGM_RSRC2:TRAP_HANDLER: 0
; COMPUTE_PGM_RSRC2:TGID_X_EN: 1
; COMPUTE_PGM_RSRC2:TGID_Y_EN: 0
; COMPUTE_PGM_RSRC2:TGID_Z_EN: 0
; COMPUTE_PGM_RSRC2:TIDIG_COMP_CNT: 0
	.section	.text._ZN9rocsparseL19gebsrmvn_1xn_kernelILj128ELj11ELj16E21rocsparse_complex_numIfEEEvi20rocsparse_direction_NS_24const_host_device_scalarIT2_EEPKiS8_PKS5_SA_S6_PS5_21rocsparse_index_base_b,"axG",@progbits,_ZN9rocsparseL19gebsrmvn_1xn_kernelILj128ELj11ELj16E21rocsparse_complex_numIfEEEvi20rocsparse_direction_NS_24const_host_device_scalarIT2_EEPKiS8_PKS5_SA_S6_PS5_21rocsparse_index_base_b,comdat
	.globl	_ZN9rocsparseL19gebsrmvn_1xn_kernelILj128ELj11ELj16E21rocsparse_complex_numIfEEEvi20rocsparse_direction_NS_24const_host_device_scalarIT2_EEPKiS8_PKS5_SA_S6_PS5_21rocsparse_index_base_b ; -- Begin function _ZN9rocsparseL19gebsrmvn_1xn_kernelILj128ELj11ELj16E21rocsparse_complex_numIfEEEvi20rocsparse_direction_NS_24const_host_device_scalarIT2_EEPKiS8_PKS5_SA_S6_PS5_21rocsparse_index_base_b
	.p2align	8
	.type	_ZN9rocsparseL19gebsrmvn_1xn_kernelILj128ELj11ELj16E21rocsparse_complex_numIfEEEvi20rocsparse_direction_NS_24const_host_device_scalarIT2_EEPKiS8_PKS5_SA_S6_PS5_21rocsparse_index_base_b,@function
_ZN9rocsparseL19gebsrmvn_1xn_kernelILj128ELj11ELj16E21rocsparse_complex_numIfEEEvi20rocsparse_direction_NS_24const_host_device_scalarIT2_EEPKiS8_PKS5_SA_S6_PS5_21rocsparse_index_base_b: ; @_ZN9rocsparseL19gebsrmvn_1xn_kernelILj128ELj11ELj16E21rocsparse_complex_numIfEEEvi20rocsparse_direction_NS_24const_host_device_scalarIT2_EEPKiS8_PKS5_SA_S6_PS5_21rocsparse_index_base_b
; %bb.0:
	s_clause 0x2
	s_load_dwordx2 s[8:9], s[4:5], 0x40
	s_load_dwordx2 s[0:1], s[4:5], 0x8
	;; [unrolled: 1-line block ×3, first 2 shown]
	s_add_u32 s7, s4, 8
	s_addc_u32 s10, s5, 0
	s_add_u32 s11, s4, 48
	s_addc_u32 s12, s5, 0
	s_waitcnt lgkmcnt(0)
	s_bitcmp1_b32 s9, 0
	s_cselect_b32 s0, s7, s0
	s_cselect_b32 s1, s10, s1
	v_mov_b32_e32 v1, s0
	v_mov_b32_e32 v2, s1
	s_cselect_b32 s0, s11, s2
	s_cselect_b32 s1, s12, s3
	flat_load_dwordx2 v[3:4], v[1:2]
	v_mov_b32_e32 v1, s0
	v_mov_b32_e32 v2, s1
	flat_load_dwordx2 v[1:2], v[1:2]
	s_waitcnt vmcnt(1) lgkmcnt(1)
	v_cmp_eq_f32_e32 vcc_lo, 0, v3
	v_cmp_eq_f32_e64 s0, 0, v4
	s_and_b32 s2, vcc_lo, s0
	s_mov_b32 s0, -1
	s_and_saveexec_b32 s1, s2
	s_cbranch_execz .LBB199_2
; %bb.1:
	s_waitcnt vmcnt(0) lgkmcnt(0)
	v_cmp_neq_f32_e32 vcc_lo, 1.0, v1
	v_cmp_neq_f32_e64 s0, 0, v2
	s_or_b32 s0, vcc_lo, s0
	s_orn2_b32 s0, s0, exec_lo
.LBB199_2:
	s_or_b32 exec_lo, exec_lo, s1
	s_and_saveexec_b32 s1, s0
	s_cbranch_execz .LBB199_13
; %bb.3:
	s_load_dword s0, s[4:5], 0x0
	v_lshrrev_b32_e32 v5, 4, v0
	v_lshl_or_b32 v5, s6, 3, v5
	s_waitcnt lgkmcnt(0)
	v_cmp_gt_i32_e32 vcc_lo, s0, v5
	s_and_b32 exec_lo, exec_lo, vcc_lo
	s_cbranch_execz .LBB199_13
; %bb.4:
	s_clause 0x1
	s_load_dwordx2 s[0:1], s[4:5], 0x10
	s_load_dwordx2 s[6:7], s[4:5], 0x38
	v_ashrrev_i32_e32 v6, 31, v5
	v_and_b32_e32 v0, 15, v0
	v_mov_b32_e32 v13, 0
	v_mov_b32_e32 v15, 0
	s_mov_b32 s9, exec_lo
	v_lshlrev_b64 v[7:8], 2, v[5:6]
	v_subrev_nc_u32_e32 v9, s8, v0
	s_waitcnt lgkmcnt(0)
	v_add_co_u32 v7, vcc_lo, s0, v7
	v_add_co_ci_u32_e64 v8, null, s1, v8, vcc_lo
	global_load_dwordx2 v[7:8], v[7:8], off
	s_waitcnt vmcnt(0)
	v_subrev_nc_u32_e32 v14, s8, v8
	v_add_nc_u32_e32 v7, v7, v9
	v_cmpx_lt_i32_e64 v7, v14
	s_cbranch_execz .LBB199_8
; %bb.5:
	s_clause 0x1
	s_load_dwordx4 s[0:3], s[4:5], 0x18
	s_load_dwordx2 s[4:5], s[4:5], 0x28
	v_mad_u64_u32 v[9:10], null, v7, 11, 10
	v_mov_b32_e32 v12, 0
	v_mov_b32_e32 v13, 0
	;; [unrolled: 1-line block ×3, first 2 shown]
	s_mov_b32 s10, 0
.LBB199_6:                              ; =>This Inner Loop Header: Depth=1
	v_ashrrev_i32_e32 v8, 31, v7
	v_mov_b32_e32 v17, v12
	v_lshlrev_b64 v[10:11], 2, v[7:8]
	v_add_nc_u32_e32 v7, 16, v7
	s_waitcnt lgkmcnt(0)
	v_add_co_u32 v10, vcc_lo, s0, v10
	v_add_co_ci_u32_e64 v11, null, s1, v11, vcc_lo
	global_load_dword v8, v[10:11], off
	v_add_nc_u32_e32 v11, -10, v9
	v_mov_b32_e32 v10, v12
	v_lshlrev_b64 v[18:19], 3, v[11:12]
	v_add_nc_u32_e32 v11, -9, v9
	v_lshlrev_b64 v[20:21], 3, v[9:10]
	v_lshlrev_b64 v[10:11], 3, v[11:12]
	v_add_co_u32 v18, vcc_lo, s2, v18
	v_add_co_ci_u32_e64 v19, null, s3, v19, vcc_lo
	v_add_co_u32 v20, vcc_lo, s2, v20
	v_add_co_ci_u32_e64 v21, null, s3, v21, vcc_lo
	;; [unrolled: 2-line block ×3, first 2 shown]
	s_clause 0x1
	global_load_dwordx2 v[18:19], v[18:19], off
	global_load_dwordx2 v[22:23], v[10:11], off
	s_waitcnt vmcnt(2)
	v_subrev_nc_u32_e32 v8, s8, v8
	v_mul_lo_u32 v16, v8, 11
	v_lshlrev_b64 v[24:25], 3, v[16:17]
	v_add_nc_u32_e32 v11, 1, v16
	v_lshlrev_b64 v[26:27], 3, v[11:12]
	v_add_co_u32 v24, vcc_lo, s4, v24
	v_add_co_ci_u32_e64 v25, null, s5, v25, vcc_lo
	v_add_nc_u32_e32 v11, -8, v9
	v_add_co_u32 v26, vcc_lo, s4, v26
	global_load_dwordx2 v[24:25], v[24:25], off
	v_add_co_ci_u32_e64 v27, null, s5, v27, vcc_lo
	v_lshlrev_b64 v[28:29], 3, v[11:12]
	v_add_nc_u32_e32 v11, 2, v16
	global_load_dwordx2 v[26:27], v[26:27], off
	v_lshlrev_b64 v[30:31], 3, v[11:12]
	v_add_nc_u32_e32 v11, -7, v9
	v_add_co_u32 v28, vcc_lo, s2, v28
	v_add_co_ci_u32_e64 v29, null, s3, v29, vcc_lo
	v_lshlrev_b64 v[32:33], 3, v[11:12]
	v_add_nc_u32_e32 v11, 3, v16
	v_add_co_u32 v30, vcc_lo, s4, v30
	v_add_co_ci_u32_e64 v31, null, s5, v31, vcc_lo
	v_lshlrev_b64 v[34:35], 3, v[11:12]
	v_add_nc_u32_e32 v11, -6, v9
	global_load_dwordx2 v[28:29], v[28:29], off
	global_load_dwordx2 v[30:31], v[30:31], off
	v_add_co_u32 v32, vcc_lo, s2, v32
	v_lshlrev_b64 v[36:37], 3, v[11:12]
	v_add_nc_u32_e32 v11, 4, v16
	v_add_co_ci_u32_e64 v33, null, s3, v33, vcc_lo
	v_add_co_u32 v34, vcc_lo, s4, v34
	v_add_co_ci_u32_e64 v35, null, s5, v35, vcc_lo
	v_lshlrev_b64 v[38:39], 3, v[11:12]
	v_add_nc_u32_e32 v11, -5, v9
	global_load_dwordx2 v[32:33], v[32:33], off
	global_load_dwordx2 v[34:35], v[34:35], off
	v_add_co_u32 v36, vcc_lo, s2, v36
	v_lshlrev_b64 v[40:41], 3, v[11:12]
	v_add_nc_u32_e32 v11, 5, v16
	v_add_co_ci_u32_e64 v37, null, s3, v37, vcc_lo
	;; [unrolled: 10-line block ×5, first 2 shown]
	v_add_co_u32 v50, vcc_lo, s4, v50
	v_add_co_ci_u32_e64 v51, null, s5, v51, vcc_lo
	v_lshlrev_b64 v[54:55], 3, v[11:12]
	v_add_nc_u32_e32 v11, -1, v9
	global_load_dwordx2 v[48:49], v[48:49], off
	global_load_dwordx2 v[50:51], v[50:51], off
	v_add_co_u32 v52, vcc_lo, s2, v52
	v_add_co_ci_u32_e64 v53, null, s3, v53, vcc_lo
	v_lshlrev_b64 v[56:57], 3, v[11:12]
	v_add_nc_u32_e32 v11, 9, v16
	v_add_co_u32 v54, vcc_lo, s4, v54
	v_add_co_ci_u32_e64 v55, null, s5, v55, vcc_lo
	v_lshlrev_b64 v[58:59], 3, v[11:12]
	global_load_dwordx2 v[52:53], v[52:53], off
	v_add_nc_u32_e32 v11, 10, v16
	global_load_dwordx2 v[16:17], v[54:55], off
	v_add_co_u32 v54, vcc_lo, s2, v56
	v_add_co_ci_u32_e64 v55, null, s3, v57, vcc_lo
	v_add_co_u32 v56, vcc_lo, s4, v58
	v_add_co_ci_u32_e64 v57, null, s5, v59, vcc_lo
	v_lshlrev_b64 v[10:11], 3, v[11:12]
	global_load_dwordx2 v[54:55], v[54:55], off
	global_load_dwordx2 v[56:57], v[56:57], off
	v_add_nc_u32_e32 v9, 0xb0, v9
	v_add_co_u32 v10, vcc_lo, s4, v10
	v_add_co_ci_u32_e64 v11, null, s5, v11, vcc_lo
	global_load_dwordx2 v[20:21], v[20:21], off
	global_load_dwordx2 v[10:11], v[10:11], off
	v_cmp_ge_i32_e32 vcc_lo, v7, v14
	s_or_b32 s10, vcc_lo, s10
	s_waitcnt vmcnt(19)
	v_fmac_f32_e32 v15, v18, v24
	v_fmac_f32_e32 v13, v19, v24
	v_fma_f32 v8, -v19, v25, v15
	v_fmac_f32_e32 v13, v18, v25
	s_waitcnt vmcnt(18)
	v_fmac_f32_e32 v8, v22, v26
	v_fmac_f32_e32 v13, v23, v26
	v_fma_f32 v8, -v23, v27, v8
	v_fmac_f32_e32 v13, v22, v27
	;; [unrolled: 5-line block ×11, first 2 shown]
	s_andn2_b32 exec_lo, exec_lo, s10
	s_cbranch_execnz .LBB199_6
; %bb.7:
	s_or_b32 exec_lo, exec_lo, s10
.LBB199_8:
	s_or_b32 exec_lo, exec_lo, s9
	v_mbcnt_lo_u32_b32 v7, -1, 0
	v_xor_b32_e32 v8, 8, v7
	v_xor_b32_e32 v10, 4, v7
	;; [unrolled: 1-line block ×3, first 2 shown]
	v_cmp_gt_i32_e32 vcc_lo, 32, v8
	v_cndmask_b32_e32 v8, v7, v8, vcc_lo
	v_cmp_gt_i32_e32 vcc_lo, 32, v10
	v_lshlrev_b32_e32 v8, 2, v8
	v_cndmask_b32_e32 v10, v7, v10, vcc_lo
	v_cmp_gt_i32_e32 vcc_lo, 32, v12
	ds_bpermute_b32 v9, v8, v15
	ds_bpermute_b32 v8, v8, v13
	v_lshlrev_b32_e32 v10, 2, v10
	v_cndmask_b32_e32 v12, v7, v12, vcc_lo
	v_lshlrev_b32_e32 v12, 2, v12
	s_waitcnt lgkmcnt(1)
	v_add_f32_e32 v9, v15, v9
	s_waitcnt lgkmcnt(0)
	v_add_f32_e32 v8, v13, v8
	ds_bpermute_b32 v11, v10, v9
	ds_bpermute_b32 v10, v10, v8
	s_waitcnt lgkmcnt(1)
	v_add_f32_e32 v9, v9, v11
	s_waitcnt lgkmcnt(0)
	v_add_f32_e32 v8, v8, v10
	ds_bpermute_b32 v10, v12, v9
	ds_bpermute_b32 v11, v12, v8
	v_xor_b32_e32 v12, 1, v7
	v_cmp_gt_i32_e32 vcc_lo, 32, v12
	v_cndmask_b32_e32 v7, v7, v12, vcc_lo
	v_cmp_eq_u32_e32 vcc_lo, 15, v0
	v_lshlrev_b32_e32 v12, 2, v7
	s_waitcnt lgkmcnt(1)
	v_add_f32_e32 v7, v9, v10
	s_waitcnt lgkmcnt(0)
	v_add_f32_e32 v9, v8, v11
	ds_bpermute_b32 v8, v12, v7
	ds_bpermute_b32 v10, v12, v9
	s_and_b32 exec_lo, exec_lo, vcc_lo
	s_cbranch_execz .LBB199_13
; %bb.9:
	s_waitcnt lgkmcnt(0)
	v_add_f32_e32 v0, v9, v10
	v_add_f32_e32 v9, v7, v8
	v_cmp_eq_f32_e32 vcc_lo, 0, v1
	v_cmp_eq_f32_e64 s0, 0, v2
	v_lshlrev_b64 v[5:6], 3, v[5:6]
	v_mul_f32_e64 v7, v0, -v4
	v_mul_f32_e32 v8, v3, v0
	s_and_b32 s0, vcc_lo, s0
	v_fmac_f32_e32 v7, v3, v9
	v_fmac_f32_e32 v8, v4, v9
	s_and_saveexec_b32 s1, s0
	s_xor_b32 s0, exec_lo, s1
	s_cbranch_execz .LBB199_11
; %bb.10:
	v_add_co_u32 v0, vcc_lo, s6, v5
	v_add_co_ci_u32_e64 v1, null, s7, v6, vcc_lo
                                        ; implicit-def: $vgpr5_vgpr6
	global_store_dwordx2 v[0:1], v[7:8], off
                                        ; implicit-def: $vgpr1_vgpr2
                                        ; implicit-def: $vgpr7
.LBB199_11:
	s_andn2_saveexec_b32 s0, s0
	s_cbranch_execz .LBB199_13
; %bb.12:
	v_add_co_u32 v3, vcc_lo, s6, v5
	v_add_co_ci_u32_e64 v4, null, s7, v6, vcc_lo
	global_load_dwordx2 v[5:6], v[3:4], off
	s_waitcnt vmcnt(0)
	v_fmac_f32_e32 v7, v1, v5
	v_fmac_f32_e32 v8, v2, v5
	v_fma_f32 v7, -v2, v6, v7
	v_fmac_f32_e32 v8, v1, v6
	global_store_dwordx2 v[3:4], v[7:8], off
.LBB199_13:
	s_endpgm
	.section	.rodata,"a",@progbits
	.p2align	6, 0x0
	.amdhsa_kernel _ZN9rocsparseL19gebsrmvn_1xn_kernelILj128ELj11ELj16E21rocsparse_complex_numIfEEEvi20rocsparse_direction_NS_24const_host_device_scalarIT2_EEPKiS8_PKS5_SA_S6_PS5_21rocsparse_index_base_b
		.amdhsa_group_segment_fixed_size 0
		.amdhsa_private_segment_fixed_size 0
		.amdhsa_kernarg_size 72
		.amdhsa_user_sgpr_count 6
		.amdhsa_user_sgpr_private_segment_buffer 1
		.amdhsa_user_sgpr_dispatch_ptr 0
		.amdhsa_user_sgpr_queue_ptr 0
		.amdhsa_user_sgpr_kernarg_segment_ptr 1
		.amdhsa_user_sgpr_dispatch_id 0
		.amdhsa_user_sgpr_flat_scratch_init 0
		.amdhsa_user_sgpr_private_segment_size 0
		.amdhsa_wavefront_size32 1
		.amdhsa_uses_dynamic_stack 0
		.amdhsa_system_sgpr_private_segment_wavefront_offset 0
		.amdhsa_system_sgpr_workgroup_id_x 1
		.amdhsa_system_sgpr_workgroup_id_y 0
		.amdhsa_system_sgpr_workgroup_id_z 0
		.amdhsa_system_sgpr_workgroup_info 0
		.amdhsa_system_vgpr_workitem_id 0
		.amdhsa_next_free_vgpr 60
		.amdhsa_next_free_sgpr 13
		.amdhsa_reserve_vcc 1
		.amdhsa_reserve_flat_scratch 0
		.amdhsa_float_round_mode_32 0
		.amdhsa_float_round_mode_16_64 0
		.amdhsa_float_denorm_mode_32 3
		.amdhsa_float_denorm_mode_16_64 3
		.amdhsa_dx10_clamp 1
		.amdhsa_ieee_mode 1
		.amdhsa_fp16_overflow 0
		.amdhsa_workgroup_processor_mode 1
		.amdhsa_memory_ordered 1
		.amdhsa_forward_progress 1
		.amdhsa_shared_vgpr_count 0
		.amdhsa_exception_fp_ieee_invalid_op 0
		.amdhsa_exception_fp_denorm_src 0
		.amdhsa_exception_fp_ieee_div_zero 0
		.amdhsa_exception_fp_ieee_overflow 0
		.amdhsa_exception_fp_ieee_underflow 0
		.amdhsa_exception_fp_ieee_inexact 0
		.amdhsa_exception_int_div_zero 0
	.end_amdhsa_kernel
	.section	.text._ZN9rocsparseL19gebsrmvn_1xn_kernelILj128ELj11ELj16E21rocsparse_complex_numIfEEEvi20rocsparse_direction_NS_24const_host_device_scalarIT2_EEPKiS8_PKS5_SA_S6_PS5_21rocsparse_index_base_b,"axG",@progbits,_ZN9rocsparseL19gebsrmvn_1xn_kernelILj128ELj11ELj16E21rocsparse_complex_numIfEEEvi20rocsparse_direction_NS_24const_host_device_scalarIT2_EEPKiS8_PKS5_SA_S6_PS5_21rocsparse_index_base_b,comdat
.Lfunc_end199:
	.size	_ZN9rocsparseL19gebsrmvn_1xn_kernelILj128ELj11ELj16E21rocsparse_complex_numIfEEEvi20rocsparse_direction_NS_24const_host_device_scalarIT2_EEPKiS8_PKS5_SA_S6_PS5_21rocsparse_index_base_b, .Lfunc_end199-_ZN9rocsparseL19gebsrmvn_1xn_kernelILj128ELj11ELj16E21rocsparse_complex_numIfEEEvi20rocsparse_direction_NS_24const_host_device_scalarIT2_EEPKiS8_PKS5_SA_S6_PS5_21rocsparse_index_base_b
                                        ; -- End function
	.set _ZN9rocsparseL19gebsrmvn_1xn_kernelILj128ELj11ELj16E21rocsparse_complex_numIfEEEvi20rocsparse_direction_NS_24const_host_device_scalarIT2_EEPKiS8_PKS5_SA_S6_PS5_21rocsparse_index_base_b.num_vgpr, 60
	.set _ZN9rocsparseL19gebsrmvn_1xn_kernelILj128ELj11ELj16E21rocsparse_complex_numIfEEEvi20rocsparse_direction_NS_24const_host_device_scalarIT2_EEPKiS8_PKS5_SA_S6_PS5_21rocsparse_index_base_b.num_agpr, 0
	.set _ZN9rocsparseL19gebsrmvn_1xn_kernelILj128ELj11ELj16E21rocsparse_complex_numIfEEEvi20rocsparse_direction_NS_24const_host_device_scalarIT2_EEPKiS8_PKS5_SA_S6_PS5_21rocsparse_index_base_b.numbered_sgpr, 13
	.set _ZN9rocsparseL19gebsrmvn_1xn_kernelILj128ELj11ELj16E21rocsparse_complex_numIfEEEvi20rocsparse_direction_NS_24const_host_device_scalarIT2_EEPKiS8_PKS5_SA_S6_PS5_21rocsparse_index_base_b.num_named_barrier, 0
	.set _ZN9rocsparseL19gebsrmvn_1xn_kernelILj128ELj11ELj16E21rocsparse_complex_numIfEEEvi20rocsparse_direction_NS_24const_host_device_scalarIT2_EEPKiS8_PKS5_SA_S6_PS5_21rocsparse_index_base_b.private_seg_size, 0
	.set _ZN9rocsparseL19gebsrmvn_1xn_kernelILj128ELj11ELj16E21rocsparse_complex_numIfEEEvi20rocsparse_direction_NS_24const_host_device_scalarIT2_EEPKiS8_PKS5_SA_S6_PS5_21rocsparse_index_base_b.uses_vcc, 1
	.set _ZN9rocsparseL19gebsrmvn_1xn_kernelILj128ELj11ELj16E21rocsparse_complex_numIfEEEvi20rocsparse_direction_NS_24const_host_device_scalarIT2_EEPKiS8_PKS5_SA_S6_PS5_21rocsparse_index_base_b.uses_flat_scratch, 0
	.set _ZN9rocsparseL19gebsrmvn_1xn_kernelILj128ELj11ELj16E21rocsparse_complex_numIfEEEvi20rocsparse_direction_NS_24const_host_device_scalarIT2_EEPKiS8_PKS5_SA_S6_PS5_21rocsparse_index_base_b.has_dyn_sized_stack, 0
	.set _ZN9rocsparseL19gebsrmvn_1xn_kernelILj128ELj11ELj16E21rocsparse_complex_numIfEEEvi20rocsparse_direction_NS_24const_host_device_scalarIT2_EEPKiS8_PKS5_SA_S6_PS5_21rocsparse_index_base_b.has_recursion, 0
	.set _ZN9rocsparseL19gebsrmvn_1xn_kernelILj128ELj11ELj16E21rocsparse_complex_numIfEEEvi20rocsparse_direction_NS_24const_host_device_scalarIT2_EEPKiS8_PKS5_SA_S6_PS5_21rocsparse_index_base_b.has_indirect_call, 0
	.section	.AMDGPU.csdata,"",@progbits
; Kernel info:
; codeLenInByte = 1860
; TotalNumSgprs: 15
; NumVgprs: 60
; ScratchSize: 0
; MemoryBound: 0
; FloatMode: 240
; IeeeMode: 1
; LDSByteSize: 0 bytes/workgroup (compile time only)
; SGPRBlocks: 0
; VGPRBlocks: 7
; NumSGPRsForWavesPerEU: 15
; NumVGPRsForWavesPerEU: 60
; Occupancy: 16
; WaveLimiterHint : 1
; COMPUTE_PGM_RSRC2:SCRATCH_EN: 0
; COMPUTE_PGM_RSRC2:USER_SGPR: 6
; COMPUTE_PGM_RSRC2:TRAP_HANDLER: 0
; COMPUTE_PGM_RSRC2:TGID_X_EN: 1
; COMPUTE_PGM_RSRC2:TGID_Y_EN: 0
; COMPUTE_PGM_RSRC2:TGID_Z_EN: 0
; COMPUTE_PGM_RSRC2:TIDIG_COMP_CNT: 0
	.section	.text._ZN9rocsparseL19gebsrmvn_1xn_kernelILj128ELj11ELj32E21rocsparse_complex_numIfEEEvi20rocsparse_direction_NS_24const_host_device_scalarIT2_EEPKiS8_PKS5_SA_S6_PS5_21rocsparse_index_base_b,"axG",@progbits,_ZN9rocsparseL19gebsrmvn_1xn_kernelILj128ELj11ELj32E21rocsparse_complex_numIfEEEvi20rocsparse_direction_NS_24const_host_device_scalarIT2_EEPKiS8_PKS5_SA_S6_PS5_21rocsparse_index_base_b,comdat
	.globl	_ZN9rocsparseL19gebsrmvn_1xn_kernelILj128ELj11ELj32E21rocsparse_complex_numIfEEEvi20rocsparse_direction_NS_24const_host_device_scalarIT2_EEPKiS8_PKS5_SA_S6_PS5_21rocsparse_index_base_b ; -- Begin function _ZN9rocsparseL19gebsrmvn_1xn_kernelILj128ELj11ELj32E21rocsparse_complex_numIfEEEvi20rocsparse_direction_NS_24const_host_device_scalarIT2_EEPKiS8_PKS5_SA_S6_PS5_21rocsparse_index_base_b
	.p2align	8
	.type	_ZN9rocsparseL19gebsrmvn_1xn_kernelILj128ELj11ELj32E21rocsparse_complex_numIfEEEvi20rocsparse_direction_NS_24const_host_device_scalarIT2_EEPKiS8_PKS5_SA_S6_PS5_21rocsparse_index_base_b,@function
_ZN9rocsparseL19gebsrmvn_1xn_kernelILj128ELj11ELj32E21rocsparse_complex_numIfEEEvi20rocsparse_direction_NS_24const_host_device_scalarIT2_EEPKiS8_PKS5_SA_S6_PS5_21rocsparse_index_base_b: ; @_ZN9rocsparseL19gebsrmvn_1xn_kernelILj128ELj11ELj32E21rocsparse_complex_numIfEEEvi20rocsparse_direction_NS_24const_host_device_scalarIT2_EEPKiS8_PKS5_SA_S6_PS5_21rocsparse_index_base_b
; %bb.0:
	s_clause 0x2
	s_load_dwordx2 s[8:9], s[4:5], 0x40
	s_load_dwordx2 s[0:1], s[4:5], 0x8
	;; [unrolled: 1-line block ×3, first 2 shown]
	s_add_u32 s7, s4, 8
	s_addc_u32 s10, s5, 0
	s_add_u32 s11, s4, 48
	s_addc_u32 s12, s5, 0
	s_waitcnt lgkmcnt(0)
	s_bitcmp1_b32 s9, 0
	s_cselect_b32 s0, s7, s0
	s_cselect_b32 s1, s10, s1
	v_mov_b32_e32 v1, s0
	v_mov_b32_e32 v2, s1
	s_cselect_b32 s0, s11, s2
	s_cselect_b32 s1, s12, s3
	flat_load_dwordx2 v[3:4], v[1:2]
	v_mov_b32_e32 v1, s0
	v_mov_b32_e32 v2, s1
	flat_load_dwordx2 v[1:2], v[1:2]
	s_waitcnt vmcnt(1) lgkmcnt(1)
	v_cmp_eq_f32_e32 vcc_lo, 0, v3
	v_cmp_eq_f32_e64 s0, 0, v4
	s_and_b32 s2, vcc_lo, s0
	s_mov_b32 s0, -1
	s_and_saveexec_b32 s1, s2
	s_cbranch_execz .LBB200_2
; %bb.1:
	s_waitcnt vmcnt(0) lgkmcnt(0)
	v_cmp_neq_f32_e32 vcc_lo, 1.0, v1
	v_cmp_neq_f32_e64 s0, 0, v2
	s_or_b32 s0, vcc_lo, s0
	s_orn2_b32 s0, s0, exec_lo
.LBB200_2:
	s_or_b32 exec_lo, exec_lo, s1
	s_and_saveexec_b32 s1, s0
	s_cbranch_execz .LBB200_13
; %bb.3:
	s_load_dword s0, s[4:5], 0x0
	v_lshrrev_b32_e32 v5, 5, v0
	v_lshl_or_b32 v5, s6, 2, v5
	s_waitcnt lgkmcnt(0)
	v_cmp_gt_i32_e32 vcc_lo, s0, v5
	s_and_b32 exec_lo, exec_lo, vcc_lo
	s_cbranch_execz .LBB200_13
; %bb.4:
	s_clause 0x1
	s_load_dwordx2 s[0:1], s[4:5], 0x10
	s_load_dwordx2 s[6:7], s[4:5], 0x38
	v_ashrrev_i32_e32 v6, 31, v5
	v_and_b32_e32 v0, 31, v0
	v_mov_b32_e32 v13, 0
	v_mov_b32_e32 v15, 0
	s_mov_b32 s9, exec_lo
	v_lshlrev_b64 v[7:8], 2, v[5:6]
	v_subrev_nc_u32_e32 v9, s8, v0
	s_waitcnt lgkmcnt(0)
	v_add_co_u32 v7, vcc_lo, s0, v7
	v_add_co_ci_u32_e64 v8, null, s1, v8, vcc_lo
	global_load_dwordx2 v[7:8], v[7:8], off
	s_waitcnt vmcnt(0)
	v_subrev_nc_u32_e32 v14, s8, v8
	v_add_nc_u32_e32 v7, v7, v9
	v_cmpx_lt_i32_e64 v7, v14
	s_cbranch_execz .LBB200_8
; %bb.5:
	s_clause 0x1
	s_load_dwordx4 s[0:3], s[4:5], 0x18
	s_load_dwordx2 s[4:5], s[4:5], 0x28
	v_mad_u64_u32 v[9:10], null, v7, 11, 10
	v_mov_b32_e32 v12, 0
	v_mov_b32_e32 v13, 0
	;; [unrolled: 1-line block ×3, first 2 shown]
	s_mov_b32 s10, 0
.LBB200_6:                              ; =>This Inner Loop Header: Depth=1
	v_ashrrev_i32_e32 v8, 31, v7
	v_mov_b32_e32 v17, v12
	v_lshlrev_b64 v[10:11], 2, v[7:8]
	v_add_nc_u32_e32 v7, 32, v7
	s_waitcnt lgkmcnt(0)
	v_add_co_u32 v10, vcc_lo, s0, v10
	v_add_co_ci_u32_e64 v11, null, s1, v11, vcc_lo
	global_load_dword v8, v[10:11], off
	v_add_nc_u32_e32 v11, -10, v9
	v_mov_b32_e32 v10, v12
	v_lshlrev_b64 v[18:19], 3, v[11:12]
	v_add_nc_u32_e32 v11, -9, v9
	v_lshlrev_b64 v[20:21], 3, v[9:10]
	v_lshlrev_b64 v[10:11], 3, v[11:12]
	v_add_co_u32 v18, vcc_lo, s2, v18
	v_add_co_ci_u32_e64 v19, null, s3, v19, vcc_lo
	v_add_co_u32 v20, vcc_lo, s2, v20
	v_add_co_ci_u32_e64 v21, null, s3, v21, vcc_lo
	;; [unrolled: 2-line block ×3, first 2 shown]
	s_clause 0x1
	global_load_dwordx2 v[18:19], v[18:19], off
	global_load_dwordx2 v[22:23], v[10:11], off
	s_waitcnt vmcnt(2)
	v_subrev_nc_u32_e32 v8, s8, v8
	v_mul_lo_u32 v16, v8, 11
	v_lshlrev_b64 v[24:25], 3, v[16:17]
	v_add_nc_u32_e32 v11, 1, v16
	v_lshlrev_b64 v[26:27], 3, v[11:12]
	v_add_co_u32 v24, vcc_lo, s4, v24
	v_add_co_ci_u32_e64 v25, null, s5, v25, vcc_lo
	v_add_nc_u32_e32 v11, -8, v9
	v_add_co_u32 v26, vcc_lo, s4, v26
	global_load_dwordx2 v[24:25], v[24:25], off
	v_add_co_ci_u32_e64 v27, null, s5, v27, vcc_lo
	v_lshlrev_b64 v[28:29], 3, v[11:12]
	v_add_nc_u32_e32 v11, 2, v16
	global_load_dwordx2 v[26:27], v[26:27], off
	v_lshlrev_b64 v[30:31], 3, v[11:12]
	v_add_nc_u32_e32 v11, -7, v9
	v_add_co_u32 v28, vcc_lo, s2, v28
	v_add_co_ci_u32_e64 v29, null, s3, v29, vcc_lo
	v_lshlrev_b64 v[32:33], 3, v[11:12]
	v_add_nc_u32_e32 v11, 3, v16
	v_add_co_u32 v30, vcc_lo, s4, v30
	v_add_co_ci_u32_e64 v31, null, s5, v31, vcc_lo
	v_lshlrev_b64 v[34:35], 3, v[11:12]
	v_add_nc_u32_e32 v11, -6, v9
	global_load_dwordx2 v[28:29], v[28:29], off
	global_load_dwordx2 v[30:31], v[30:31], off
	v_add_co_u32 v32, vcc_lo, s2, v32
	v_lshlrev_b64 v[36:37], 3, v[11:12]
	v_add_nc_u32_e32 v11, 4, v16
	v_add_co_ci_u32_e64 v33, null, s3, v33, vcc_lo
	v_add_co_u32 v34, vcc_lo, s4, v34
	v_add_co_ci_u32_e64 v35, null, s5, v35, vcc_lo
	v_lshlrev_b64 v[38:39], 3, v[11:12]
	v_add_nc_u32_e32 v11, -5, v9
	global_load_dwordx2 v[32:33], v[32:33], off
	global_load_dwordx2 v[34:35], v[34:35], off
	v_add_co_u32 v36, vcc_lo, s2, v36
	v_lshlrev_b64 v[40:41], 3, v[11:12]
	v_add_nc_u32_e32 v11, 5, v16
	v_add_co_ci_u32_e64 v37, null, s3, v37, vcc_lo
	;; [unrolled: 10-line block ×5, first 2 shown]
	v_add_co_u32 v50, vcc_lo, s4, v50
	v_add_co_ci_u32_e64 v51, null, s5, v51, vcc_lo
	v_lshlrev_b64 v[54:55], 3, v[11:12]
	v_add_nc_u32_e32 v11, -1, v9
	global_load_dwordx2 v[48:49], v[48:49], off
	global_load_dwordx2 v[50:51], v[50:51], off
	v_add_co_u32 v52, vcc_lo, s2, v52
	v_add_co_ci_u32_e64 v53, null, s3, v53, vcc_lo
	v_lshlrev_b64 v[56:57], 3, v[11:12]
	v_add_nc_u32_e32 v11, 9, v16
	v_add_co_u32 v54, vcc_lo, s4, v54
	v_add_co_ci_u32_e64 v55, null, s5, v55, vcc_lo
	v_lshlrev_b64 v[58:59], 3, v[11:12]
	global_load_dwordx2 v[52:53], v[52:53], off
	v_add_nc_u32_e32 v11, 10, v16
	global_load_dwordx2 v[16:17], v[54:55], off
	v_add_co_u32 v54, vcc_lo, s2, v56
	v_add_co_ci_u32_e64 v55, null, s3, v57, vcc_lo
	v_add_co_u32 v56, vcc_lo, s4, v58
	v_add_co_ci_u32_e64 v57, null, s5, v59, vcc_lo
	v_lshlrev_b64 v[10:11], 3, v[11:12]
	global_load_dwordx2 v[54:55], v[54:55], off
	global_load_dwordx2 v[56:57], v[56:57], off
	v_add_nc_u32_e32 v9, 0x160, v9
	v_add_co_u32 v10, vcc_lo, s4, v10
	v_add_co_ci_u32_e64 v11, null, s5, v11, vcc_lo
	global_load_dwordx2 v[20:21], v[20:21], off
	global_load_dwordx2 v[10:11], v[10:11], off
	v_cmp_ge_i32_e32 vcc_lo, v7, v14
	s_or_b32 s10, vcc_lo, s10
	s_waitcnt vmcnt(19)
	v_fmac_f32_e32 v15, v18, v24
	v_fmac_f32_e32 v13, v19, v24
	v_fma_f32 v8, -v19, v25, v15
	v_fmac_f32_e32 v13, v18, v25
	s_waitcnt vmcnt(18)
	v_fmac_f32_e32 v8, v22, v26
	v_fmac_f32_e32 v13, v23, v26
	v_fma_f32 v8, -v23, v27, v8
	v_fmac_f32_e32 v13, v22, v27
	s_waitcnt vmcnt(16)
	v_fmac_f32_e32 v8, v28, v30
	v_fmac_f32_e32 v13, v29, v30
	v_fma_f32 v8, -v29, v31, v8
	v_fmac_f32_e32 v13, v28, v31
	s_waitcnt vmcnt(14)
	v_fmac_f32_e32 v8, v32, v34
	v_fmac_f32_e32 v13, v33, v34
	v_fma_f32 v8, -v33, v35, v8
	v_fmac_f32_e32 v13, v32, v35
	s_waitcnt vmcnt(12)
	v_fmac_f32_e32 v8, v36, v38
	v_fmac_f32_e32 v13, v37, v38
	v_fma_f32 v8, -v37, v39, v8
	v_fmac_f32_e32 v13, v36, v39
	s_waitcnt vmcnt(10)
	v_fmac_f32_e32 v8, v40, v42
	v_fmac_f32_e32 v13, v41, v42
	v_fma_f32 v8, -v41, v43, v8
	v_fmac_f32_e32 v13, v40, v43
	s_waitcnt vmcnt(8)
	v_fmac_f32_e32 v8, v44, v46
	v_fmac_f32_e32 v13, v45, v46
	v_fma_f32 v8, -v45, v47, v8
	v_fmac_f32_e32 v13, v44, v47
	s_waitcnt vmcnt(6)
	v_fmac_f32_e32 v8, v48, v50
	v_fmac_f32_e32 v13, v49, v50
	v_fma_f32 v8, -v49, v51, v8
	v_fmac_f32_e32 v13, v48, v51
	s_waitcnt vmcnt(4)
	v_fmac_f32_e32 v8, v52, v16
	v_fmac_f32_e32 v13, v53, v16
	v_fma_f32 v8, -v53, v17, v8
	v_fmac_f32_e32 v13, v52, v17
	s_waitcnt vmcnt(2)
	v_fmac_f32_e32 v8, v54, v56
	v_fmac_f32_e32 v13, v55, v56
	v_fma_f32 v8, -v55, v57, v8
	v_fmac_f32_e32 v13, v54, v57
	s_waitcnt vmcnt(0)
	v_fmac_f32_e32 v8, v20, v10
	v_fmac_f32_e32 v13, v21, v10
	v_fma_f32 v15, -v21, v11, v8
	v_fmac_f32_e32 v13, v20, v11
	s_andn2_b32 exec_lo, exec_lo, s10
	s_cbranch_execnz .LBB200_6
; %bb.7:
	s_or_b32 exec_lo, exec_lo, s10
.LBB200_8:
	s_or_b32 exec_lo, exec_lo, s9
	v_mbcnt_lo_u32_b32 v7, -1, 0
	v_xor_b32_e32 v8, 16, v7
	v_xor_b32_e32 v10, 8, v7
	;; [unrolled: 1-line block ×3, first 2 shown]
	v_cmp_gt_i32_e32 vcc_lo, 32, v8
	v_cndmask_b32_e32 v8, v7, v8, vcc_lo
	v_cmp_gt_i32_e32 vcc_lo, 32, v10
	v_lshlrev_b32_e32 v8, 2, v8
	v_cndmask_b32_e32 v10, v7, v10, vcc_lo
	v_cmp_gt_i32_e32 vcc_lo, 32, v12
	ds_bpermute_b32 v9, v8, v15
	ds_bpermute_b32 v8, v8, v13
	v_lshlrev_b32_e32 v10, 2, v10
	v_cndmask_b32_e32 v12, v7, v12, vcc_lo
	v_lshlrev_b32_e32 v12, 2, v12
	s_waitcnt lgkmcnt(1)
	v_add_f32_e32 v9, v15, v9
	s_waitcnt lgkmcnt(0)
	v_add_f32_e32 v8, v13, v8
	ds_bpermute_b32 v11, v10, v9
	ds_bpermute_b32 v10, v10, v8
	s_waitcnt lgkmcnt(1)
	v_add_f32_e32 v9, v9, v11
	s_waitcnt lgkmcnt(0)
	v_add_f32_e32 v8, v8, v10
	ds_bpermute_b32 v10, v12, v9
	ds_bpermute_b32 v11, v12, v8
	v_xor_b32_e32 v12, 2, v7
	v_cmp_gt_i32_e32 vcc_lo, 32, v12
	v_cndmask_b32_e32 v12, v7, v12, vcc_lo
	v_lshlrev_b32_e32 v12, 2, v12
	s_waitcnt lgkmcnt(1)
	v_add_f32_e32 v9, v9, v10
	s_waitcnt lgkmcnt(0)
	v_add_f32_e32 v8, v8, v11
	ds_bpermute_b32 v10, v12, v9
	ds_bpermute_b32 v11, v12, v8
	v_xor_b32_e32 v12, 1, v7
	v_cmp_gt_i32_e32 vcc_lo, 32, v12
	v_cndmask_b32_e32 v7, v7, v12, vcc_lo
	v_cmp_eq_u32_e32 vcc_lo, 31, v0
	v_lshlrev_b32_e32 v12, 2, v7
	s_waitcnt lgkmcnt(1)
	v_add_f32_e32 v7, v9, v10
	s_waitcnt lgkmcnt(0)
	v_add_f32_e32 v9, v8, v11
	ds_bpermute_b32 v8, v12, v7
	ds_bpermute_b32 v10, v12, v9
	s_and_b32 exec_lo, exec_lo, vcc_lo
	s_cbranch_execz .LBB200_13
; %bb.9:
	s_waitcnt lgkmcnt(0)
	v_add_f32_e32 v0, v9, v10
	v_add_f32_e32 v9, v7, v8
	v_cmp_eq_f32_e32 vcc_lo, 0, v1
	v_cmp_eq_f32_e64 s0, 0, v2
	v_lshlrev_b64 v[5:6], 3, v[5:6]
	v_mul_f32_e64 v7, v0, -v4
	v_mul_f32_e32 v8, v3, v0
	s_and_b32 s0, vcc_lo, s0
	v_fmac_f32_e32 v7, v3, v9
	v_fmac_f32_e32 v8, v4, v9
	s_and_saveexec_b32 s1, s0
	s_xor_b32 s0, exec_lo, s1
	s_cbranch_execz .LBB200_11
; %bb.10:
	v_add_co_u32 v0, vcc_lo, s6, v5
	v_add_co_ci_u32_e64 v1, null, s7, v6, vcc_lo
                                        ; implicit-def: $vgpr5_vgpr6
	global_store_dwordx2 v[0:1], v[7:8], off
                                        ; implicit-def: $vgpr1_vgpr2
                                        ; implicit-def: $vgpr7
.LBB200_11:
	s_andn2_saveexec_b32 s0, s0
	s_cbranch_execz .LBB200_13
; %bb.12:
	v_add_co_u32 v3, vcc_lo, s6, v5
	v_add_co_ci_u32_e64 v4, null, s7, v6, vcc_lo
	global_load_dwordx2 v[5:6], v[3:4], off
	s_waitcnt vmcnt(0)
	v_fmac_f32_e32 v7, v1, v5
	v_fmac_f32_e32 v8, v2, v5
	v_fma_f32 v7, -v2, v6, v7
	v_fmac_f32_e32 v8, v1, v6
	global_store_dwordx2 v[3:4], v[7:8], off
.LBB200_13:
	s_endpgm
	.section	.rodata,"a",@progbits
	.p2align	6, 0x0
	.amdhsa_kernel _ZN9rocsparseL19gebsrmvn_1xn_kernelILj128ELj11ELj32E21rocsparse_complex_numIfEEEvi20rocsparse_direction_NS_24const_host_device_scalarIT2_EEPKiS8_PKS5_SA_S6_PS5_21rocsparse_index_base_b
		.amdhsa_group_segment_fixed_size 0
		.amdhsa_private_segment_fixed_size 0
		.amdhsa_kernarg_size 72
		.amdhsa_user_sgpr_count 6
		.amdhsa_user_sgpr_private_segment_buffer 1
		.amdhsa_user_sgpr_dispatch_ptr 0
		.amdhsa_user_sgpr_queue_ptr 0
		.amdhsa_user_sgpr_kernarg_segment_ptr 1
		.amdhsa_user_sgpr_dispatch_id 0
		.amdhsa_user_sgpr_flat_scratch_init 0
		.amdhsa_user_sgpr_private_segment_size 0
		.amdhsa_wavefront_size32 1
		.amdhsa_uses_dynamic_stack 0
		.amdhsa_system_sgpr_private_segment_wavefront_offset 0
		.amdhsa_system_sgpr_workgroup_id_x 1
		.amdhsa_system_sgpr_workgroup_id_y 0
		.amdhsa_system_sgpr_workgroup_id_z 0
		.amdhsa_system_sgpr_workgroup_info 0
		.amdhsa_system_vgpr_workitem_id 0
		.amdhsa_next_free_vgpr 60
		.amdhsa_next_free_sgpr 13
		.amdhsa_reserve_vcc 1
		.amdhsa_reserve_flat_scratch 0
		.amdhsa_float_round_mode_32 0
		.amdhsa_float_round_mode_16_64 0
		.amdhsa_float_denorm_mode_32 3
		.amdhsa_float_denorm_mode_16_64 3
		.amdhsa_dx10_clamp 1
		.amdhsa_ieee_mode 1
		.amdhsa_fp16_overflow 0
		.amdhsa_workgroup_processor_mode 1
		.amdhsa_memory_ordered 1
		.amdhsa_forward_progress 1
		.amdhsa_shared_vgpr_count 0
		.amdhsa_exception_fp_ieee_invalid_op 0
		.amdhsa_exception_fp_denorm_src 0
		.amdhsa_exception_fp_ieee_div_zero 0
		.amdhsa_exception_fp_ieee_overflow 0
		.amdhsa_exception_fp_ieee_underflow 0
		.amdhsa_exception_fp_ieee_inexact 0
		.amdhsa_exception_int_div_zero 0
	.end_amdhsa_kernel
	.section	.text._ZN9rocsparseL19gebsrmvn_1xn_kernelILj128ELj11ELj32E21rocsparse_complex_numIfEEEvi20rocsparse_direction_NS_24const_host_device_scalarIT2_EEPKiS8_PKS5_SA_S6_PS5_21rocsparse_index_base_b,"axG",@progbits,_ZN9rocsparseL19gebsrmvn_1xn_kernelILj128ELj11ELj32E21rocsparse_complex_numIfEEEvi20rocsparse_direction_NS_24const_host_device_scalarIT2_EEPKiS8_PKS5_SA_S6_PS5_21rocsparse_index_base_b,comdat
.Lfunc_end200:
	.size	_ZN9rocsparseL19gebsrmvn_1xn_kernelILj128ELj11ELj32E21rocsparse_complex_numIfEEEvi20rocsparse_direction_NS_24const_host_device_scalarIT2_EEPKiS8_PKS5_SA_S6_PS5_21rocsparse_index_base_b, .Lfunc_end200-_ZN9rocsparseL19gebsrmvn_1xn_kernelILj128ELj11ELj32E21rocsparse_complex_numIfEEEvi20rocsparse_direction_NS_24const_host_device_scalarIT2_EEPKiS8_PKS5_SA_S6_PS5_21rocsparse_index_base_b
                                        ; -- End function
	.set _ZN9rocsparseL19gebsrmvn_1xn_kernelILj128ELj11ELj32E21rocsparse_complex_numIfEEEvi20rocsparse_direction_NS_24const_host_device_scalarIT2_EEPKiS8_PKS5_SA_S6_PS5_21rocsparse_index_base_b.num_vgpr, 60
	.set _ZN9rocsparseL19gebsrmvn_1xn_kernelILj128ELj11ELj32E21rocsparse_complex_numIfEEEvi20rocsparse_direction_NS_24const_host_device_scalarIT2_EEPKiS8_PKS5_SA_S6_PS5_21rocsparse_index_base_b.num_agpr, 0
	.set _ZN9rocsparseL19gebsrmvn_1xn_kernelILj128ELj11ELj32E21rocsparse_complex_numIfEEEvi20rocsparse_direction_NS_24const_host_device_scalarIT2_EEPKiS8_PKS5_SA_S6_PS5_21rocsparse_index_base_b.numbered_sgpr, 13
	.set _ZN9rocsparseL19gebsrmvn_1xn_kernelILj128ELj11ELj32E21rocsparse_complex_numIfEEEvi20rocsparse_direction_NS_24const_host_device_scalarIT2_EEPKiS8_PKS5_SA_S6_PS5_21rocsparse_index_base_b.num_named_barrier, 0
	.set _ZN9rocsparseL19gebsrmvn_1xn_kernelILj128ELj11ELj32E21rocsparse_complex_numIfEEEvi20rocsparse_direction_NS_24const_host_device_scalarIT2_EEPKiS8_PKS5_SA_S6_PS5_21rocsparse_index_base_b.private_seg_size, 0
	.set _ZN9rocsparseL19gebsrmvn_1xn_kernelILj128ELj11ELj32E21rocsparse_complex_numIfEEEvi20rocsparse_direction_NS_24const_host_device_scalarIT2_EEPKiS8_PKS5_SA_S6_PS5_21rocsparse_index_base_b.uses_vcc, 1
	.set _ZN9rocsparseL19gebsrmvn_1xn_kernelILj128ELj11ELj32E21rocsparse_complex_numIfEEEvi20rocsparse_direction_NS_24const_host_device_scalarIT2_EEPKiS8_PKS5_SA_S6_PS5_21rocsparse_index_base_b.uses_flat_scratch, 0
	.set _ZN9rocsparseL19gebsrmvn_1xn_kernelILj128ELj11ELj32E21rocsparse_complex_numIfEEEvi20rocsparse_direction_NS_24const_host_device_scalarIT2_EEPKiS8_PKS5_SA_S6_PS5_21rocsparse_index_base_b.has_dyn_sized_stack, 0
	.set _ZN9rocsparseL19gebsrmvn_1xn_kernelILj128ELj11ELj32E21rocsparse_complex_numIfEEEvi20rocsparse_direction_NS_24const_host_device_scalarIT2_EEPKiS8_PKS5_SA_S6_PS5_21rocsparse_index_base_b.has_recursion, 0
	.set _ZN9rocsparseL19gebsrmvn_1xn_kernelILj128ELj11ELj32E21rocsparse_complex_numIfEEEvi20rocsparse_direction_NS_24const_host_device_scalarIT2_EEPKiS8_PKS5_SA_S6_PS5_21rocsparse_index_base_b.has_indirect_call, 0
	.section	.AMDGPU.csdata,"",@progbits
; Kernel info:
; codeLenInByte = 1908
; TotalNumSgprs: 15
; NumVgprs: 60
; ScratchSize: 0
; MemoryBound: 0
; FloatMode: 240
; IeeeMode: 1
; LDSByteSize: 0 bytes/workgroup (compile time only)
; SGPRBlocks: 0
; VGPRBlocks: 7
; NumSGPRsForWavesPerEU: 15
; NumVGPRsForWavesPerEU: 60
; Occupancy: 16
; WaveLimiterHint : 1
; COMPUTE_PGM_RSRC2:SCRATCH_EN: 0
; COMPUTE_PGM_RSRC2:USER_SGPR: 6
; COMPUTE_PGM_RSRC2:TRAP_HANDLER: 0
; COMPUTE_PGM_RSRC2:TGID_X_EN: 1
; COMPUTE_PGM_RSRC2:TGID_Y_EN: 0
; COMPUTE_PGM_RSRC2:TGID_Z_EN: 0
; COMPUTE_PGM_RSRC2:TIDIG_COMP_CNT: 0
	.section	.text._ZN9rocsparseL19gebsrmvn_1xn_kernelILj128ELj11ELj64E21rocsparse_complex_numIfEEEvi20rocsparse_direction_NS_24const_host_device_scalarIT2_EEPKiS8_PKS5_SA_S6_PS5_21rocsparse_index_base_b,"axG",@progbits,_ZN9rocsparseL19gebsrmvn_1xn_kernelILj128ELj11ELj64E21rocsparse_complex_numIfEEEvi20rocsparse_direction_NS_24const_host_device_scalarIT2_EEPKiS8_PKS5_SA_S6_PS5_21rocsparse_index_base_b,comdat
	.globl	_ZN9rocsparseL19gebsrmvn_1xn_kernelILj128ELj11ELj64E21rocsparse_complex_numIfEEEvi20rocsparse_direction_NS_24const_host_device_scalarIT2_EEPKiS8_PKS5_SA_S6_PS5_21rocsparse_index_base_b ; -- Begin function _ZN9rocsparseL19gebsrmvn_1xn_kernelILj128ELj11ELj64E21rocsparse_complex_numIfEEEvi20rocsparse_direction_NS_24const_host_device_scalarIT2_EEPKiS8_PKS5_SA_S6_PS5_21rocsparse_index_base_b
	.p2align	8
	.type	_ZN9rocsparseL19gebsrmvn_1xn_kernelILj128ELj11ELj64E21rocsparse_complex_numIfEEEvi20rocsparse_direction_NS_24const_host_device_scalarIT2_EEPKiS8_PKS5_SA_S6_PS5_21rocsparse_index_base_b,@function
_ZN9rocsparseL19gebsrmvn_1xn_kernelILj128ELj11ELj64E21rocsparse_complex_numIfEEEvi20rocsparse_direction_NS_24const_host_device_scalarIT2_EEPKiS8_PKS5_SA_S6_PS5_21rocsparse_index_base_b: ; @_ZN9rocsparseL19gebsrmvn_1xn_kernelILj128ELj11ELj64E21rocsparse_complex_numIfEEEvi20rocsparse_direction_NS_24const_host_device_scalarIT2_EEPKiS8_PKS5_SA_S6_PS5_21rocsparse_index_base_b
; %bb.0:
	s_clause 0x2
	s_load_dwordx2 s[8:9], s[4:5], 0x40
	s_load_dwordx2 s[0:1], s[4:5], 0x8
	;; [unrolled: 1-line block ×3, first 2 shown]
	s_add_u32 s7, s4, 8
	s_addc_u32 s10, s5, 0
	s_add_u32 s11, s4, 48
	s_addc_u32 s12, s5, 0
	s_waitcnt lgkmcnt(0)
	s_bitcmp1_b32 s9, 0
	s_cselect_b32 s0, s7, s0
	s_cselect_b32 s1, s10, s1
	v_mov_b32_e32 v1, s0
	v_mov_b32_e32 v2, s1
	s_cselect_b32 s0, s11, s2
	s_cselect_b32 s1, s12, s3
	flat_load_dwordx2 v[3:4], v[1:2]
	v_mov_b32_e32 v1, s0
	v_mov_b32_e32 v2, s1
	flat_load_dwordx2 v[1:2], v[1:2]
	s_waitcnt vmcnt(1) lgkmcnt(1)
	v_cmp_eq_f32_e32 vcc_lo, 0, v3
	v_cmp_eq_f32_e64 s0, 0, v4
	s_and_b32 s2, vcc_lo, s0
	s_mov_b32 s0, -1
	s_and_saveexec_b32 s1, s2
	s_cbranch_execz .LBB201_2
; %bb.1:
	s_waitcnt vmcnt(0) lgkmcnt(0)
	v_cmp_neq_f32_e32 vcc_lo, 1.0, v1
	v_cmp_neq_f32_e64 s0, 0, v2
	s_or_b32 s0, vcc_lo, s0
	s_orn2_b32 s0, s0, exec_lo
.LBB201_2:
	s_or_b32 exec_lo, exec_lo, s1
	s_and_saveexec_b32 s1, s0
	s_cbranch_execz .LBB201_13
; %bb.3:
	s_load_dword s0, s[4:5], 0x0
	v_lshrrev_b32_e32 v5, 6, v0
	v_lshl_or_b32 v5, s6, 1, v5
	s_waitcnt lgkmcnt(0)
	v_cmp_gt_i32_e32 vcc_lo, s0, v5
	s_and_b32 exec_lo, exec_lo, vcc_lo
	s_cbranch_execz .LBB201_13
; %bb.4:
	s_clause 0x1
	s_load_dwordx2 s[0:1], s[4:5], 0x10
	s_load_dwordx2 s[6:7], s[4:5], 0x38
	v_ashrrev_i32_e32 v6, 31, v5
	v_and_b32_e32 v0, 63, v0
	v_mov_b32_e32 v13, 0
	v_mov_b32_e32 v15, 0
	s_mov_b32 s9, exec_lo
	v_lshlrev_b64 v[7:8], 2, v[5:6]
	v_subrev_nc_u32_e32 v9, s8, v0
	s_waitcnt lgkmcnt(0)
	v_add_co_u32 v7, vcc_lo, s0, v7
	v_add_co_ci_u32_e64 v8, null, s1, v8, vcc_lo
	global_load_dwordx2 v[7:8], v[7:8], off
	s_waitcnt vmcnt(0)
	v_subrev_nc_u32_e32 v14, s8, v8
	v_add_nc_u32_e32 v7, v7, v9
	v_cmpx_lt_i32_e64 v7, v14
	s_cbranch_execz .LBB201_8
; %bb.5:
	s_clause 0x1
	s_load_dwordx4 s[0:3], s[4:5], 0x18
	s_load_dwordx2 s[4:5], s[4:5], 0x28
	v_mad_u64_u32 v[9:10], null, v7, 11, 10
	v_mov_b32_e32 v12, 0
	v_mov_b32_e32 v13, 0
	;; [unrolled: 1-line block ×3, first 2 shown]
	s_mov_b32 s10, 0
.LBB201_6:                              ; =>This Inner Loop Header: Depth=1
	v_ashrrev_i32_e32 v8, 31, v7
	v_mov_b32_e32 v17, v12
	v_lshlrev_b64 v[10:11], 2, v[7:8]
	v_add_nc_u32_e32 v7, 64, v7
	s_waitcnt lgkmcnt(0)
	v_add_co_u32 v10, vcc_lo, s0, v10
	v_add_co_ci_u32_e64 v11, null, s1, v11, vcc_lo
	global_load_dword v8, v[10:11], off
	v_add_nc_u32_e32 v11, -10, v9
	v_mov_b32_e32 v10, v12
	v_lshlrev_b64 v[18:19], 3, v[11:12]
	v_add_nc_u32_e32 v11, -9, v9
	v_lshlrev_b64 v[20:21], 3, v[9:10]
	v_lshlrev_b64 v[10:11], 3, v[11:12]
	v_add_co_u32 v18, vcc_lo, s2, v18
	v_add_co_ci_u32_e64 v19, null, s3, v19, vcc_lo
	v_add_co_u32 v20, vcc_lo, s2, v20
	v_add_co_ci_u32_e64 v21, null, s3, v21, vcc_lo
	;; [unrolled: 2-line block ×3, first 2 shown]
	s_clause 0x1
	global_load_dwordx2 v[18:19], v[18:19], off
	global_load_dwordx2 v[22:23], v[10:11], off
	s_waitcnt vmcnt(2)
	v_subrev_nc_u32_e32 v8, s8, v8
	v_mul_lo_u32 v16, v8, 11
	v_lshlrev_b64 v[24:25], 3, v[16:17]
	v_add_nc_u32_e32 v11, 1, v16
	v_lshlrev_b64 v[26:27], 3, v[11:12]
	v_add_co_u32 v24, vcc_lo, s4, v24
	v_add_co_ci_u32_e64 v25, null, s5, v25, vcc_lo
	v_add_nc_u32_e32 v11, -8, v9
	v_add_co_u32 v26, vcc_lo, s4, v26
	global_load_dwordx2 v[24:25], v[24:25], off
	v_add_co_ci_u32_e64 v27, null, s5, v27, vcc_lo
	v_lshlrev_b64 v[28:29], 3, v[11:12]
	v_add_nc_u32_e32 v11, 2, v16
	global_load_dwordx2 v[26:27], v[26:27], off
	v_lshlrev_b64 v[30:31], 3, v[11:12]
	v_add_nc_u32_e32 v11, -7, v9
	v_add_co_u32 v28, vcc_lo, s2, v28
	v_add_co_ci_u32_e64 v29, null, s3, v29, vcc_lo
	v_lshlrev_b64 v[32:33], 3, v[11:12]
	v_add_nc_u32_e32 v11, 3, v16
	v_add_co_u32 v30, vcc_lo, s4, v30
	v_add_co_ci_u32_e64 v31, null, s5, v31, vcc_lo
	v_lshlrev_b64 v[34:35], 3, v[11:12]
	v_add_nc_u32_e32 v11, -6, v9
	global_load_dwordx2 v[28:29], v[28:29], off
	global_load_dwordx2 v[30:31], v[30:31], off
	v_add_co_u32 v32, vcc_lo, s2, v32
	v_lshlrev_b64 v[36:37], 3, v[11:12]
	v_add_nc_u32_e32 v11, 4, v16
	v_add_co_ci_u32_e64 v33, null, s3, v33, vcc_lo
	v_add_co_u32 v34, vcc_lo, s4, v34
	v_add_co_ci_u32_e64 v35, null, s5, v35, vcc_lo
	v_lshlrev_b64 v[38:39], 3, v[11:12]
	v_add_nc_u32_e32 v11, -5, v9
	global_load_dwordx2 v[32:33], v[32:33], off
	global_load_dwordx2 v[34:35], v[34:35], off
	v_add_co_u32 v36, vcc_lo, s2, v36
	v_lshlrev_b64 v[40:41], 3, v[11:12]
	v_add_nc_u32_e32 v11, 5, v16
	v_add_co_ci_u32_e64 v37, null, s3, v37, vcc_lo
	;; [unrolled: 10-line block ×5, first 2 shown]
	v_add_co_u32 v50, vcc_lo, s4, v50
	v_add_co_ci_u32_e64 v51, null, s5, v51, vcc_lo
	v_lshlrev_b64 v[54:55], 3, v[11:12]
	v_add_nc_u32_e32 v11, -1, v9
	global_load_dwordx2 v[48:49], v[48:49], off
	global_load_dwordx2 v[50:51], v[50:51], off
	v_add_co_u32 v52, vcc_lo, s2, v52
	v_add_co_ci_u32_e64 v53, null, s3, v53, vcc_lo
	v_lshlrev_b64 v[56:57], 3, v[11:12]
	v_add_nc_u32_e32 v11, 9, v16
	v_add_co_u32 v54, vcc_lo, s4, v54
	v_add_co_ci_u32_e64 v55, null, s5, v55, vcc_lo
	v_lshlrev_b64 v[58:59], 3, v[11:12]
	global_load_dwordx2 v[52:53], v[52:53], off
	v_add_nc_u32_e32 v11, 10, v16
	global_load_dwordx2 v[16:17], v[54:55], off
	v_add_co_u32 v54, vcc_lo, s2, v56
	v_add_co_ci_u32_e64 v55, null, s3, v57, vcc_lo
	v_add_co_u32 v56, vcc_lo, s4, v58
	v_add_co_ci_u32_e64 v57, null, s5, v59, vcc_lo
	v_lshlrev_b64 v[10:11], 3, v[11:12]
	global_load_dwordx2 v[54:55], v[54:55], off
	global_load_dwordx2 v[56:57], v[56:57], off
	v_add_nc_u32_e32 v9, 0x2c0, v9
	v_add_co_u32 v10, vcc_lo, s4, v10
	v_add_co_ci_u32_e64 v11, null, s5, v11, vcc_lo
	global_load_dwordx2 v[20:21], v[20:21], off
	global_load_dwordx2 v[10:11], v[10:11], off
	v_cmp_ge_i32_e32 vcc_lo, v7, v14
	s_or_b32 s10, vcc_lo, s10
	s_waitcnt vmcnt(19)
	v_fmac_f32_e32 v15, v18, v24
	v_fmac_f32_e32 v13, v19, v24
	v_fma_f32 v8, -v19, v25, v15
	v_fmac_f32_e32 v13, v18, v25
	s_waitcnt vmcnt(18)
	v_fmac_f32_e32 v8, v22, v26
	v_fmac_f32_e32 v13, v23, v26
	v_fma_f32 v8, -v23, v27, v8
	v_fmac_f32_e32 v13, v22, v27
	;; [unrolled: 5-line block ×11, first 2 shown]
	s_andn2_b32 exec_lo, exec_lo, s10
	s_cbranch_execnz .LBB201_6
; %bb.7:
	s_or_b32 exec_lo, exec_lo, s10
.LBB201_8:
	s_or_b32 exec_lo, exec_lo, s9
	v_mbcnt_lo_u32_b32 v7, -1, 0
	v_or_b32_e32 v8, 32, v7
	v_xor_b32_e32 v10, 16, v7
	v_xor_b32_e32 v12, 8, v7
	v_cmp_gt_i32_e32 vcc_lo, 32, v8
	v_cndmask_b32_e32 v8, v7, v8, vcc_lo
	v_cmp_gt_i32_e32 vcc_lo, 32, v10
	v_lshlrev_b32_e32 v8, 2, v8
	v_cndmask_b32_e32 v10, v7, v10, vcc_lo
	v_cmp_gt_i32_e32 vcc_lo, 32, v12
	ds_bpermute_b32 v9, v8, v15
	ds_bpermute_b32 v8, v8, v13
	v_lshlrev_b32_e32 v10, 2, v10
	v_cndmask_b32_e32 v12, v7, v12, vcc_lo
	v_lshlrev_b32_e32 v12, 2, v12
	s_waitcnt lgkmcnt(1)
	v_add_f32_e32 v9, v15, v9
	s_waitcnt lgkmcnt(0)
	v_add_f32_e32 v8, v13, v8
	ds_bpermute_b32 v11, v10, v9
	ds_bpermute_b32 v10, v10, v8
	s_waitcnt lgkmcnt(1)
	v_add_f32_e32 v9, v9, v11
	s_waitcnt lgkmcnt(0)
	v_add_f32_e32 v8, v8, v10
	ds_bpermute_b32 v10, v12, v9
	ds_bpermute_b32 v11, v12, v8
	v_xor_b32_e32 v12, 4, v7
	v_cmp_gt_i32_e32 vcc_lo, 32, v12
	v_cndmask_b32_e32 v12, v7, v12, vcc_lo
	v_lshlrev_b32_e32 v12, 2, v12
	s_waitcnt lgkmcnt(1)
	v_add_f32_e32 v9, v9, v10
	s_waitcnt lgkmcnt(0)
	v_add_f32_e32 v8, v8, v11
	ds_bpermute_b32 v10, v12, v9
	ds_bpermute_b32 v11, v12, v8
	v_xor_b32_e32 v12, 2, v7
	v_cmp_gt_i32_e32 vcc_lo, 32, v12
	v_cndmask_b32_e32 v12, v7, v12, vcc_lo
	v_lshlrev_b32_e32 v12, 2, v12
	s_waitcnt lgkmcnt(1)
	v_add_f32_e32 v9, v9, v10
	s_waitcnt lgkmcnt(0)
	v_add_f32_e32 v8, v8, v11
	ds_bpermute_b32 v10, v12, v9
	ds_bpermute_b32 v11, v12, v8
	v_xor_b32_e32 v12, 1, v7
	v_cmp_gt_i32_e32 vcc_lo, 32, v12
	v_cndmask_b32_e32 v7, v7, v12, vcc_lo
	v_cmp_eq_u32_e32 vcc_lo, 63, v0
	v_lshlrev_b32_e32 v12, 2, v7
	s_waitcnt lgkmcnt(1)
	v_add_f32_e32 v7, v9, v10
	s_waitcnt lgkmcnt(0)
	v_add_f32_e32 v9, v8, v11
	ds_bpermute_b32 v8, v12, v7
	ds_bpermute_b32 v10, v12, v9
	s_and_b32 exec_lo, exec_lo, vcc_lo
	s_cbranch_execz .LBB201_13
; %bb.9:
	s_waitcnt lgkmcnt(0)
	v_add_f32_e32 v0, v9, v10
	v_add_f32_e32 v9, v7, v8
	v_cmp_eq_f32_e32 vcc_lo, 0, v1
	v_cmp_eq_f32_e64 s0, 0, v2
	v_lshlrev_b64 v[5:6], 3, v[5:6]
	v_mul_f32_e64 v7, v0, -v4
	v_mul_f32_e32 v8, v3, v0
	s_and_b32 s0, vcc_lo, s0
	v_fmac_f32_e32 v7, v3, v9
	v_fmac_f32_e32 v8, v4, v9
	s_and_saveexec_b32 s1, s0
	s_xor_b32 s0, exec_lo, s1
	s_cbranch_execz .LBB201_11
; %bb.10:
	v_add_co_u32 v0, vcc_lo, s6, v5
	v_add_co_ci_u32_e64 v1, null, s7, v6, vcc_lo
                                        ; implicit-def: $vgpr5_vgpr6
	global_store_dwordx2 v[0:1], v[7:8], off
                                        ; implicit-def: $vgpr1_vgpr2
                                        ; implicit-def: $vgpr7
.LBB201_11:
	s_andn2_saveexec_b32 s0, s0
	s_cbranch_execz .LBB201_13
; %bb.12:
	v_add_co_u32 v3, vcc_lo, s6, v5
	v_add_co_ci_u32_e64 v4, null, s7, v6, vcc_lo
	global_load_dwordx2 v[5:6], v[3:4], off
	s_waitcnt vmcnt(0)
	v_fmac_f32_e32 v7, v1, v5
	v_fmac_f32_e32 v8, v2, v5
	v_fma_f32 v7, -v2, v6, v7
	v_fmac_f32_e32 v8, v1, v6
	global_store_dwordx2 v[3:4], v[7:8], off
.LBB201_13:
	s_endpgm
	.section	.rodata,"a",@progbits
	.p2align	6, 0x0
	.amdhsa_kernel _ZN9rocsparseL19gebsrmvn_1xn_kernelILj128ELj11ELj64E21rocsparse_complex_numIfEEEvi20rocsparse_direction_NS_24const_host_device_scalarIT2_EEPKiS8_PKS5_SA_S6_PS5_21rocsparse_index_base_b
		.amdhsa_group_segment_fixed_size 0
		.amdhsa_private_segment_fixed_size 0
		.amdhsa_kernarg_size 72
		.amdhsa_user_sgpr_count 6
		.amdhsa_user_sgpr_private_segment_buffer 1
		.amdhsa_user_sgpr_dispatch_ptr 0
		.amdhsa_user_sgpr_queue_ptr 0
		.amdhsa_user_sgpr_kernarg_segment_ptr 1
		.amdhsa_user_sgpr_dispatch_id 0
		.amdhsa_user_sgpr_flat_scratch_init 0
		.amdhsa_user_sgpr_private_segment_size 0
		.amdhsa_wavefront_size32 1
		.amdhsa_uses_dynamic_stack 0
		.amdhsa_system_sgpr_private_segment_wavefront_offset 0
		.amdhsa_system_sgpr_workgroup_id_x 1
		.amdhsa_system_sgpr_workgroup_id_y 0
		.amdhsa_system_sgpr_workgroup_id_z 0
		.amdhsa_system_sgpr_workgroup_info 0
		.amdhsa_system_vgpr_workitem_id 0
		.amdhsa_next_free_vgpr 60
		.amdhsa_next_free_sgpr 13
		.amdhsa_reserve_vcc 1
		.amdhsa_reserve_flat_scratch 0
		.amdhsa_float_round_mode_32 0
		.amdhsa_float_round_mode_16_64 0
		.amdhsa_float_denorm_mode_32 3
		.amdhsa_float_denorm_mode_16_64 3
		.amdhsa_dx10_clamp 1
		.amdhsa_ieee_mode 1
		.amdhsa_fp16_overflow 0
		.amdhsa_workgroup_processor_mode 1
		.amdhsa_memory_ordered 1
		.amdhsa_forward_progress 1
		.amdhsa_shared_vgpr_count 0
		.amdhsa_exception_fp_ieee_invalid_op 0
		.amdhsa_exception_fp_denorm_src 0
		.amdhsa_exception_fp_ieee_div_zero 0
		.amdhsa_exception_fp_ieee_overflow 0
		.amdhsa_exception_fp_ieee_underflow 0
		.amdhsa_exception_fp_ieee_inexact 0
		.amdhsa_exception_int_div_zero 0
	.end_amdhsa_kernel
	.section	.text._ZN9rocsparseL19gebsrmvn_1xn_kernelILj128ELj11ELj64E21rocsparse_complex_numIfEEEvi20rocsparse_direction_NS_24const_host_device_scalarIT2_EEPKiS8_PKS5_SA_S6_PS5_21rocsparse_index_base_b,"axG",@progbits,_ZN9rocsparseL19gebsrmvn_1xn_kernelILj128ELj11ELj64E21rocsparse_complex_numIfEEEvi20rocsparse_direction_NS_24const_host_device_scalarIT2_EEPKiS8_PKS5_SA_S6_PS5_21rocsparse_index_base_b,comdat
.Lfunc_end201:
	.size	_ZN9rocsparseL19gebsrmvn_1xn_kernelILj128ELj11ELj64E21rocsparse_complex_numIfEEEvi20rocsparse_direction_NS_24const_host_device_scalarIT2_EEPKiS8_PKS5_SA_S6_PS5_21rocsparse_index_base_b, .Lfunc_end201-_ZN9rocsparseL19gebsrmvn_1xn_kernelILj128ELj11ELj64E21rocsparse_complex_numIfEEEvi20rocsparse_direction_NS_24const_host_device_scalarIT2_EEPKiS8_PKS5_SA_S6_PS5_21rocsparse_index_base_b
                                        ; -- End function
	.set _ZN9rocsparseL19gebsrmvn_1xn_kernelILj128ELj11ELj64E21rocsparse_complex_numIfEEEvi20rocsparse_direction_NS_24const_host_device_scalarIT2_EEPKiS8_PKS5_SA_S6_PS5_21rocsparse_index_base_b.num_vgpr, 60
	.set _ZN9rocsparseL19gebsrmvn_1xn_kernelILj128ELj11ELj64E21rocsparse_complex_numIfEEEvi20rocsparse_direction_NS_24const_host_device_scalarIT2_EEPKiS8_PKS5_SA_S6_PS5_21rocsparse_index_base_b.num_agpr, 0
	.set _ZN9rocsparseL19gebsrmvn_1xn_kernelILj128ELj11ELj64E21rocsparse_complex_numIfEEEvi20rocsparse_direction_NS_24const_host_device_scalarIT2_EEPKiS8_PKS5_SA_S6_PS5_21rocsparse_index_base_b.numbered_sgpr, 13
	.set _ZN9rocsparseL19gebsrmvn_1xn_kernelILj128ELj11ELj64E21rocsparse_complex_numIfEEEvi20rocsparse_direction_NS_24const_host_device_scalarIT2_EEPKiS8_PKS5_SA_S6_PS5_21rocsparse_index_base_b.num_named_barrier, 0
	.set _ZN9rocsparseL19gebsrmvn_1xn_kernelILj128ELj11ELj64E21rocsparse_complex_numIfEEEvi20rocsparse_direction_NS_24const_host_device_scalarIT2_EEPKiS8_PKS5_SA_S6_PS5_21rocsparse_index_base_b.private_seg_size, 0
	.set _ZN9rocsparseL19gebsrmvn_1xn_kernelILj128ELj11ELj64E21rocsparse_complex_numIfEEEvi20rocsparse_direction_NS_24const_host_device_scalarIT2_EEPKiS8_PKS5_SA_S6_PS5_21rocsparse_index_base_b.uses_vcc, 1
	.set _ZN9rocsparseL19gebsrmvn_1xn_kernelILj128ELj11ELj64E21rocsparse_complex_numIfEEEvi20rocsparse_direction_NS_24const_host_device_scalarIT2_EEPKiS8_PKS5_SA_S6_PS5_21rocsparse_index_base_b.uses_flat_scratch, 0
	.set _ZN9rocsparseL19gebsrmvn_1xn_kernelILj128ELj11ELj64E21rocsparse_complex_numIfEEEvi20rocsparse_direction_NS_24const_host_device_scalarIT2_EEPKiS8_PKS5_SA_S6_PS5_21rocsparse_index_base_b.has_dyn_sized_stack, 0
	.set _ZN9rocsparseL19gebsrmvn_1xn_kernelILj128ELj11ELj64E21rocsparse_complex_numIfEEEvi20rocsparse_direction_NS_24const_host_device_scalarIT2_EEPKiS8_PKS5_SA_S6_PS5_21rocsparse_index_base_b.has_recursion, 0
	.set _ZN9rocsparseL19gebsrmvn_1xn_kernelILj128ELj11ELj64E21rocsparse_complex_numIfEEEvi20rocsparse_direction_NS_24const_host_device_scalarIT2_EEPKiS8_PKS5_SA_S6_PS5_21rocsparse_index_base_b.has_indirect_call, 0
	.section	.AMDGPU.csdata,"",@progbits
; Kernel info:
; codeLenInByte = 1956
; TotalNumSgprs: 15
; NumVgprs: 60
; ScratchSize: 0
; MemoryBound: 0
; FloatMode: 240
; IeeeMode: 1
; LDSByteSize: 0 bytes/workgroup (compile time only)
; SGPRBlocks: 0
; VGPRBlocks: 7
; NumSGPRsForWavesPerEU: 15
; NumVGPRsForWavesPerEU: 60
; Occupancy: 16
; WaveLimiterHint : 1
; COMPUTE_PGM_RSRC2:SCRATCH_EN: 0
; COMPUTE_PGM_RSRC2:USER_SGPR: 6
; COMPUTE_PGM_RSRC2:TRAP_HANDLER: 0
; COMPUTE_PGM_RSRC2:TGID_X_EN: 1
; COMPUTE_PGM_RSRC2:TGID_Y_EN: 0
; COMPUTE_PGM_RSRC2:TGID_Z_EN: 0
; COMPUTE_PGM_RSRC2:TIDIG_COMP_CNT: 0
	.section	.text._ZN9rocsparseL19gebsrmvn_1xn_kernelILj128ELj12ELj4E21rocsparse_complex_numIfEEEvi20rocsparse_direction_NS_24const_host_device_scalarIT2_EEPKiS8_PKS5_SA_S6_PS5_21rocsparse_index_base_b,"axG",@progbits,_ZN9rocsparseL19gebsrmvn_1xn_kernelILj128ELj12ELj4E21rocsparse_complex_numIfEEEvi20rocsparse_direction_NS_24const_host_device_scalarIT2_EEPKiS8_PKS5_SA_S6_PS5_21rocsparse_index_base_b,comdat
	.globl	_ZN9rocsparseL19gebsrmvn_1xn_kernelILj128ELj12ELj4E21rocsparse_complex_numIfEEEvi20rocsparse_direction_NS_24const_host_device_scalarIT2_EEPKiS8_PKS5_SA_S6_PS5_21rocsparse_index_base_b ; -- Begin function _ZN9rocsparseL19gebsrmvn_1xn_kernelILj128ELj12ELj4E21rocsparse_complex_numIfEEEvi20rocsparse_direction_NS_24const_host_device_scalarIT2_EEPKiS8_PKS5_SA_S6_PS5_21rocsparse_index_base_b
	.p2align	8
	.type	_ZN9rocsparseL19gebsrmvn_1xn_kernelILj128ELj12ELj4E21rocsparse_complex_numIfEEEvi20rocsparse_direction_NS_24const_host_device_scalarIT2_EEPKiS8_PKS5_SA_S6_PS5_21rocsparse_index_base_b,@function
_ZN9rocsparseL19gebsrmvn_1xn_kernelILj128ELj12ELj4E21rocsparse_complex_numIfEEEvi20rocsparse_direction_NS_24const_host_device_scalarIT2_EEPKiS8_PKS5_SA_S6_PS5_21rocsparse_index_base_b: ; @_ZN9rocsparseL19gebsrmvn_1xn_kernelILj128ELj12ELj4E21rocsparse_complex_numIfEEEvi20rocsparse_direction_NS_24const_host_device_scalarIT2_EEPKiS8_PKS5_SA_S6_PS5_21rocsparse_index_base_b
; %bb.0:
	s_clause 0x2
	s_load_dwordx2 s[8:9], s[4:5], 0x40
	s_load_dwordx2 s[0:1], s[4:5], 0x8
	;; [unrolled: 1-line block ×3, first 2 shown]
	s_add_u32 s7, s4, 8
	s_addc_u32 s10, s5, 0
	s_add_u32 s11, s4, 48
	s_addc_u32 s12, s5, 0
	s_waitcnt lgkmcnt(0)
	s_bitcmp1_b32 s9, 0
	s_cselect_b32 s0, s7, s0
	s_cselect_b32 s1, s10, s1
	v_mov_b32_e32 v1, s0
	v_mov_b32_e32 v2, s1
	s_cselect_b32 s0, s11, s2
	s_cselect_b32 s1, s12, s3
	flat_load_dwordx2 v[3:4], v[1:2]
	v_mov_b32_e32 v1, s0
	v_mov_b32_e32 v2, s1
	flat_load_dwordx2 v[1:2], v[1:2]
	s_waitcnt vmcnt(1) lgkmcnt(1)
	v_cmp_eq_f32_e32 vcc_lo, 0, v3
	v_cmp_eq_f32_e64 s0, 0, v4
	s_and_b32 s2, vcc_lo, s0
	s_mov_b32 s0, -1
	s_and_saveexec_b32 s1, s2
	s_cbranch_execz .LBB202_2
; %bb.1:
	s_waitcnt vmcnt(0) lgkmcnt(0)
	v_cmp_neq_f32_e32 vcc_lo, 1.0, v1
	v_cmp_neq_f32_e64 s0, 0, v2
	s_or_b32 s0, vcc_lo, s0
	s_orn2_b32 s0, s0, exec_lo
.LBB202_2:
	s_or_b32 exec_lo, exec_lo, s1
	s_and_saveexec_b32 s1, s0
	s_cbranch_execz .LBB202_13
; %bb.3:
	s_load_dword s0, s[4:5], 0x0
	v_lshrrev_b32_e32 v5, 2, v0
	v_lshl_or_b32 v5, s6, 5, v5
	s_waitcnt lgkmcnt(0)
	v_cmp_gt_i32_e32 vcc_lo, s0, v5
	s_and_b32 exec_lo, exec_lo, vcc_lo
	s_cbranch_execz .LBB202_13
; %bb.4:
	s_clause 0x1
	s_load_dwordx2 s[0:1], s[4:5], 0x10
	s_load_dwordx2 s[6:7], s[4:5], 0x38
	v_ashrrev_i32_e32 v6, 31, v5
	v_and_b32_e32 v0, 3, v0
	v_mov_b32_e32 v13, 0
	v_mov_b32_e32 v15, 0
	s_mov_b32 s9, exec_lo
	v_lshlrev_b64 v[7:8], 2, v[5:6]
	v_subrev_nc_u32_e32 v9, s8, v0
	s_waitcnt lgkmcnt(0)
	v_add_co_u32 v7, vcc_lo, s0, v7
	v_add_co_ci_u32_e64 v8, null, s1, v8, vcc_lo
	global_load_dwordx2 v[7:8], v[7:8], off
	s_waitcnt vmcnt(0)
	v_subrev_nc_u32_e32 v14, s8, v8
	v_add_nc_u32_e32 v7, v7, v9
	v_cmpx_lt_i32_e64 v7, v14
	s_cbranch_execz .LBB202_8
; %bb.5:
	s_clause 0x1
	s_load_dwordx4 s[0:3], s[4:5], 0x18
	s_load_dwordx2 s[4:5], s[4:5], 0x28
	v_mad_u64_u32 v[9:10], null, v7, 12, 11
	v_mov_b32_e32 v12, 0
	v_mov_b32_e32 v13, 0
	;; [unrolled: 1-line block ×3, first 2 shown]
	s_mov_b32 s10, 0
.LBB202_6:                              ; =>This Inner Loop Header: Depth=1
	v_ashrrev_i32_e32 v8, 31, v7
	v_mov_b32_e32 v41, v12
	v_lshlrev_b64 v[10:11], 2, v[7:8]
	v_add_nc_u32_e32 v7, 4, v7
	s_waitcnt lgkmcnt(0)
	v_add_co_u32 v10, vcc_lo, s0, v10
	v_add_co_ci_u32_e64 v11, null, s1, v11, vcc_lo
	global_load_dword v8, v[10:11], off
	v_add_nc_u32_e32 v11, -11, v9
	v_mov_b32_e32 v10, v12
	v_lshlrev_b64 v[16:17], 3, v[11:12]
	v_add_nc_u32_e32 v11, -7, v9
	v_lshlrev_b64 v[32:33], 3, v[11:12]
	v_add_co_u32 v20, vcc_lo, s2, v16
	v_add_co_ci_u32_e64 v21, null, s3, v17, vcc_lo
	s_clause 0x1
	global_load_dwordx4 v[16:19], v[20:21], off offset:16
	global_load_dwordx4 v[20:23], v[20:21], off
	s_waitcnt vmcnt(2)
	v_subrev_nc_u32_e32 v8, s8, v8
	v_mul_lo_u32 v40, v8, 12
	v_lshlrev_b64 v[24:25], 3, v[40:41]
	v_add_nc_u32_e32 v11, 4, v40
	v_add_co_u32 v28, vcc_lo, s4, v24
	v_add_co_ci_u32_e64 v29, null, s5, v25, vcc_lo
	v_add_co_u32 v32, vcc_lo, s2, v32
	v_add_co_ci_u32_e64 v33, null, s3, v33, vcc_lo
	s_clause 0x1
	global_load_dwordx4 v[24:27], v[28:29], off offset:16
	global_load_dwordx4 v[28:31], v[28:29], off
	global_load_dwordx2 v[48:49], v[32:33], off
	v_lshlrev_b64 v[32:33], 3, v[11:12]
	v_add_nc_u32_e32 v11, -6, v9
	v_lshlrev_b64 v[41:42], 3, v[11:12]
	v_add_co_u32 v36, vcc_lo, s4, v32
	v_add_co_ci_u32_e64 v37, null, s5, v33, vcc_lo
	s_clause 0x1
	global_load_dwordx4 v[32:35], v[36:37], off offset:16
	global_load_dwordx4 v[36:39], v[36:37], off
	v_add_nc_u32_e32 v11, -5, v9
	v_add_co_u32 v41, vcc_lo, s2, v41
	v_add_co_ci_u32_e64 v42, null, s3, v42, vcc_lo
	v_lshlrev_b64 v[43:44], 3, v[11:12]
	v_add_nc_u32_e32 v11, -4, v9
	global_load_dwordx2 v[50:51], v[41:42], off
	v_add_co_u32 v41, vcc_lo, s2, v43
	v_add_co_ci_u32_e64 v42, null, s3, v44, vcc_lo
	v_lshlrev_b64 v[45:46], 3, v[11:12]
	v_add_nc_u32_e32 v11, -3, v9
	global_load_dwordx2 v[52:53], v[41:42], off
	v_lshlrev_b64 v[43:44], 3, v[11:12]
	v_add_nc_u32_e32 v11, 8, v40
	v_add_co_u32 v40, vcc_lo, s2, v45
	v_add_co_ci_u32_e64 v41, null, s3, v46, vcc_lo
	v_lshlrev_b64 v[45:46], 3, v[11:12]
	v_add_nc_u32_e32 v11, -2, v9
	global_load_dwordx2 v[54:55], v[40:41], off
	v_add_co_u32 v40, vcc_lo, s2, v43
	v_add_co_ci_u32_e64 v41, null, s3, v44, vcc_lo
	v_add_co_u32 v44, vcc_lo, s4, v45
	v_add_co_ci_u32_e64 v45, null, s5, v46, vcc_lo
	v_lshlrev_b64 v[56:57], 3, v[11:12]
	global_load_dwordx2 v[58:59], v[40:41], off
	s_clause 0x1
	global_load_dwordx4 v[40:43], v[44:45], off
	global_load_dwordx4 v[44:47], v[44:45], off offset:16
	v_add_nc_u32_e32 v11, -1, v9
	v_add_co_u32 v56, vcc_lo, s2, v56
	v_add_co_ci_u32_e64 v57, null, s3, v57, vcc_lo
	v_lshlrev_b64 v[60:61], 3, v[11:12]
	v_lshlrev_b64 v[10:11], 3, v[9:10]
	v_add_nc_u32_e32 v9, 48, v9
	global_load_dwordx2 v[56:57], v[56:57], off
	v_add_co_u32 v60, vcc_lo, s2, v60
	v_add_co_ci_u32_e64 v61, null, s3, v61, vcc_lo
	v_add_co_u32 v10, vcc_lo, s2, v10
	v_add_co_ci_u32_e64 v11, null, s3, v11, vcc_lo
	global_load_dwordx2 v[60:61], v[60:61], off
	v_cmp_ge_i32_e32 vcc_lo, v7, v14
	global_load_dwordx2 v[10:11], v[10:11], off
	s_or_b32 s10, vcc_lo, s10
	s_waitcnt vmcnt(12)
	v_fmac_f32_e32 v15, v20, v28
	v_fmac_f32_e32 v13, v21, v28
	v_fma_f32 v8, -v21, v29, v15
	v_fmac_f32_e32 v13, v20, v29
	v_fmac_f32_e32 v8, v22, v30
	v_fmac_f32_e32 v13, v23, v30
	v_fma_f32 v8, -v23, v31, v8
	v_fmac_f32_e32 v13, v22, v31
	;; [unrolled: 4-line block ×4, first 2 shown]
	s_waitcnt vmcnt(9)
	v_fmac_f32_e32 v8, v48, v36
	v_fmac_f32_e32 v13, v49, v36
	v_fma_f32 v8, -v49, v37, v8
	v_fmac_f32_e32 v13, v48, v37
	s_waitcnt vmcnt(8)
	v_fmac_f32_e32 v8, v50, v38
	v_fmac_f32_e32 v13, v51, v38
	v_fma_f32 v8, -v51, v39, v8
	v_fmac_f32_e32 v13, v50, v39
	;; [unrolled: 5-line block ×8, first 2 shown]
	s_andn2_b32 exec_lo, exec_lo, s10
	s_cbranch_execnz .LBB202_6
; %bb.7:
	s_or_b32 exec_lo, exec_lo, s10
.LBB202_8:
	s_or_b32 exec_lo, exec_lo, s9
	v_mbcnt_lo_u32_b32 v7, -1, 0
	v_xor_b32_e32 v8, 2, v7
	v_xor_b32_e32 v10, 1, v7
	v_cmp_gt_i32_e32 vcc_lo, 32, v8
	v_cndmask_b32_e32 v8, v7, v8, vcc_lo
	v_cmp_gt_i32_e32 vcc_lo, 32, v10
	v_lshlrev_b32_e32 v8, 2, v8
	v_cndmask_b32_e32 v7, v7, v10, vcc_lo
	v_cmp_eq_u32_e32 vcc_lo, 3, v0
	ds_bpermute_b32 v9, v8, v15
	ds_bpermute_b32 v8, v8, v13
	v_lshlrev_b32_e32 v10, 2, v7
	s_waitcnt lgkmcnt(1)
	v_add_f32_e32 v7, v15, v9
	s_waitcnt lgkmcnt(0)
	v_add_f32_e32 v9, v13, v8
	ds_bpermute_b32 v8, v10, v7
	ds_bpermute_b32 v10, v10, v9
	s_and_b32 exec_lo, exec_lo, vcc_lo
	s_cbranch_execz .LBB202_13
; %bb.9:
	s_waitcnt lgkmcnt(0)
	v_add_f32_e32 v0, v9, v10
	v_add_f32_e32 v9, v7, v8
	v_cmp_eq_f32_e32 vcc_lo, 0, v1
	v_cmp_eq_f32_e64 s0, 0, v2
	v_lshlrev_b64 v[5:6], 3, v[5:6]
	v_mul_f32_e64 v7, v0, -v4
	v_mul_f32_e32 v8, v3, v0
	s_and_b32 s0, vcc_lo, s0
	v_fmac_f32_e32 v7, v3, v9
	v_fmac_f32_e32 v8, v4, v9
	s_and_saveexec_b32 s1, s0
	s_xor_b32 s0, exec_lo, s1
	s_cbranch_execz .LBB202_11
; %bb.10:
	v_add_co_u32 v0, vcc_lo, s6, v5
	v_add_co_ci_u32_e64 v1, null, s7, v6, vcc_lo
                                        ; implicit-def: $vgpr5_vgpr6
	global_store_dwordx2 v[0:1], v[7:8], off
                                        ; implicit-def: $vgpr1_vgpr2
                                        ; implicit-def: $vgpr7
.LBB202_11:
	s_andn2_saveexec_b32 s0, s0
	s_cbranch_execz .LBB202_13
; %bb.12:
	v_add_co_u32 v3, vcc_lo, s6, v5
	v_add_co_ci_u32_e64 v4, null, s7, v6, vcc_lo
	global_load_dwordx2 v[5:6], v[3:4], off
	s_waitcnt vmcnt(0)
	v_fmac_f32_e32 v7, v1, v5
	v_fmac_f32_e32 v8, v2, v5
	v_fma_f32 v7, -v2, v6, v7
	v_fmac_f32_e32 v8, v1, v6
	global_store_dwordx2 v[3:4], v[7:8], off
.LBB202_13:
	s_endpgm
	.section	.rodata,"a",@progbits
	.p2align	6, 0x0
	.amdhsa_kernel _ZN9rocsparseL19gebsrmvn_1xn_kernelILj128ELj12ELj4E21rocsparse_complex_numIfEEEvi20rocsparse_direction_NS_24const_host_device_scalarIT2_EEPKiS8_PKS5_SA_S6_PS5_21rocsparse_index_base_b
		.amdhsa_group_segment_fixed_size 0
		.amdhsa_private_segment_fixed_size 0
		.amdhsa_kernarg_size 72
		.amdhsa_user_sgpr_count 6
		.amdhsa_user_sgpr_private_segment_buffer 1
		.amdhsa_user_sgpr_dispatch_ptr 0
		.amdhsa_user_sgpr_queue_ptr 0
		.amdhsa_user_sgpr_kernarg_segment_ptr 1
		.amdhsa_user_sgpr_dispatch_id 0
		.amdhsa_user_sgpr_flat_scratch_init 0
		.amdhsa_user_sgpr_private_segment_size 0
		.amdhsa_wavefront_size32 1
		.amdhsa_uses_dynamic_stack 0
		.amdhsa_system_sgpr_private_segment_wavefront_offset 0
		.amdhsa_system_sgpr_workgroup_id_x 1
		.amdhsa_system_sgpr_workgroup_id_y 0
		.amdhsa_system_sgpr_workgroup_id_z 0
		.amdhsa_system_sgpr_workgroup_info 0
		.amdhsa_system_vgpr_workitem_id 0
		.amdhsa_next_free_vgpr 62
		.amdhsa_next_free_sgpr 13
		.amdhsa_reserve_vcc 1
		.amdhsa_reserve_flat_scratch 0
		.amdhsa_float_round_mode_32 0
		.amdhsa_float_round_mode_16_64 0
		.amdhsa_float_denorm_mode_32 3
		.amdhsa_float_denorm_mode_16_64 3
		.amdhsa_dx10_clamp 1
		.amdhsa_ieee_mode 1
		.amdhsa_fp16_overflow 0
		.amdhsa_workgroup_processor_mode 1
		.amdhsa_memory_ordered 1
		.amdhsa_forward_progress 1
		.amdhsa_shared_vgpr_count 0
		.amdhsa_exception_fp_ieee_invalid_op 0
		.amdhsa_exception_fp_denorm_src 0
		.amdhsa_exception_fp_ieee_div_zero 0
		.amdhsa_exception_fp_ieee_overflow 0
		.amdhsa_exception_fp_ieee_underflow 0
		.amdhsa_exception_fp_ieee_inexact 0
		.amdhsa_exception_int_div_zero 0
	.end_amdhsa_kernel
	.section	.text._ZN9rocsparseL19gebsrmvn_1xn_kernelILj128ELj12ELj4E21rocsparse_complex_numIfEEEvi20rocsparse_direction_NS_24const_host_device_scalarIT2_EEPKiS8_PKS5_SA_S6_PS5_21rocsparse_index_base_b,"axG",@progbits,_ZN9rocsparseL19gebsrmvn_1xn_kernelILj128ELj12ELj4E21rocsparse_complex_numIfEEEvi20rocsparse_direction_NS_24const_host_device_scalarIT2_EEPKiS8_PKS5_SA_S6_PS5_21rocsparse_index_base_b,comdat
.Lfunc_end202:
	.size	_ZN9rocsparseL19gebsrmvn_1xn_kernelILj128ELj12ELj4E21rocsparse_complex_numIfEEEvi20rocsparse_direction_NS_24const_host_device_scalarIT2_EEPKiS8_PKS5_SA_S6_PS5_21rocsparse_index_base_b, .Lfunc_end202-_ZN9rocsparseL19gebsrmvn_1xn_kernelILj128ELj12ELj4E21rocsparse_complex_numIfEEEvi20rocsparse_direction_NS_24const_host_device_scalarIT2_EEPKiS8_PKS5_SA_S6_PS5_21rocsparse_index_base_b
                                        ; -- End function
	.set _ZN9rocsparseL19gebsrmvn_1xn_kernelILj128ELj12ELj4E21rocsparse_complex_numIfEEEvi20rocsparse_direction_NS_24const_host_device_scalarIT2_EEPKiS8_PKS5_SA_S6_PS5_21rocsparse_index_base_b.num_vgpr, 62
	.set _ZN9rocsparseL19gebsrmvn_1xn_kernelILj128ELj12ELj4E21rocsparse_complex_numIfEEEvi20rocsparse_direction_NS_24const_host_device_scalarIT2_EEPKiS8_PKS5_SA_S6_PS5_21rocsparse_index_base_b.num_agpr, 0
	.set _ZN9rocsparseL19gebsrmvn_1xn_kernelILj128ELj12ELj4E21rocsparse_complex_numIfEEEvi20rocsparse_direction_NS_24const_host_device_scalarIT2_EEPKiS8_PKS5_SA_S6_PS5_21rocsparse_index_base_b.numbered_sgpr, 13
	.set _ZN9rocsparseL19gebsrmvn_1xn_kernelILj128ELj12ELj4E21rocsparse_complex_numIfEEEvi20rocsparse_direction_NS_24const_host_device_scalarIT2_EEPKiS8_PKS5_SA_S6_PS5_21rocsparse_index_base_b.num_named_barrier, 0
	.set _ZN9rocsparseL19gebsrmvn_1xn_kernelILj128ELj12ELj4E21rocsparse_complex_numIfEEEvi20rocsparse_direction_NS_24const_host_device_scalarIT2_EEPKiS8_PKS5_SA_S6_PS5_21rocsparse_index_base_b.private_seg_size, 0
	.set _ZN9rocsparseL19gebsrmvn_1xn_kernelILj128ELj12ELj4E21rocsparse_complex_numIfEEEvi20rocsparse_direction_NS_24const_host_device_scalarIT2_EEPKiS8_PKS5_SA_S6_PS5_21rocsparse_index_base_b.uses_vcc, 1
	.set _ZN9rocsparseL19gebsrmvn_1xn_kernelILj128ELj12ELj4E21rocsparse_complex_numIfEEEvi20rocsparse_direction_NS_24const_host_device_scalarIT2_EEPKiS8_PKS5_SA_S6_PS5_21rocsparse_index_base_b.uses_flat_scratch, 0
	.set _ZN9rocsparseL19gebsrmvn_1xn_kernelILj128ELj12ELj4E21rocsparse_complex_numIfEEEvi20rocsparse_direction_NS_24const_host_device_scalarIT2_EEPKiS8_PKS5_SA_S6_PS5_21rocsparse_index_base_b.has_dyn_sized_stack, 0
	.set _ZN9rocsparseL19gebsrmvn_1xn_kernelILj128ELj12ELj4E21rocsparse_complex_numIfEEEvi20rocsparse_direction_NS_24const_host_device_scalarIT2_EEPKiS8_PKS5_SA_S6_PS5_21rocsparse_index_base_b.has_recursion, 0
	.set _ZN9rocsparseL19gebsrmvn_1xn_kernelILj128ELj12ELj4E21rocsparse_complex_numIfEEEvi20rocsparse_direction_NS_24const_host_device_scalarIT2_EEPKiS8_PKS5_SA_S6_PS5_21rocsparse_index_base_b.has_indirect_call, 0
	.section	.AMDGPU.csdata,"",@progbits
; Kernel info:
; codeLenInByte = 1456
; TotalNumSgprs: 15
; NumVgprs: 62
; ScratchSize: 0
; MemoryBound: 0
; FloatMode: 240
; IeeeMode: 1
; LDSByteSize: 0 bytes/workgroup (compile time only)
; SGPRBlocks: 0
; VGPRBlocks: 7
; NumSGPRsForWavesPerEU: 15
; NumVGPRsForWavesPerEU: 62
; Occupancy: 16
; WaveLimiterHint : 1
; COMPUTE_PGM_RSRC2:SCRATCH_EN: 0
; COMPUTE_PGM_RSRC2:USER_SGPR: 6
; COMPUTE_PGM_RSRC2:TRAP_HANDLER: 0
; COMPUTE_PGM_RSRC2:TGID_X_EN: 1
; COMPUTE_PGM_RSRC2:TGID_Y_EN: 0
; COMPUTE_PGM_RSRC2:TGID_Z_EN: 0
; COMPUTE_PGM_RSRC2:TIDIG_COMP_CNT: 0
	.section	.text._ZN9rocsparseL19gebsrmvn_1xn_kernelILj128ELj12ELj8E21rocsparse_complex_numIfEEEvi20rocsparse_direction_NS_24const_host_device_scalarIT2_EEPKiS8_PKS5_SA_S6_PS5_21rocsparse_index_base_b,"axG",@progbits,_ZN9rocsparseL19gebsrmvn_1xn_kernelILj128ELj12ELj8E21rocsparse_complex_numIfEEEvi20rocsparse_direction_NS_24const_host_device_scalarIT2_EEPKiS8_PKS5_SA_S6_PS5_21rocsparse_index_base_b,comdat
	.globl	_ZN9rocsparseL19gebsrmvn_1xn_kernelILj128ELj12ELj8E21rocsparse_complex_numIfEEEvi20rocsparse_direction_NS_24const_host_device_scalarIT2_EEPKiS8_PKS5_SA_S6_PS5_21rocsparse_index_base_b ; -- Begin function _ZN9rocsparseL19gebsrmvn_1xn_kernelILj128ELj12ELj8E21rocsparse_complex_numIfEEEvi20rocsparse_direction_NS_24const_host_device_scalarIT2_EEPKiS8_PKS5_SA_S6_PS5_21rocsparse_index_base_b
	.p2align	8
	.type	_ZN9rocsparseL19gebsrmvn_1xn_kernelILj128ELj12ELj8E21rocsparse_complex_numIfEEEvi20rocsparse_direction_NS_24const_host_device_scalarIT2_EEPKiS8_PKS5_SA_S6_PS5_21rocsparse_index_base_b,@function
_ZN9rocsparseL19gebsrmvn_1xn_kernelILj128ELj12ELj8E21rocsparse_complex_numIfEEEvi20rocsparse_direction_NS_24const_host_device_scalarIT2_EEPKiS8_PKS5_SA_S6_PS5_21rocsparse_index_base_b: ; @_ZN9rocsparseL19gebsrmvn_1xn_kernelILj128ELj12ELj8E21rocsparse_complex_numIfEEEvi20rocsparse_direction_NS_24const_host_device_scalarIT2_EEPKiS8_PKS5_SA_S6_PS5_21rocsparse_index_base_b
; %bb.0:
	s_clause 0x2
	s_load_dwordx2 s[8:9], s[4:5], 0x40
	s_load_dwordx2 s[0:1], s[4:5], 0x8
	;; [unrolled: 1-line block ×3, first 2 shown]
	s_add_u32 s7, s4, 8
	s_addc_u32 s10, s5, 0
	s_add_u32 s11, s4, 48
	s_addc_u32 s12, s5, 0
	s_waitcnt lgkmcnt(0)
	s_bitcmp1_b32 s9, 0
	s_cselect_b32 s0, s7, s0
	s_cselect_b32 s1, s10, s1
	v_mov_b32_e32 v1, s0
	v_mov_b32_e32 v2, s1
	s_cselect_b32 s0, s11, s2
	s_cselect_b32 s1, s12, s3
	flat_load_dwordx2 v[3:4], v[1:2]
	v_mov_b32_e32 v1, s0
	v_mov_b32_e32 v2, s1
	flat_load_dwordx2 v[1:2], v[1:2]
	s_waitcnt vmcnt(1) lgkmcnt(1)
	v_cmp_eq_f32_e32 vcc_lo, 0, v3
	v_cmp_eq_f32_e64 s0, 0, v4
	s_and_b32 s2, vcc_lo, s0
	s_mov_b32 s0, -1
	s_and_saveexec_b32 s1, s2
	s_cbranch_execz .LBB203_2
; %bb.1:
	s_waitcnt vmcnt(0) lgkmcnt(0)
	v_cmp_neq_f32_e32 vcc_lo, 1.0, v1
	v_cmp_neq_f32_e64 s0, 0, v2
	s_or_b32 s0, vcc_lo, s0
	s_orn2_b32 s0, s0, exec_lo
.LBB203_2:
	s_or_b32 exec_lo, exec_lo, s1
	s_and_saveexec_b32 s1, s0
	s_cbranch_execz .LBB203_13
; %bb.3:
	s_load_dword s0, s[4:5], 0x0
	v_lshrrev_b32_e32 v5, 3, v0
	v_lshl_or_b32 v5, s6, 4, v5
	s_waitcnt lgkmcnt(0)
	v_cmp_gt_i32_e32 vcc_lo, s0, v5
	s_and_b32 exec_lo, exec_lo, vcc_lo
	s_cbranch_execz .LBB203_13
; %bb.4:
	s_clause 0x1
	s_load_dwordx2 s[0:1], s[4:5], 0x10
	s_load_dwordx2 s[6:7], s[4:5], 0x38
	v_ashrrev_i32_e32 v6, 31, v5
	v_and_b32_e32 v0, 7, v0
	v_mov_b32_e32 v13, 0
	v_mov_b32_e32 v15, 0
	s_mov_b32 s9, exec_lo
	v_lshlrev_b64 v[7:8], 2, v[5:6]
	v_subrev_nc_u32_e32 v9, s8, v0
	s_waitcnt lgkmcnt(0)
	v_add_co_u32 v7, vcc_lo, s0, v7
	v_add_co_ci_u32_e64 v8, null, s1, v8, vcc_lo
	global_load_dwordx2 v[7:8], v[7:8], off
	s_waitcnt vmcnt(0)
	v_subrev_nc_u32_e32 v14, s8, v8
	v_add_nc_u32_e32 v7, v7, v9
	v_cmpx_lt_i32_e64 v7, v14
	s_cbranch_execz .LBB203_8
; %bb.5:
	s_clause 0x1
	s_load_dwordx4 s[0:3], s[4:5], 0x18
	s_load_dwordx2 s[4:5], s[4:5], 0x28
	v_mad_u64_u32 v[9:10], null, v7, 12, 11
	v_mov_b32_e32 v12, 0
	v_mov_b32_e32 v13, 0
	;; [unrolled: 1-line block ×3, first 2 shown]
	s_mov_b32 s10, 0
.LBB203_6:                              ; =>This Inner Loop Header: Depth=1
	v_ashrrev_i32_e32 v8, 31, v7
	v_mov_b32_e32 v41, v12
	v_lshlrev_b64 v[10:11], 2, v[7:8]
	v_add_nc_u32_e32 v7, 8, v7
	s_waitcnt lgkmcnt(0)
	v_add_co_u32 v10, vcc_lo, s0, v10
	v_add_co_ci_u32_e64 v11, null, s1, v11, vcc_lo
	global_load_dword v8, v[10:11], off
	v_add_nc_u32_e32 v11, -11, v9
	v_mov_b32_e32 v10, v12
	v_lshlrev_b64 v[16:17], 3, v[11:12]
	v_add_nc_u32_e32 v11, -7, v9
	v_lshlrev_b64 v[32:33], 3, v[11:12]
	v_add_co_u32 v20, vcc_lo, s2, v16
	v_add_co_ci_u32_e64 v21, null, s3, v17, vcc_lo
	s_clause 0x1
	global_load_dwordx4 v[16:19], v[20:21], off offset:16
	global_load_dwordx4 v[20:23], v[20:21], off
	s_waitcnt vmcnt(2)
	v_subrev_nc_u32_e32 v8, s8, v8
	v_mul_lo_u32 v40, v8, 12
	v_lshlrev_b64 v[24:25], 3, v[40:41]
	v_add_nc_u32_e32 v11, 4, v40
	v_add_co_u32 v28, vcc_lo, s4, v24
	v_add_co_ci_u32_e64 v29, null, s5, v25, vcc_lo
	v_add_co_u32 v32, vcc_lo, s2, v32
	v_add_co_ci_u32_e64 v33, null, s3, v33, vcc_lo
	s_clause 0x1
	global_load_dwordx4 v[24:27], v[28:29], off offset:16
	global_load_dwordx4 v[28:31], v[28:29], off
	global_load_dwordx2 v[48:49], v[32:33], off
	v_lshlrev_b64 v[32:33], 3, v[11:12]
	v_add_nc_u32_e32 v11, -6, v9
	v_lshlrev_b64 v[41:42], 3, v[11:12]
	v_add_co_u32 v36, vcc_lo, s4, v32
	v_add_co_ci_u32_e64 v37, null, s5, v33, vcc_lo
	s_clause 0x1
	global_load_dwordx4 v[32:35], v[36:37], off offset:16
	global_load_dwordx4 v[36:39], v[36:37], off
	v_add_nc_u32_e32 v11, -5, v9
	v_add_co_u32 v41, vcc_lo, s2, v41
	v_add_co_ci_u32_e64 v42, null, s3, v42, vcc_lo
	v_lshlrev_b64 v[43:44], 3, v[11:12]
	v_add_nc_u32_e32 v11, -4, v9
	global_load_dwordx2 v[50:51], v[41:42], off
	v_add_co_u32 v41, vcc_lo, s2, v43
	v_add_co_ci_u32_e64 v42, null, s3, v44, vcc_lo
	v_lshlrev_b64 v[45:46], 3, v[11:12]
	v_add_nc_u32_e32 v11, -3, v9
	global_load_dwordx2 v[52:53], v[41:42], off
	v_lshlrev_b64 v[43:44], 3, v[11:12]
	v_add_nc_u32_e32 v11, 8, v40
	v_add_co_u32 v40, vcc_lo, s2, v45
	v_add_co_ci_u32_e64 v41, null, s3, v46, vcc_lo
	v_lshlrev_b64 v[45:46], 3, v[11:12]
	v_add_nc_u32_e32 v11, -2, v9
	global_load_dwordx2 v[54:55], v[40:41], off
	v_add_co_u32 v40, vcc_lo, s2, v43
	v_add_co_ci_u32_e64 v41, null, s3, v44, vcc_lo
	v_add_co_u32 v44, vcc_lo, s4, v45
	v_add_co_ci_u32_e64 v45, null, s5, v46, vcc_lo
	v_lshlrev_b64 v[56:57], 3, v[11:12]
	global_load_dwordx2 v[58:59], v[40:41], off
	s_clause 0x1
	global_load_dwordx4 v[40:43], v[44:45], off
	global_load_dwordx4 v[44:47], v[44:45], off offset:16
	v_add_nc_u32_e32 v11, -1, v9
	v_add_co_u32 v56, vcc_lo, s2, v56
	v_add_co_ci_u32_e64 v57, null, s3, v57, vcc_lo
	v_lshlrev_b64 v[60:61], 3, v[11:12]
	v_lshlrev_b64 v[10:11], 3, v[9:10]
	v_add_nc_u32_e32 v9, 0x60, v9
	global_load_dwordx2 v[56:57], v[56:57], off
	v_add_co_u32 v60, vcc_lo, s2, v60
	v_add_co_ci_u32_e64 v61, null, s3, v61, vcc_lo
	v_add_co_u32 v10, vcc_lo, s2, v10
	v_add_co_ci_u32_e64 v11, null, s3, v11, vcc_lo
	global_load_dwordx2 v[60:61], v[60:61], off
	v_cmp_ge_i32_e32 vcc_lo, v7, v14
	global_load_dwordx2 v[10:11], v[10:11], off
	s_or_b32 s10, vcc_lo, s10
	s_waitcnt vmcnt(12)
	v_fmac_f32_e32 v15, v20, v28
	v_fmac_f32_e32 v13, v21, v28
	v_fma_f32 v8, -v21, v29, v15
	v_fmac_f32_e32 v13, v20, v29
	v_fmac_f32_e32 v8, v22, v30
	v_fmac_f32_e32 v13, v23, v30
	v_fma_f32 v8, -v23, v31, v8
	v_fmac_f32_e32 v13, v22, v31
	;; [unrolled: 4-line block ×4, first 2 shown]
	s_waitcnt vmcnt(9)
	v_fmac_f32_e32 v8, v48, v36
	v_fmac_f32_e32 v13, v49, v36
	v_fma_f32 v8, -v49, v37, v8
	v_fmac_f32_e32 v13, v48, v37
	s_waitcnt vmcnt(8)
	v_fmac_f32_e32 v8, v50, v38
	v_fmac_f32_e32 v13, v51, v38
	v_fma_f32 v8, -v51, v39, v8
	v_fmac_f32_e32 v13, v50, v39
	;; [unrolled: 5-line block ×8, first 2 shown]
	s_andn2_b32 exec_lo, exec_lo, s10
	s_cbranch_execnz .LBB203_6
; %bb.7:
	s_or_b32 exec_lo, exec_lo, s10
.LBB203_8:
	s_or_b32 exec_lo, exec_lo, s9
	v_mbcnt_lo_u32_b32 v7, -1, 0
	v_xor_b32_e32 v8, 4, v7
	v_xor_b32_e32 v10, 2, v7
	;; [unrolled: 1-line block ×3, first 2 shown]
	v_cmp_gt_i32_e32 vcc_lo, 32, v8
	v_cndmask_b32_e32 v8, v7, v8, vcc_lo
	v_cmp_gt_i32_e32 vcc_lo, 32, v10
	v_lshlrev_b32_e32 v8, 2, v8
	v_cndmask_b32_e32 v10, v7, v10, vcc_lo
	v_cmp_gt_i32_e32 vcc_lo, 32, v12
	ds_bpermute_b32 v9, v8, v15
	ds_bpermute_b32 v8, v8, v13
	v_lshlrev_b32_e32 v10, 2, v10
	v_cndmask_b32_e32 v7, v7, v12, vcc_lo
	v_cmp_eq_u32_e32 vcc_lo, 7, v0
	v_lshlrev_b32_e32 v12, 2, v7
	s_waitcnt lgkmcnt(1)
	v_add_f32_e32 v9, v15, v9
	s_waitcnt lgkmcnt(0)
	v_add_f32_e32 v8, v13, v8
	ds_bpermute_b32 v11, v10, v9
	ds_bpermute_b32 v10, v10, v8
	s_waitcnt lgkmcnt(1)
	v_add_f32_e32 v7, v9, v11
	s_waitcnt lgkmcnt(0)
	v_add_f32_e32 v9, v8, v10
	ds_bpermute_b32 v8, v12, v7
	ds_bpermute_b32 v10, v12, v9
	s_and_b32 exec_lo, exec_lo, vcc_lo
	s_cbranch_execz .LBB203_13
; %bb.9:
	s_waitcnt lgkmcnt(0)
	v_add_f32_e32 v0, v9, v10
	v_add_f32_e32 v9, v7, v8
	v_cmp_eq_f32_e32 vcc_lo, 0, v1
	v_cmp_eq_f32_e64 s0, 0, v2
	v_lshlrev_b64 v[5:6], 3, v[5:6]
	v_mul_f32_e64 v7, v0, -v4
	v_mul_f32_e32 v8, v3, v0
	s_and_b32 s0, vcc_lo, s0
	v_fmac_f32_e32 v7, v3, v9
	v_fmac_f32_e32 v8, v4, v9
	s_and_saveexec_b32 s1, s0
	s_xor_b32 s0, exec_lo, s1
	s_cbranch_execz .LBB203_11
; %bb.10:
	v_add_co_u32 v0, vcc_lo, s6, v5
	v_add_co_ci_u32_e64 v1, null, s7, v6, vcc_lo
                                        ; implicit-def: $vgpr5_vgpr6
	global_store_dwordx2 v[0:1], v[7:8], off
                                        ; implicit-def: $vgpr1_vgpr2
                                        ; implicit-def: $vgpr7
.LBB203_11:
	s_andn2_saveexec_b32 s0, s0
	s_cbranch_execz .LBB203_13
; %bb.12:
	v_add_co_u32 v3, vcc_lo, s6, v5
	v_add_co_ci_u32_e64 v4, null, s7, v6, vcc_lo
	global_load_dwordx2 v[5:6], v[3:4], off
	s_waitcnt vmcnt(0)
	v_fmac_f32_e32 v7, v1, v5
	v_fmac_f32_e32 v8, v2, v5
	v_fma_f32 v7, -v2, v6, v7
	v_fmac_f32_e32 v8, v1, v6
	global_store_dwordx2 v[3:4], v[7:8], off
.LBB203_13:
	s_endpgm
	.section	.rodata,"a",@progbits
	.p2align	6, 0x0
	.amdhsa_kernel _ZN9rocsparseL19gebsrmvn_1xn_kernelILj128ELj12ELj8E21rocsparse_complex_numIfEEEvi20rocsparse_direction_NS_24const_host_device_scalarIT2_EEPKiS8_PKS5_SA_S6_PS5_21rocsparse_index_base_b
		.amdhsa_group_segment_fixed_size 0
		.amdhsa_private_segment_fixed_size 0
		.amdhsa_kernarg_size 72
		.amdhsa_user_sgpr_count 6
		.amdhsa_user_sgpr_private_segment_buffer 1
		.amdhsa_user_sgpr_dispatch_ptr 0
		.amdhsa_user_sgpr_queue_ptr 0
		.amdhsa_user_sgpr_kernarg_segment_ptr 1
		.amdhsa_user_sgpr_dispatch_id 0
		.amdhsa_user_sgpr_flat_scratch_init 0
		.amdhsa_user_sgpr_private_segment_size 0
		.amdhsa_wavefront_size32 1
		.amdhsa_uses_dynamic_stack 0
		.amdhsa_system_sgpr_private_segment_wavefront_offset 0
		.amdhsa_system_sgpr_workgroup_id_x 1
		.amdhsa_system_sgpr_workgroup_id_y 0
		.amdhsa_system_sgpr_workgroup_id_z 0
		.amdhsa_system_sgpr_workgroup_info 0
		.amdhsa_system_vgpr_workitem_id 0
		.amdhsa_next_free_vgpr 62
		.amdhsa_next_free_sgpr 13
		.amdhsa_reserve_vcc 1
		.amdhsa_reserve_flat_scratch 0
		.amdhsa_float_round_mode_32 0
		.amdhsa_float_round_mode_16_64 0
		.amdhsa_float_denorm_mode_32 3
		.amdhsa_float_denorm_mode_16_64 3
		.amdhsa_dx10_clamp 1
		.amdhsa_ieee_mode 1
		.amdhsa_fp16_overflow 0
		.amdhsa_workgroup_processor_mode 1
		.amdhsa_memory_ordered 1
		.amdhsa_forward_progress 1
		.amdhsa_shared_vgpr_count 0
		.amdhsa_exception_fp_ieee_invalid_op 0
		.amdhsa_exception_fp_denorm_src 0
		.amdhsa_exception_fp_ieee_div_zero 0
		.amdhsa_exception_fp_ieee_overflow 0
		.amdhsa_exception_fp_ieee_underflow 0
		.amdhsa_exception_fp_ieee_inexact 0
		.amdhsa_exception_int_div_zero 0
	.end_amdhsa_kernel
	.section	.text._ZN9rocsparseL19gebsrmvn_1xn_kernelILj128ELj12ELj8E21rocsparse_complex_numIfEEEvi20rocsparse_direction_NS_24const_host_device_scalarIT2_EEPKiS8_PKS5_SA_S6_PS5_21rocsparse_index_base_b,"axG",@progbits,_ZN9rocsparseL19gebsrmvn_1xn_kernelILj128ELj12ELj8E21rocsparse_complex_numIfEEEvi20rocsparse_direction_NS_24const_host_device_scalarIT2_EEPKiS8_PKS5_SA_S6_PS5_21rocsparse_index_base_b,comdat
.Lfunc_end203:
	.size	_ZN9rocsparseL19gebsrmvn_1xn_kernelILj128ELj12ELj8E21rocsparse_complex_numIfEEEvi20rocsparse_direction_NS_24const_host_device_scalarIT2_EEPKiS8_PKS5_SA_S6_PS5_21rocsparse_index_base_b, .Lfunc_end203-_ZN9rocsparseL19gebsrmvn_1xn_kernelILj128ELj12ELj8E21rocsparse_complex_numIfEEEvi20rocsparse_direction_NS_24const_host_device_scalarIT2_EEPKiS8_PKS5_SA_S6_PS5_21rocsparse_index_base_b
                                        ; -- End function
	.set _ZN9rocsparseL19gebsrmvn_1xn_kernelILj128ELj12ELj8E21rocsparse_complex_numIfEEEvi20rocsparse_direction_NS_24const_host_device_scalarIT2_EEPKiS8_PKS5_SA_S6_PS5_21rocsparse_index_base_b.num_vgpr, 62
	.set _ZN9rocsparseL19gebsrmvn_1xn_kernelILj128ELj12ELj8E21rocsparse_complex_numIfEEEvi20rocsparse_direction_NS_24const_host_device_scalarIT2_EEPKiS8_PKS5_SA_S6_PS5_21rocsparse_index_base_b.num_agpr, 0
	.set _ZN9rocsparseL19gebsrmvn_1xn_kernelILj128ELj12ELj8E21rocsparse_complex_numIfEEEvi20rocsparse_direction_NS_24const_host_device_scalarIT2_EEPKiS8_PKS5_SA_S6_PS5_21rocsparse_index_base_b.numbered_sgpr, 13
	.set _ZN9rocsparseL19gebsrmvn_1xn_kernelILj128ELj12ELj8E21rocsparse_complex_numIfEEEvi20rocsparse_direction_NS_24const_host_device_scalarIT2_EEPKiS8_PKS5_SA_S6_PS5_21rocsparse_index_base_b.num_named_barrier, 0
	.set _ZN9rocsparseL19gebsrmvn_1xn_kernelILj128ELj12ELj8E21rocsparse_complex_numIfEEEvi20rocsparse_direction_NS_24const_host_device_scalarIT2_EEPKiS8_PKS5_SA_S6_PS5_21rocsparse_index_base_b.private_seg_size, 0
	.set _ZN9rocsparseL19gebsrmvn_1xn_kernelILj128ELj12ELj8E21rocsparse_complex_numIfEEEvi20rocsparse_direction_NS_24const_host_device_scalarIT2_EEPKiS8_PKS5_SA_S6_PS5_21rocsparse_index_base_b.uses_vcc, 1
	.set _ZN9rocsparseL19gebsrmvn_1xn_kernelILj128ELj12ELj8E21rocsparse_complex_numIfEEEvi20rocsparse_direction_NS_24const_host_device_scalarIT2_EEPKiS8_PKS5_SA_S6_PS5_21rocsparse_index_base_b.uses_flat_scratch, 0
	.set _ZN9rocsparseL19gebsrmvn_1xn_kernelILj128ELj12ELj8E21rocsparse_complex_numIfEEEvi20rocsparse_direction_NS_24const_host_device_scalarIT2_EEPKiS8_PKS5_SA_S6_PS5_21rocsparse_index_base_b.has_dyn_sized_stack, 0
	.set _ZN9rocsparseL19gebsrmvn_1xn_kernelILj128ELj12ELj8E21rocsparse_complex_numIfEEEvi20rocsparse_direction_NS_24const_host_device_scalarIT2_EEPKiS8_PKS5_SA_S6_PS5_21rocsparse_index_base_b.has_recursion, 0
	.set _ZN9rocsparseL19gebsrmvn_1xn_kernelILj128ELj12ELj8E21rocsparse_complex_numIfEEEvi20rocsparse_direction_NS_24const_host_device_scalarIT2_EEPKiS8_PKS5_SA_S6_PS5_21rocsparse_index_base_b.has_indirect_call, 0
	.section	.AMDGPU.csdata,"",@progbits
; Kernel info:
; codeLenInByte = 1508
; TotalNumSgprs: 15
; NumVgprs: 62
; ScratchSize: 0
; MemoryBound: 0
; FloatMode: 240
; IeeeMode: 1
; LDSByteSize: 0 bytes/workgroup (compile time only)
; SGPRBlocks: 0
; VGPRBlocks: 7
; NumSGPRsForWavesPerEU: 15
; NumVGPRsForWavesPerEU: 62
; Occupancy: 16
; WaveLimiterHint : 1
; COMPUTE_PGM_RSRC2:SCRATCH_EN: 0
; COMPUTE_PGM_RSRC2:USER_SGPR: 6
; COMPUTE_PGM_RSRC2:TRAP_HANDLER: 0
; COMPUTE_PGM_RSRC2:TGID_X_EN: 1
; COMPUTE_PGM_RSRC2:TGID_Y_EN: 0
; COMPUTE_PGM_RSRC2:TGID_Z_EN: 0
; COMPUTE_PGM_RSRC2:TIDIG_COMP_CNT: 0
	.section	.text._ZN9rocsparseL19gebsrmvn_1xn_kernelILj128ELj12ELj16E21rocsparse_complex_numIfEEEvi20rocsparse_direction_NS_24const_host_device_scalarIT2_EEPKiS8_PKS5_SA_S6_PS5_21rocsparse_index_base_b,"axG",@progbits,_ZN9rocsparseL19gebsrmvn_1xn_kernelILj128ELj12ELj16E21rocsparse_complex_numIfEEEvi20rocsparse_direction_NS_24const_host_device_scalarIT2_EEPKiS8_PKS5_SA_S6_PS5_21rocsparse_index_base_b,comdat
	.globl	_ZN9rocsparseL19gebsrmvn_1xn_kernelILj128ELj12ELj16E21rocsparse_complex_numIfEEEvi20rocsparse_direction_NS_24const_host_device_scalarIT2_EEPKiS8_PKS5_SA_S6_PS5_21rocsparse_index_base_b ; -- Begin function _ZN9rocsparseL19gebsrmvn_1xn_kernelILj128ELj12ELj16E21rocsparse_complex_numIfEEEvi20rocsparse_direction_NS_24const_host_device_scalarIT2_EEPKiS8_PKS5_SA_S6_PS5_21rocsparse_index_base_b
	.p2align	8
	.type	_ZN9rocsparseL19gebsrmvn_1xn_kernelILj128ELj12ELj16E21rocsparse_complex_numIfEEEvi20rocsparse_direction_NS_24const_host_device_scalarIT2_EEPKiS8_PKS5_SA_S6_PS5_21rocsparse_index_base_b,@function
_ZN9rocsparseL19gebsrmvn_1xn_kernelILj128ELj12ELj16E21rocsparse_complex_numIfEEEvi20rocsparse_direction_NS_24const_host_device_scalarIT2_EEPKiS8_PKS5_SA_S6_PS5_21rocsparse_index_base_b: ; @_ZN9rocsparseL19gebsrmvn_1xn_kernelILj128ELj12ELj16E21rocsparse_complex_numIfEEEvi20rocsparse_direction_NS_24const_host_device_scalarIT2_EEPKiS8_PKS5_SA_S6_PS5_21rocsparse_index_base_b
; %bb.0:
	s_clause 0x2
	s_load_dwordx2 s[8:9], s[4:5], 0x40
	s_load_dwordx2 s[0:1], s[4:5], 0x8
	s_load_dwordx2 s[2:3], s[4:5], 0x30
	s_add_u32 s7, s4, 8
	s_addc_u32 s10, s5, 0
	s_add_u32 s11, s4, 48
	s_addc_u32 s12, s5, 0
	s_waitcnt lgkmcnt(0)
	s_bitcmp1_b32 s9, 0
	s_cselect_b32 s0, s7, s0
	s_cselect_b32 s1, s10, s1
	v_mov_b32_e32 v1, s0
	v_mov_b32_e32 v2, s1
	s_cselect_b32 s0, s11, s2
	s_cselect_b32 s1, s12, s3
	flat_load_dwordx2 v[3:4], v[1:2]
	v_mov_b32_e32 v1, s0
	v_mov_b32_e32 v2, s1
	flat_load_dwordx2 v[1:2], v[1:2]
	s_waitcnt vmcnt(1) lgkmcnt(1)
	v_cmp_eq_f32_e32 vcc_lo, 0, v3
	v_cmp_eq_f32_e64 s0, 0, v4
	s_and_b32 s2, vcc_lo, s0
	s_mov_b32 s0, -1
	s_and_saveexec_b32 s1, s2
	s_cbranch_execz .LBB204_2
; %bb.1:
	s_waitcnt vmcnt(0) lgkmcnt(0)
	v_cmp_neq_f32_e32 vcc_lo, 1.0, v1
	v_cmp_neq_f32_e64 s0, 0, v2
	s_or_b32 s0, vcc_lo, s0
	s_orn2_b32 s0, s0, exec_lo
.LBB204_2:
	s_or_b32 exec_lo, exec_lo, s1
	s_and_saveexec_b32 s1, s0
	s_cbranch_execz .LBB204_13
; %bb.3:
	s_load_dword s0, s[4:5], 0x0
	v_lshrrev_b32_e32 v5, 4, v0
	v_lshl_or_b32 v5, s6, 3, v5
	s_waitcnt lgkmcnt(0)
	v_cmp_gt_i32_e32 vcc_lo, s0, v5
	s_and_b32 exec_lo, exec_lo, vcc_lo
	s_cbranch_execz .LBB204_13
; %bb.4:
	s_clause 0x1
	s_load_dwordx2 s[0:1], s[4:5], 0x10
	s_load_dwordx2 s[6:7], s[4:5], 0x38
	v_ashrrev_i32_e32 v6, 31, v5
	v_and_b32_e32 v0, 15, v0
	v_mov_b32_e32 v13, 0
	v_mov_b32_e32 v15, 0
	s_mov_b32 s9, exec_lo
	v_lshlrev_b64 v[7:8], 2, v[5:6]
	v_subrev_nc_u32_e32 v9, s8, v0
	s_waitcnt lgkmcnt(0)
	v_add_co_u32 v7, vcc_lo, s0, v7
	v_add_co_ci_u32_e64 v8, null, s1, v8, vcc_lo
	global_load_dwordx2 v[7:8], v[7:8], off
	s_waitcnt vmcnt(0)
	v_subrev_nc_u32_e32 v14, s8, v8
	v_add_nc_u32_e32 v7, v7, v9
	v_cmpx_lt_i32_e64 v7, v14
	s_cbranch_execz .LBB204_8
; %bb.5:
	s_clause 0x1
	s_load_dwordx4 s[0:3], s[4:5], 0x18
	s_load_dwordx2 s[4:5], s[4:5], 0x28
	v_mad_u64_u32 v[9:10], null, v7, 12, 11
	v_mov_b32_e32 v12, 0
	v_mov_b32_e32 v13, 0
	;; [unrolled: 1-line block ×3, first 2 shown]
	s_mov_b32 s10, 0
.LBB204_6:                              ; =>This Inner Loop Header: Depth=1
	v_ashrrev_i32_e32 v8, 31, v7
	v_mov_b32_e32 v41, v12
	v_lshlrev_b64 v[10:11], 2, v[7:8]
	v_add_nc_u32_e32 v7, 16, v7
	s_waitcnt lgkmcnt(0)
	v_add_co_u32 v10, vcc_lo, s0, v10
	v_add_co_ci_u32_e64 v11, null, s1, v11, vcc_lo
	global_load_dword v8, v[10:11], off
	v_add_nc_u32_e32 v11, -11, v9
	v_mov_b32_e32 v10, v12
	v_lshlrev_b64 v[16:17], 3, v[11:12]
	v_add_nc_u32_e32 v11, -7, v9
	v_lshlrev_b64 v[32:33], 3, v[11:12]
	v_add_co_u32 v20, vcc_lo, s2, v16
	v_add_co_ci_u32_e64 v21, null, s3, v17, vcc_lo
	s_clause 0x1
	global_load_dwordx4 v[16:19], v[20:21], off offset:16
	global_load_dwordx4 v[20:23], v[20:21], off
	s_waitcnt vmcnt(2)
	v_subrev_nc_u32_e32 v8, s8, v8
	v_mul_lo_u32 v40, v8, 12
	v_lshlrev_b64 v[24:25], 3, v[40:41]
	v_add_nc_u32_e32 v11, 4, v40
	v_add_co_u32 v28, vcc_lo, s4, v24
	v_add_co_ci_u32_e64 v29, null, s5, v25, vcc_lo
	v_add_co_u32 v32, vcc_lo, s2, v32
	v_add_co_ci_u32_e64 v33, null, s3, v33, vcc_lo
	s_clause 0x1
	global_load_dwordx4 v[24:27], v[28:29], off offset:16
	global_load_dwordx4 v[28:31], v[28:29], off
	global_load_dwordx2 v[48:49], v[32:33], off
	v_lshlrev_b64 v[32:33], 3, v[11:12]
	v_add_nc_u32_e32 v11, -6, v9
	v_lshlrev_b64 v[41:42], 3, v[11:12]
	v_add_co_u32 v36, vcc_lo, s4, v32
	v_add_co_ci_u32_e64 v37, null, s5, v33, vcc_lo
	s_clause 0x1
	global_load_dwordx4 v[32:35], v[36:37], off offset:16
	global_load_dwordx4 v[36:39], v[36:37], off
	v_add_nc_u32_e32 v11, -5, v9
	v_add_co_u32 v41, vcc_lo, s2, v41
	v_add_co_ci_u32_e64 v42, null, s3, v42, vcc_lo
	v_lshlrev_b64 v[43:44], 3, v[11:12]
	v_add_nc_u32_e32 v11, -4, v9
	global_load_dwordx2 v[50:51], v[41:42], off
	v_add_co_u32 v41, vcc_lo, s2, v43
	v_add_co_ci_u32_e64 v42, null, s3, v44, vcc_lo
	v_lshlrev_b64 v[45:46], 3, v[11:12]
	v_add_nc_u32_e32 v11, -3, v9
	global_load_dwordx2 v[52:53], v[41:42], off
	v_lshlrev_b64 v[43:44], 3, v[11:12]
	v_add_nc_u32_e32 v11, 8, v40
	v_add_co_u32 v40, vcc_lo, s2, v45
	v_add_co_ci_u32_e64 v41, null, s3, v46, vcc_lo
	v_lshlrev_b64 v[45:46], 3, v[11:12]
	v_add_nc_u32_e32 v11, -2, v9
	global_load_dwordx2 v[54:55], v[40:41], off
	v_add_co_u32 v40, vcc_lo, s2, v43
	v_add_co_ci_u32_e64 v41, null, s3, v44, vcc_lo
	v_add_co_u32 v44, vcc_lo, s4, v45
	v_add_co_ci_u32_e64 v45, null, s5, v46, vcc_lo
	v_lshlrev_b64 v[56:57], 3, v[11:12]
	global_load_dwordx2 v[58:59], v[40:41], off
	s_clause 0x1
	global_load_dwordx4 v[40:43], v[44:45], off
	global_load_dwordx4 v[44:47], v[44:45], off offset:16
	v_add_nc_u32_e32 v11, -1, v9
	v_add_co_u32 v56, vcc_lo, s2, v56
	v_add_co_ci_u32_e64 v57, null, s3, v57, vcc_lo
	v_lshlrev_b64 v[60:61], 3, v[11:12]
	v_lshlrev_b64 v[10:11], 3, v[9:10]
	v_add_nc_u32_e32 v9, 0xc0, v9
	global_load_dwordx2 v[56:57], v[56:57], off
	v_add_co_u32 v60, vcc_lo, s2, v60
	v_add_co_ci_u32_e64 v61, null, s3, v61, vcc_lo
	v_add_co_u32 v10, vcc_lo, s2, v10
	v_add_co_ci_u32_e64 v11, null, s3, v11, vcc_lo
	global_load_dwordx2 v[60:61], v[60:61], off
	v_cmp_ge_i32_e32 vcc_lo, v7, v14
	global_load_dwordx2 v[10:11], v[10:11], off
	s_or_b32 s10, vcc_lo, s10
	s_waitcnt vmcnt(12)
	v_fmac_f32_e32 v15, v20, v28
	v_fmac_f32_e32 v13, v21, v28
	v_fma_f32 v8, -v21, v29, v15
	v_fmac_f32_e32 v13, v20, v29
	v_fmac_f32_e32 v8, v22, v30
	v_fmac_f32_e32 v13, v23, v30
	v_fma_f32 v8, -v23, v31, v8
	v_fmac_f32_e32 v13, v22, v31
	;; [unrolled: 4-line block ×4, first 2 shown]
	s_waitcnt vmcnt(9)
	v_fmac_f32_e32 v8, v48, v36
	v_fmac_f32_e32 v13, v49, v36
	v_fma_f32 v8, -v49, v37, v8
	v_fmac_f32_e32 v13, v48, v37
	s_waitcnt vmcnt(8)
	v_fmac_f32_e32 v8, v50, v38
	v_fmac_f32_e32 v13, v51, v38
	v_fma_f32 v8, -v51, v39, v8
	v_fmac_f32_e32 v13, v50, v39
	;; [unrolled: 5-line block ×8, first 2 shown]
	s_andn2_b32 exec_lo, exec_lo, s10
	s_cbranch_execnz .LBB204_6
; %bb.7:
	s_or_b32 exec_lo, exec_lo, s10
.LBB204_8:
	s_or_b32 exec_lo, exec_lo, s9
	v_mbcnt_lo_u32_b32 v7, -1, 0
	v_xor_b32_e32 v8, 8, v7
	v_xor_b32_e32 v10, 4, v7
	;; [unrolled: 1-line block ×3, first 2 shown]
	v_cmp_gt_i32_e32 vcc_lo, 32, v8
	v_cndmask_b32_e32 v8, v7, v8, vcc_lo
	v_cmp_gt_i32_e32 vcc_lo, 32, v10
	v_lshlrev_b32_e32 v8, 2, v8
	v_cndmask_b32_e32 v10, v7, v10, vcc_lo
	v_cmp_gt_i32_e32 vcc_lo, 32, v12
	ds_bpermute_b32 v9, v8, v15
	ds_bpermute_b32 v8, v8, v13
	v_lshlrev_b32_e32 v10, 2, v10
	v_cndmask_b32_e32 v12, v7, v12, vcc_lo
	v_lshlrev_b32_e32 v12, 2, v12
	s_waitcnt lgkmcnt(1)
	v_add_f32_e32 v9, v15, v9
	s_waitcnt lgkmcnt(0)
	v_add_f32_e32 v8, v13, v8
	ds_bpermute_b32 v11, v10, v9
	ds_bpermute_b32 v10, v10, v8
	s_waitcnt lgkmcnt(1)
	v_add_f32_e32 v9, v9, v11
	s_waitcnt lgkmcnt(0)
	v_add_f32_e32 v8, v8, v10
	ds_bpermute_b32 v10, v12, v9
	ds_bpermute_b32 v11, v12, v8
	v_xor_b32_e32 v12, 1, v7
	v_cmp_gt_i32_e32 vcc_lo, 32, v12
	v_cndmask_b32_e32 v7, v7, v12, vcc_lo
	v_cmp_eq_u32_e32 vcc_lo, 15, v0
	v_lshlrev_b32_e32 v12, 2, v7
	s_waitcnt lgkmcnt(1)
	v_add_f32_e32 v7, v9, v10
	s_waitcnt lgkmcnt(0)
	v_add_f32_e32 v9, v8, v11
	ds_bpermute_b32 v8, v12, v7
	ds_bpermute_b32 v10, v12, v9
	s_and_b32 exec_lo, exec_lo, vcc_lo
	s_cbranch_execz .LBB204_13
; %bb.9:
	s_waitcnt lgkmcnt(0)
	v_add_f32_e32 v0, v9, v10
	v_add_f32_e32 v9, v7, v8
	v_cmp_eq_f32_e32 vcc_lo, 0, v1
	v_cmp_eq_f32_e64 s0, 0, v2
	v_lshlrev_b64 v[5:6], 3, v[5:6]
	v_mul_f32_e64 v7, v0, -v4
	v_mul_f32_e32 v8, v3, v0
	s_and_b32 s0, vcc_lo, s0
	v_fmac_f32_e32 v7, v3, v9
	v_fmac_f32_e32 v8, v4, v9
	s_and_saveexec_b32 s1, s0
	s_xor_b32 s0, exec_lo, s1
	s_cbranch_execz .LBB204_11
; %bb.10:
	v_add_co_u32 v0, vcc_lo, s6, v5
	v_add_co_ci_u32_e64 v1, null, s7, v6, vcc_lo
                                        ; implicit-def: $vgpr5_vgpr6
	global_store_dwordx2 v[0:1], v[7:8], off
                                        ; implicit-def: $vgpr1_vgpr2
                                        ; implicit-def: $vgpr7
.LBB204_11:
	s_andn2_saveexec_b32 s0, s0
	s_cbranch_execz .LBB204_13
; %bb.12:
	v_add_co_u32 v3, vcc_lo, s6, v5
	v_add_co_ci_u32_e64 v4, null, s7, v6, vcc_lo
	global_load_dwordx2 v[5:6], v[3:4], off
	s_waitcnt vmcnt(0)
	v_fmac_f32_e32 v7, v1, v5
	v_fmac_f32_e32 v8, v2, v5
	v_fma_f32 v7, -v2, v6, v7
	v_fmac_f32_e32 v8, v1, v6
	global_store_dwordx2 v[3:4], v[7:8], off
.LBB204_13:
	s_endpgm
	.section	.rodata,"a",@progbits
	.p2align	6, 0x0
	.amdhsa_kernel _ZN9rocsparseL19gebsrmvn_1xn_kernelILj128ELj12ELj16E21rocsparse_complex_numIfEEEvi20rocsparse_direction_NS_24const_host_device_scalarIT2_EEPKiS8_PKS5_SA_S6_PS5_21rocsparse_index_base_b
		.amdhsa_group_segment_fixed_size 0
		.amdhsa_private_segment_fixed_size 0
		.amdhsa_kernarg_size 72
		.amdhsa_user_sgpr_count 6
		.amdhsa_user_sgpr_private_segment_buffer 1
		.amdhsa_user_sgpr_dispatch_ptr 0
		.amdhsa_user_sgpr_queue_ptr 0
		.amdhsa_user_sgpr_kernarg_segment_ptr 1
		.amdhsa_user_sgpr_dispatch_id 0
		.amdhsa_user_sgpr_flat_scratch_init 0
		.amdhsa_user_sgpr_private_segment_size 0
		.amdhsa_wavefront_size32 1
		.amdhsa_uses_dynamic_stack 0
		.amdhsa_system_sgpr_private_segment_wavefront_offset 0
		.amdhsa_system_sgpr_workgroup_id_x 1
		.amdhsa_system_sgpr_workgroup_id_y 0
		.amdhsa_system_sgpr_workgroup_id_z 0
		.amdhsa_system_sgpr_workgroup_info 0
		.amdhsa_system_vgpr_workitem_id 0
		.amdhsa_next_free_vgpr 62
		.amdhsa_next_free_sgpr 13
		.amdhsa_reserve_vcc 1
		.amdhsa_reserve_flat_scratch 0
		.amdhsa_float_round_mode_32 0
		.amdhsa_float_round_mode_16_64 0
		.amdhsa_float_denorm_mode_32 3
		.amdhsa_float_denorm_mode_16_64 3
		.amdhsa_dx10_clamp 1
		.amdhsa_ieee_mode 1
		.amdhsa_fp16_overflow 0
		.amdhsa_workgroup_processor_mode 1
		.amdhsa_memory_ordered 1
		.amdhsa_forward_progress 1
		.amdhsa_shared_vgpr_count 0
		.amdhsa_exception_fp_ieee_invalid_op 0
		.amdhsa_exception_fp_denorm_src 0
		.amdhsa_exception_fp_ieee_div_zero 0
		.amdhsa_exception_fp_ieee_overflow 0
		.amdhsa_exception_fp_ieee_underflow 0
		.amdhsa_exception_fp_ieee_inexact 0
		.amdhsa_exception_int_div_zero 0
	.end_amdhsa_kernel
	.section	.text._ZN9rocsparseL19gebsrmvn_1xn_kernelILj128ELj12ELj16E21rocsparse_complex_numIfEEEvi20rocsparse_direction_NS_24const_host_device_scalarIT2_EEPKiS8_PKS5_SA_S6_PS5_21rocsparse_index_base_b,"axG",@progbits,_ZN9rocsparseL19gebsrmvn_1xn_kernelILj128ELj12ELj16E21rocsparse_complex_numIfEEEvi20rocsparse_direction_NS_24const_host_device_scalarIT2_EEPKiS8_PKS5_SA_S6_PS5_21rocsparse_index_base_b,comdat
.Lfunc_end204:
	.size	_ZN9rocsparseL19gebsrmvn_1xn_kernelILj128ELj12ELj16E21rocsparse_complex_numIfEEEvi20rocsparse_direction_NS_24const_host_device_scalarIT2_EEPKiS8_PKS5_SA_S6_PS5_21rocsparse_index_base_b, .Lfunc_end204-_ZN9rocsparseL19gebsrmvn_1xn_kernelILj128ELj12ELj16E21rocsparse_complex_numIfEEEvi20rocsparse_direction_NS_24const_host_device_scalarIT2_EEPKiS8_PKS5_SA_S6_PS5_21rocsparse_index_base_b
                                        ; -- End function
	.set _ZN9rocsparseL19gebsrmvn_1xn_kernelILj128ELj12ELj16E21rocsparse_complex_numIfEEEvi20rocsparse_direction_NS_24const_host_device_scalarIT2_EEPKiS8_PKS5_SA_S6_PS5_21rocsparse_index_base_b.num_vgpr, 62
	.set _ZN9rocsparseL19gebsrmvn_1xn_kernelILj128ELj12ELj16E21rocsparse_complex_numIfEEEvi20rocsparse_direction_NS_24const_host_device_scalarIT2_EEPKiS8_PKS5_SA_S6_PS5_21rocsparse_index_base_b.num_agpr, 0
	.set _ZN9rocsparseL19gebsrmvn_1xn_kernelILj128ELj12ELj16E21rocsparse_complex_numIfEEEvi20rocsparse_direction_NS_24const_host_device_scalarIT2_EEPKiS8_PKS5_SA_S6_PS5_21rocsparse_index_base_b.numbered_sgpr, 13
	.set _ZN9rocsparseL19gebsrmvn_1xn_kernelILj128ELj12ELj16E21rocsparse_complex_numIfEEEvi20rocsparse_direction_NS_24const_host_device_scalarIT2_EEPKiS8_PKS5_SA_S6_PS5_21rocsparse_index_base_b.num_named_barrier, 0
	.set _ZN9rocsparseL19gebsrmvn_1xn_kernelILj128ELj12ELj16E21rocsparse_complex_numIfEEEvi20rocsparse_direction_NS_24const_host_device_scalarIT2_EEPKiS8_PKS5_SA_S6_PS5_21rocsparse_index_base_b.private_seg_size, 0
	.set _ZN9rocsparseL19gebsrmvn_1xn_kernelILj128ELj12ELj16E21rocsparse_complex_numIfEEEvi20rocsparse_direction_NS_24const_host_device_scalarIT2_EEPKiS8_PKS5_SA_S6_PS5_21rocsparse_index_base_b.uses_vcc, 1
	.set _ZN9rocsparseL19gebsrmvn_1xn_kernelILj128ELj12ELj16E21rocsparse_complex_numIfEEEvi20rocsparse_direction_NS_24const_host_device_scalarIT2_EEPKiS8_PKS5_SA_S6_PS5_21rocsparse_index_base_b.uses_flat_scratch, 0
	.set _ZN9rocsparseL19gebsrmvn_1xn_kernelILj128ELj12ELj16E21rocsparse_complex_numIfEEEvi20rocsparse_direction_NS_24const_host_device_scalarIT2_EEPKiS8_PKS5_SA_S6_PS5_21rocsparse_index_base_b.has_dyn_sized_stack, 0
	.set _ZN9rocsparseL19gebsrmvn_1xn_kernelILj128ELj12ELj16E21rocsparse_complex_numIfEEEvi20rocsparse_direction_NS_24const_host_device_scalarIT2_EEPKiS8_PKS5_SA_S6_PS5_21rocsparse_index_base_b.has_recursion, 0
	.set _ZN9rocsparseL19gebsrmvn_1xn_kernelILj128ELj12ELj16E21rocsparse_complex_numIfEEEvi20rocsparse_direction_NS_24const_host_device_scalarIT2_EEPKiS8_PKS5_SA_S6_PS5_21rocsparse_index_base_b.has_indirect_call, 0
	.section	.AMDGPU.csdata,"",@progbits
; Kernel info:
; codeLenInByte = 1556
; TotalNumSgprs: 15
; NumVgprs: 62
; ScratchSize: 0
; MemoryBound: 0
; FloatMode: 240
; IeeeMode: 1
; LDSByteSize: 0 bytes/workgroup (compile time only)
; SGPRBlocks: 0
; VGPRBlocks: 7
; NumSGPRsForWavesPerEU: 15
; NumVGPRsForWavesPerEU: 62
; Occupancy: 16
; WaveLimiterHint : 1
; COMPUTE_PGM_RSRC2:SCRATCH_EN: 0
; COMPUTE_PGM_RSRC2:USER_SGPR: 6
; COMPUTE_PGM_RSRC2:TRAP_HANDLER: 0
; COMPUTE_PGM_RSRC2:TGID_X_EN: 1
; COMPUTE_PGM_RSRC2:TGID_Y_EN: 0
; COMPUTE_PGM_RSRC2:TGID_Z_EN: 0
; COMPUTE_PGM_RSRC2:TIDIG_COMP_CNT: 0
	.section	.text._ZN9rocsparseL19gebsrmvn_1xn_kernelILj128ELj12ELj32E21rocsparse_complex_numIfEEEvi20rocsparse_direction_NS_24const_host_device_scalarIT2_EEPKiS8_PKS5_SA_S6_PS5_21rocsparse_index_base_b,"axG",@progbits,_ZN9rocsparseL19gebsrmvn_1xn_kernelILj128ELj12ELj32E21rocsparse_complex_numIfEEEvi20rocsparse_direction_NS_24const_host_device_scalarIT2_EEPKiS8_PKS5_SA_S6_PS5_21rocsparse_index_base_b,comdat
	.globl	_ZN9rocsparseL19gebsrmvn_1xn_kernelILj128ELj12ELj32E21rocsparse_complex_numIfEEEvi20rocsparse_direction_NS_24const_host_device_scalarIT2_EEPKiS8_PKS5_SA_S6_PS5_21rocsparse_index_base_b ; -- Begin function _ZN9rocsparseL19gebsrmvn_1xn_kernelILj128ELj12ELj32E21rocsparse_complex_numIfEEEvi20rocsparse_direction_NS_24const_host_device_scalarIT2_EEPKiS8_PKS5_SA_S6_PS5_21rocsparse_index_base_b
	.p2align	8
	.type	_ZN9rocsparseL19gebsrmvn_1xn_kernelILj128ELj12ELj32E21rocsparse_complex_numIfEEEvi20rocsparse_direction_NS_24const_host_device_scalarIT2_EEPKiS8_PKS5_SA_S6_PS5_21rocsparse_index_base_b,@function
_ZN9rocsparseL19gebsrmvn_1xn_kernelILj128ELj12ELj32E21rocsparse_complex_numIfEEEvi20rocsparse_direction_NS_24const_host_device_scalarIT2_EEPKiS8_PKS5_SA_S6_PS5_21rocsparse_index_base_b: ; @_ZN9rocsparseL19gebsrmvn_1xn_kernelILj128ELj12ELj32E21rocsparse_complex_numIfEEEvi20rocsparse_direction_NS_24const_host_device_scalarIT2_EEPKiS8_PKS5_SA_S6_PS5_21rocsparse_index_base_b
; %bb.0:
	s_clause 0x2
	s_load_dwordx2 s[8:9], s[4:5], 0x40
	s_load_dwordx2 s[0:1], s[4:5], 0x8
	;; [unrolled: 1-line block ×3, first 2 shown]
	s_add_u32 s7, s4, 8
	s_addc_u32 s10, s5, 0
	s_add_u32 s11, s4, 48
	s_addc_u32 s12, s5, 0
	s_waitcnt lgkmcnt(0)
	s_bitcmp1_b32 s9, 0
	s_cselect_b32 s0, s7, s0
	s_cselect_b32 s1, s10, s1
	v_mov_b32_e32 v1, s0
	v_mov_b32_e32 v2, s1
	s_cselect_b32 s0, s11, s2
	s_cselect_b32 s1, s12, s3
	flat_load_dwordx2 v[3:4], v[1:2]
	v_mov_b32_e32 v1, s0
	v_mov_b32_e32 v2, s1
	flat_load_dwordx2 v[1:2], v[1:2]
	s_waitcnt vmcnt(1) lgkmcnt(1)
	v_cmp_eq_f32_e32 vcc_lo, 0, v3
	v_cmp_eq_f32_e64 s0, 0, v4
	s_and_b32 s2, vcc_lo, s0
	s_mov_b32 s0, -1
	s_and_saveexec_b32 s1, s2
	s_cbranch_execz .LBB205_2
; %bb.1:
	s_waitcnt vmcnt(0) lgkmcnt(0)
	v_cmp_neq_f32_e32 vcc_lo, 1.0, v1
	v_cmp_neq_f32_e64 s0, 0, v2
	s_or_b32 s0, vcc_lo, s0
	s_orn2_b32 s0, s0, exec_lo
.LBB205_2:
	s_or_b32 exec_lo, exec_lo, s1
	s_and_saveexec_b32 s1, s0
	s_cbranch_execz .LBB205_13
; %bb.3:
	s_load_dword s0, s[4:5], 0x0
	v_lshrrev_b32_e32 v5, 5, v0
	v_lshl_or_b32 v5, s6, 2, v5
	s_waitcnt lgkmcnt(0)
	v_cmp_gt_i32_e32 vcc_lo, s0, v5
	s_and_b32 exec_lo, exec_lo, vcc_lo
	s_cbranch_execz .LBB205_13
; %bb.4:
	s_clause 0x1
	s_load_dwordx2 s[0:1], s[4:5], 0x10
	s_load_dwordx2 s[6:7], s[4:5], 0x38
	v_ashrrev_i32_e32 v6, 31, v5
	v_and_b32_e32 v0, 31, v0
	v_mov_b32_e32 v13, 0
	v_mov_b32_e32 v15, 0
	s_mov_b32 s9, exec_lo
	v_lshlrev_b64 v[7:8], 2, v[5:6]
	v_subrev_nc_u32_e32 v9, s8, v0
	s_waitcnt lgkmcnt(0)
	v_add_co_u32 v7, vcc_lo, s0, v7
	v_add_co_ci_u32_e64 v8, null, s1, v8, vcc_lo
	global_load_dwordx2 v[7:8], v[7:8], off
	s_waitcnt vmcnt(0)
	v_subrev_nc_u32_e32 v14, s8, v8
	v_add_nc_u32_e32 v7, v7, v9
	v_cmpx_lt_i32_e64 v7, v14
	s_cbranch_execz .LBB205_8
; %bb.5:
	s_clause 0x1
	s_load_dwordx4 s[0:3], s[4:5], 0x18
	s_load_dwordx2 s[4:5], s[4:5], 0x28
	v_mad_u64_u32 v[9:10], null, v7, 12, 11
	v_mov_b32_e32 v12, 0
	v_mov_b32_e32 v13, 0
	;; [unrolled: 1-line block ×3, first 2 shown]
	s_mov_b32 s10, 0
.LBB205_6:                              ; =>This Inner Loop Header: Depth=1
	v_ashrrev_i32_e32 v8, 31, v7
	v_mov_b32_e32 v41, v12
	v_lshlrev_b64 v[10:11], 2, v[7:8]
	v_add_nc_u32_e32 v7, 32, v7
	s_waitcnt lgkmcnt(0)
	v_add_co_u32 v10, vcc_lo, s0, v10
	v_add_co_ci_u32_e64 v11, null, s1, v11, vcc_lo
	global_load_dword v8, v[10:11], off
	v_add_nc_u32_e32 v11, -11, v9
	v_mov_b32_e32 v10, v12
	v_lshlrev_b64 v[16:17], 3, v[11:12]
	v_add_nc_u32_e32 v11, -7, v9
	v_lshlrev_b64 v[32:33], 3, v[11:12]
	v_add_co_u32 v20, vcc_lo, s2, v16
	v_add_co_ci_u32_e64 v21, null, s3, v17, vcc_lo
	s_clause 0x1
	global_load_dwordx4 v[16:19], v[20:21], off offset:16
	global_load_dwordx4 v[20:23], v[20:21], off
	s_waitcnt vmcnt(2)
	v_subrev_nc_u32_e32 v8, s8, v8
	v_mul_lo_u32 v40, v8, 12
	v_lshlrev_b64 v[24:25], 3, v[40:41]
	v_add_nc_u32_e32 v11, 4, v40
	v_add_co_u32 v28, vcc_lo, s4, v24
	v_add_co_ci_u32_e64 v29, null, s5, v25, vcc_lo
	v_add_co_u32 v32, vcc_lo, s2, v32
	v_add_co_ci_u32_e64 v33, null, s3, v33, vcc_lo
	s_clause 0x1
	global_load_dwordx4 v[24:27], v[28:29], off offset:16
	global_load_dwordx4 v[28:31], v[28:29], off
	global_load_dwordx2 v[48:49], v[32:33], off
	v_lshlrev_b64 v[32:33], 3, v[11:12]
	v_add_nc_u32_e32 v11, -6, v9
	v_lshlrev_b64 v[41:42], 3, v[11:12]
	v_add_co_u32 v36, vcc_lo, s4, v32
	v_add_co_ci_u32_e64 v37, null, s5, v33, vcc_lo
	s_clause 0x1
	global_load_dwordx4 v[32:35], v[36:37], off offset:16
	global_load_dwordx4 v[36:39], v[36:37], off
	v_add_nc_u32_e32 v11, -5, v9
	v_add_co_u32 v41, vcc_lo, s2, v41
	v_add_co_ci_u32_e64 v42, null, s3, v42, vcc_lo
	v_lshlrev_b64 v[43:44], 3, v[11:12]
	v_add_nc_u32_e32 v11, -4, v9
	global_load_dwordx2 v[50:51], v[41:42], off
	v_add_co_u32 v41, vcc_lo, s2, v43
	v_add_co_ci_u32_e64 v42, null, s3, v44, vcc_lo
	v_lshlrev_b64 v[45:46], 3, v[11:12]
	v_add_nc_u32_e32 v11, -3, v9
	global_load_dwordx2 v[52:53], v[41:42], off
	v_lshlrev_b64 v[43:44], 3, v[11:12]
	v_add_nc_u32_e32 v11, 8, v40
	v_add_co_u32 v40, vcc_lo, s2, v45
	v_add_co_ci_u32_e64 v41, null, s3, v46, vcc_lo
	v_lshlrev_b64 v[45:46], 3, v[11:12]
	v_add_nc_u32_e32 v11, -2, v9
	global_load_dwordx2 v[54:55], v[40:41], off
	v_add_co_u32 v40, vcc_lo, s2, v43
	v_add_co_ci_u32_e64 v41, null, s3, v44, vcc_lo
	v_add_co_u32 v44, vcc_lo, s4, v45
	v_add_co_ci_u32_e64 v45, null, s5, v46, vcc_lo
	v_lshlrev_b64 v[56:57], 3, v[11:12]
	global_load_dwordx2 v[58:59], v[40:41], off
	s_clause 0x1
	global_load_dwordx4 v[40:43], v[44:45], off
	global_load_dwordx4 v[44:47], v[44:45], off offset:16
	v_add_nc_u32_e32 v11, -1, v9
	v_add_co_u32 v56, vcc_lo, s2, v56
	v_add_co_ci_u32_e64 v57, null, s3, v57, vcc_lo
	v_lshlrev_b64 v[60:61], 3, v[11:12]
	v_lshlrev_b64 v[10:11], 3, v[9:10]
	v_add_nc_u32_e32 v9, 0x180, v9
	global_load_dwordx2 v[56:57], v[56:57], off
	v_add_co_u32 v60, vcc_lo, s2, v60
	v_add_co_ci_u32_e64 v61, null, s3, v61, vcc_lo
	v_add_co_u32 v10, vcc_lo, s2, v10
	v_add_co_ci_u32_e64 v11, null, s3, v11, vcc_lo
	global_load_dwordx2 v[60:61], v[60:61], off
	v_cmp_ge_i32_e32 vcc_lo, v7, v14
	global_load_dwordx2 v[10:11], v[10:11], off
	s_or_b32 s10, vcc_lo, s10
	s_waitcnt vmcnt(12)
	v_fmac_f32_e32 v15, v20, v28
	v_fmac_f32_e32 v13, v21, v28
	v_fma_f32 v8, -v21, v29, v15
	v_fmac_f32_e32 v13, v20, v29
	v_fmac_f32_e32 v8, v22, v30
	v_fmac_f32_e32 v13, v23, v30
	v_fma_f32 v8, -v23, v31, v8
	v_fmac_f32_e32 v13, v22, v31
	;; [unrolled: 4-line block ×4, first 2 shown]
	s_waitcnt vmcnt(9)
	v_fmac_f32_e32 v8, v48, v36
	v_fmac_f32_e32 v13, v49, v36
	v_fma_f32 v8, -v49, v37, v8
	v_fmac_f32_e32 v13, v48, v37
	s_waitcnt vmcnt(8)
	v_fmac_f32_e32 v8, v50, v38
	v_fmac_f32_e32 v13, v51, v38
	v_fma_f32 v8, -v51, v39, v8
	v_fmac_f32_e32 v13, v50, v39
	;; [unrolled: 5-line block ×8, first 2 shown]
	s_andn2_b32 exec_lo, exec_lo, s10
	s_cbranch_execnz .LBB205_6
; %bb.7:
	s_or_b32 exec_lo, exec_lo, s10
.LBB205_8:
	s_or_b32 exec_lo, exec_lo, s9
	v_mbcnt_lo_u32_b32 v7, -1, 0
	v_xor_b32_e32 v8, 16, v7
	v_xor_b32_e32 v10, 8, v7
	;; [unrolled: 1-line block ×3, first 2 shown]
	v_cmp_gt_i32_e32 vcc_lo, 32, v8
	v_cndmask_b32_e32 v8, v7, v8, vcc_lo
	v_cmp_gt_i32_e32 vcc_lo, 32, v10
	v_lshlrev_b32_e32 v8, 2, v8
	v_cndmask_b32_e32 v10, v7, v10, vcc_lo
	v_cmp_gt_i32_e32 vcc_lo, 32, v12
	ds_bpermute_b32 v9, v8, v15
	ds_bpermute_b32 v8, v8, v13
	v_lshlrev_b32_e32 v10, 2, v10
	v_cndmask_b32_e32 v12, v7, v12, vcc_lo
	v_lshlrev_b32_e32 v12, 2, v12
	s_waitcnt lgkmcnt(1)
	v_add_f32_e32 v9, v15, v9
	s_waitcnt lgkmcnt(0)
	v_add_f32_e32 v8, v13, v8
	ds_bpermute_b32 v11, v10, v9
	ds_bpermute_b32 v10, v10, v8
	s_waitcnt lgkmcnt(1)
	v_add_f32_e32 v9, v9, v11
	s_waitcnt lgkmcnt(0)
	v_add_f32_e32 v8, v8, v10
	ds_bpermute_b32 v10, v12, v9
	ds_bpermute_b32 v11, v12, v8
	v_xor_b32_e32 v12, 2, v7
	v_cmp_gt_i32_e32 vcc_lo, 32, v12
	v_cndmask_b32_e32 v12, v7, v12, vcc_lo
	v_lshlrev_b32_e32 v12, 2, v12
	s_waitcnt lgkmcnt(1)
	v_add_f32_e32 v9, v9, v10
	s_waitcnt lgkmcnt(0)
	v_add_f32_e32 v8, v8, v11
	ds_bpermute_b32 v10, v12, v9
	ds_bpermute_b32 v11, v12, v8
	v_xor_b32_e32 v12, 1, v7
	v_cmp_gt_i32_e32 vcc_lo, 32, v12
	v_cndmask_b32_e32 v7, v7, v12, vcc_lo
	v_cmp_eq_u32_e32 vcc_lo, 31, v0
	v_lshlrev_b32_e32 v12, 2, v7
	s_waitcnt lgkmcnt(1)
	v_add_f32_e32 v7, v9, v10
	s_waitcnt lgkmcnt(0)
	v_add_f32_e32 v9, v8, v11
	ds_bpermute_b32 v8, v12, v7
	ds_bpermute_b32 v10, v12, v9
	s_and_b32 exec_lo, exec_lo, vcc_lo
	s_cbranch_execz .LBB205_13
; %bb.9:
	s_waitcnt lgkmcnt(0)
	v_add_f32_e32 v0, v9, v10
	v_add_f32_e32 v9, v7, v8
	v_cmp_eq_f32_e32 vcc_lo, 0, v1
	v_cmp_eq_f32_e64 s0, 0, v2
	v_lshlrev_b64 v[5:6], 3, v[5:6]
	v_mul_f32_e64 v7, v0, -v4
	v_mul_f32_e32 v8, v3, v0
	s_and_b32 s0, vcc_lo, s0
	v_fmac_f32_e32 v7, v3, v9
	v_fmac_f32_e32 v8, v4, v9
	s_and_saveexec_b32 s1, s0
	s_xor_b32 s0, exec_lo, s1
	s_cbranch_execz .LBB205_11
; %bb.10:
	v_add_co_u32 v0, vcc_lo, s6, v5
	v_add_co_ci_u32_e64 v1, null, s7, v6, vcc_lo
                                        ; implicit-def: $vgpr5_vgpr6
	global_store_dwordx2 v[0:1], v[7:8], off
                                        ; implicit-def: $vgpr1_vgpr2
                                        ; implicit-def: $vgpr7
.LBB205_11:
	s_andn2_saveexec_b32 s0, s0
	s_cbranch_execz .LBB205_13
; %bb.12:
	v_add_co_u32 v3, vcc_lo, s6, v5
	v_add_co_ci_u32_e64 v4, null, s7, v6, vcc_lo
	global_load_dwordx2 v[5:6], v[3:4], off
	s_waitcnt vmcnt(0)
	v_fmac_f32_e32 v7, v1, v5
	v_fmac_f32_e32 v8, v2, v5
	v_fma_f32 v7, -v2, v6, v7
	v_fmac_f32_e32 v8, v1, v6
	global_store_dwordx2 v[3:4], v[7:8], off
.LBB205_13:
	s_endpgm
	.section	.rodata,"a",@progbits
	.p2align	6, 0x0
	.amdhsa_kernel _ZN9rocsparseL19gebsrmvn_1xn_kernelILj128ELj12ELj32E21rocsparse_complex_numIfEEEvi20rocsparse_direction_NS_24const_host_device_scalarIT2_EEPKiS8_PKS5_SA_S6_PS5_21rocsparse_index_base_b
		.amdhsa_group_segment_fixed_size 0
		.amdhsa_private_segment_fixed_size 0
		.amdhsa_kernarg_size 72
		.amdhsa_user_sgpr_count 6
		.amdhsa_user_sgpr_private_segment_buffer 1
		.amdhsa_user_sgpr_dispatch_ptr 0
		.amdhsa_user_sgpr_queue_ptr 0
		.amdhsa_user_sgpr_kernarg_segment_ptr 1
		.amdhsa_user_sgpr_dispatch_id 0
		.amdhsa_user_sgpr_flat_scratch_init 0
		.amdhsa_user_sgpr_private_segment_size 0
		.amdhsa_wavefront_size32 1
		.amdhsa_uses_dynamic_stack 0
		.amdhsa_system_sgpr_private_segment_wavefront_offset 0
		.amdhsa_system_sgpr_workgroup_id_x 1
		.amdhsa_system_sgpr_workgroup_id_y 0
		.amdhsa_system_sgpr_workgroup_id_z 0
		.amdhsa_system_sgpr_workgroup_info 0
		.amdhsa_system_vgpr_workitem_id 0
		.amdhsa_next_free_vgpr 62
		.amdhsa_next_free_sgpr 13
		.amdhsa_reserve_vcc 1
		.amdhsa_reserve_flat_scratch 0
		.amdhsa_float_round_mode_32 0
		.amdhsa_float_round_mode_16_64 0
		.amdhsa_float_denorm_mode_32 3
		.amdhsa_float_denorm_mode_16_64 3
		.amdhsa_dx10_clamp 1
		.amdhsa_ieee_mode 1
		.amdhsa_fp16_overflow 0
		.amdhsa_workgroup_processor_mode 1
		.amdhsa_memory_ordered 1
		.amdhsa_forward_progress 1
		.amdhsa_shared_vgpr_count 0
		.amdhsa_exception_fp_ieee_invalid_op 0
		.amdhsa_exception_fp_denorm_src 0
		.amdhsa_exception_fp_ieee_div_zero 0
		.amdhsa_exception_fp_ieee_overflow 0
		.amdhsa_exception_fp_ieee_underflow 0
		.amdhsa_exception_fp_ieee_inexact 0
		.amdhsa_exception_int_div_zero 0
	.end_amdhsa_kernel
	.section	.text._ZN9rocsparseL19gebsrmvn_1xn_kernelILj128ELj12ELj32E21rocsparse_complex_numIfEEEvi20rocsparse_direction_NS_24const_host_device_scalarIT2_EEPKiS8_PKS5_SA_S6_PS5_21rocsparse_index_base_b,"axG",@progbits,_ZN9rocsparseL19gebsrmvn_1xn_kernelILj128ELj12ELj32E21rocsparse_complex_numIfEEEvi20rocsparse_direction_NS_24const_host_device_scalarIT2_EEPKiS8_PKS5_SA_S6_PS5_21rocsparse_index_base_b,comdat
.Lfunc_end205:
	.size	_ZN9rocsparseL19gebsrmvn_1xn_kernelILj128ELj12ELj32E21rocsparse_complex_numIfEEEvi20rocsparse_direction_NS_24const_host_device_scalarIT2_EEPKiS8_PKS5_SA_S6_PS5_21rocsparse_index_base_b, .Lfunc_end205-_ZN9rocsparseL19gebsrmvn_1xn_kernelILj128ELj12ELj32E21rocsparse_complex_numIfEEEvi20rocsparse_direction_NS_24const_host_device_scalarIT2_EEPKiS8_PKS5_SA_S6_PS5_21rocsparse_index_base_b
                                        ; -- End function
	.set _ZN9rocsparseL19gebsrmvn_1xn_kernelILj128ELj12ELj32E21rocsparse_complex_numIfEEEvi20rocsparse_direction_NS_24const_host_device_scalarIT2_EEPKiS8_PKS5_SA_S6_PS5_21rocsparse_index_base_b.num_vgpr, 62
	.set _ZN9rocsparseL19gebsrmvn_1xn_kernelILj128ELj12ELj32E21rocsparse_complex_numIfEEEvi20rocsparse_direction_NS_24const_host_device_scalarIT2_EEPKiS8_PKS5_SA_S6_PS5_21rocsparse_index_base_b.num_agpr, 0
	.set _ZN9rocsparseL19gebsrmvn_1xn_kernelILj128ELj12ELj32E21rocsparse_complex_numIfEEEvi20rocsparse_direction_NS_24const_host_device_scalarIT2_EEPKiS8_PKS5_SA_S6_PS5_21rocsparse_index_base_b.numbered_sgpr, 13
	.set _ZN9rocsparseL19gebsrmvn_1xn_kernelILj128ELj12ELj32E21rocsparse_complex_numIfEEEvi20rocsparse_direction_NS_24const_host_device_scalarIT2_EEPKiS8_PKS5_SA_S6_PS5_21rocsparse_index_base_b.num_named_barrier, 0
	.set _ZN9rocsparseL19gebsrmvn_1xn_kernelILj128ELj12ELj32E21rocsparse_complex_numIfEEEvi20rocsparse_direction_NS_24const_host_device_scalarIT2_EEPKiS8_PKS5_SA_S6_PS5_21rocsparse_index_base_b.private_seg_size, 0
	.set _ZN9rocsparseL19gebsrmvn_1xn_kernelILj128ELj12ELj32E21rocsparse_complex_numIfEEEvi20rocsparse_direction_NS_24const_host_device_scalarIT2_EEPKiS8_PKS5_SA_S6_PS5_21rocsparse_index_base_b.uses_vcc, 1
	.set _ZN9rocsparseL19gebsrmvn_1xn_kernelILj128ELj12ELj32E21rocsparse_complex_numIfEEEvi20rocsparse_direction_NS_24const_host_device_scalarIT2_EEPKiS8_PKS5_SA_S6_PS5_21rocsparse_index_base_b.uses_flat_scratch, 0
	.set _ZN9rocsparseL19gebsrmvn_1xn_kernelILj128ELj12ELj32E21rocsparse_complex_numIfEEEvi20rocsparse_direction_NS_24const_host_device_scalarIT2_EEPKiS8_PKS5_SA_S6_PS5_21rocsparse_index_base_b.has_dyn_sized_stack, 0
	.set _ZN9rocsparseL19gebsrmvn_1xn_kernelILj128ELj12ELj32E21rocsparse_complex_numIfEEEvi20rocsparse_direction_NS_24const_host_device_scalarIT2_EEPKiS8_PKS5_SA_S6_PS5_21rocsparse_index_base_b.has_recursion, 0
	.set _ZN9rocsparseL19gebsrmvn_1xn_kernelILj128ELj12ELj32E21rocsparse_complex_numIfEEEvi20rocsparse_direction_NS_24const_host_device_scalarIT2_EEPKiS8_PKS5_SA_S6_PS5_21rocsparse_index_base_b.has_indirect_call, 0
	.section	.AMDGPU.csdata,"",@progbits
; Kernel info:
; codeLenInByte = 1604
; TotalNumSgprs: 15
; NumVgprs: 62
; ScratchSize: 0
; MemoryBound: 0
; FloatMode: 240
; IeeeMode: 1
; LDSByteSize: 0 bytes/workgroup (compile time only)
; SGPRBlocks: 0
; VGPRBlocks: 7
; NumSGPRsForWavesPerEU: 15
; NumVGPRsForWavesPerEU: 62
; Occupancy: 16
; WaveLimiterHint : 1
; COMPUTE_PGM_RSRC2:SCRATCH_EN: 0
; COMPUTE_PGM_RSRC2:USER_SGPR: 6
; COMPUTE_PGM_RSRC2:TRAP_HANDLER: 0
; COMPUTE_PGM_RSRC2:TGID_X_EN: 1
; COMPUTE_PGM_RSRC2:TGID_Y_EN: 0
; COMPUTE_PGM_RSRC2:TGID_Z_EN: 0
; COMPUTE_PGM_RSRC2:TIDIG_COMP_CNT: 0
	.section	.text._ZN9rocsparseL19gebsrmvn_1xn_kernelILj128ELj12ELj64E21rocsparse_complex_numIfEEEvi20rocsparse_direction_NS_24const_host_device_scalarIT2_EEPKiS8_PKS5_SA_S6_PS5_21rocsparse_index_base_b,"axG",@progbits,_ZN9rocsparseL19gebsrmvn_1xn_kernelILj128ELj12ELj64E21rocsparse_complex_numIfEEEvi20rocsparse_direction_NS_24const_host_device_scalarIT2_EEPKiS8_PKS5_SA_S6_PS5_21rocsparse_index_base_b,comdat
	.globl	_ZN9rocsparseL19gebsrmvn_1xn_kernelILj128ELj12ELj64E21rocsparse_complex_numIfEEEvi20rocsparse_direction_NS_24const_host_device_scalarIT2_EEPKiS8_PKS5_SA_S6_PS5_21rocsparse_index_base_b ; -- Begin function _ZN9rocsparseL19gebsrmvn_1xn_kernelILj128ELj12ELj64E21rocsparse_complex_numIfEEEvi20rocsparse_direction_NS_24const_host_device_scalarIT2_EEPKiS8_PKS5_SA_S6_PS5_21rocsparse_index_base_b
	.p2align	8
	.type	_ZN9rocsparseL19gebsrmvn_1xn_kernelILj128ELj12ELj64E21rocsparse_complex_numIfEEEvi20rocsparse_direction_NS_24const_host_device_scalarIT2_EEPKiS8_PKS5_SA_S6_PS5_21rocsparse_index_base_b,@function
_ZN9rocsparseL19gebsrmvn_1xn_kernelILj128ELj12ELj64E21rocsparse_complex_numIfEEEvi20rocsparse_direction_NS_24const_host_device_scalarIT2_EEPKiS8_PKS5_SA_S6_PS5_21rocsparse_index_base_b: ; @_ZN9rocsparseL19gebsrmvn_1xn_kernelILj128ELj12ELj64E21rocsparse_complex_numIfEEEvi20rocsparse_direction_NS_24const_host_device_scalarIT2_EEPKiS8_PKS5_SA_S6_PS5_21rocsparse_index_base_b
; %bb.0:
	s_clause 0x2
	s_load_dwordx2 s[8:9], s[4:5], 0x40
	s_load_dwordx2 s[0:1], s[4:5], 0x8
	;; [unrolled: 1-line block ×3, first 2 shown]
	s_add_u32 s7, s4, 8
	s_addc_u32 s10, s5, 0
	s_add_u32 s11, s4, 48
	s_addc_u32 s12, s5, 0
	s_waitcnt lgkmcnt(0)
	s_bitcmp1_b32 s9, 0
	s_cselect_b32 s0, s7, s0
	s_cselect_b32 s1, s10, s1
	v_mov_b32_e32 v1, s0
	v_mov_b32_e32 v2, s1
	s_cselect_b32 s0, s11, s2
	s_cselect_b32 s1, s12, s3
	flat_load_dwordx2 v[3:4], v[1:2]
	v_mov_b32_e32 v1, s0
	v_mov_b32_e32 v2, s1
	flat_load_dwordx2 v[1:2], v[1:2]
	s_waitcnt vmcnt(1) lgkmcnt(1)
	v_cmp_eq_f32_e32 vcc_lo, 0, v3
	v_cmp_eq_f32_e64 s0, 0, v4
	s_and_b32 s2, vcc_lo, s0
	s_mov_b32 s0, -1
	s_and_saveexec_b32 s1, s2
	s_cbranch_execz .LBB206_2
; %bb.1:
	s_waitcnt vmcnt(0) lgkmcnt(0)
	v_cmp_neq_f32_e32 vcc_lo, 1.0, v1
	v_cmp_neq_f32_e64 s0, 0, v2
	s_or_b32 s0, vcc_lo, s0
	s_orn2_b32 s0, s0, exec_lo
.LBB206_2:
	s_or_b32 exec_lo, exec_lo, s1
	s_and_saveexec_b32 s1, s0
	s_cbranch_execz .LBB206_13
; %bb.3:
	s_load_dword s0, s[4:5], 0x0
	v_lshrrev_b32_e32 v5, 6, v0
	v_lshl_or_b32 v5, s6, 1, v5
	s_waitcnt lgkmcnt(0)
	v_cmp_gt_i32_e32 vcc_lo, s0, v5
	s_and_b32 exec_lo, exec_lo, vcc_lo
	s_cbranch_execz .LBB206_13
; %bb.4:
	s_clause 0x1
	s_load_dwordx2 s[0:1], s[4:5], 0x10
	s_load_dwordx2 s[6:7], s[4:5], 0x38
	v_ashrrev_i32_e32 v6, 31, v5
	v_and_b32_e32 v0, 63, v0
	v_mov_b32_e32 v13, 0
	v_mov_b32_e32 v15, 0
	s_mov_b32 s9, exec_lo
	v_lshlrev_b64 v[7:8], 2, v[5:6]
	v_subrev_nc_u32_e32 v9, s8, v0
	s_waitcnt lgkmcnt(0)
	v_add_co_u32 v7, vcc_lo, s0, v7
	v_add_co_ci_u32_e64 v8, null, s1, v8, vcc_lo
	global_load_dwordx2 v[7:8], v[7:8], off
	s_waitcnt vmcnt(0)
	v_subrev_nc_u32_e32 v14, s8, v8
	v_add_nc_u32_e32 v7, v7, v9
	v_cmpx_lt_i32_e64 v7, v14
	s_cbranch_execz .LBB206_8
; %bb.5:
	s_clause 0x1
	s_load_dwordx4 s[0:3], s[4:5], 0x18
	s_load_dwordx2 s[4:5], s[4:5], 0x28
	v_mad_u64_u32 v[9:10], null, v7, 12, 11
	v_mov_b32_e32 v12, 0
	v_mov_b32_e32 v13, 0
	;; [unrolled: 1-line block ×3, first 2 shown]
	s_mov_b32 s10, 0
.LBB206_6:                              ; =>This Inner Loop Header: Depth=1
	v_ashrrev_i32_e32 v8, 31, v7
	v_mov_b32_e32 v41, v12
	v_lshlrev_b64 v[10:11], 2, v[7:8]
	v_add_nc_u32_e32 v7, 64, v7
	s_waitcnt lgkmcnt(0)
	v_add_co_u32 v10, vcc_lo, s0, v10
	v_add_co_ci_u32_e64 v11, null, s1, v11, vcc_lo
	global_load_dword v8, v[10:11], off
	v_add_nc_u32_e32 v11, -11, v9
	v_mov_b32_e32 v10, v12
	v_lshlrev_b64 v[16:17], 3, v[11:12]
	v_add_nc_u32_e32 v11, -7, v9
	v_lshlrev_b64 v[32:33], 3, v[11:12]
	v_add_co_u32 v20, vcc_lo, s2, v16
	v_add_co_ci_u32_e64 v21, null, s3, v17, vcc_lo
	s_clause 0x1
	global_load_dwordx4 v[16:19], v[20:21], off offset:16
	global_load_dwordx4 v[20:23], v[20:21], off
	s_waitcnt vmcnt(2)
	v_subrev_nc_u32_e32 v8, s8, v8
	v_mul_lo_u32 v40, v8, 12
	v_lshlrev_b64 v[24:25], 3, v[40:41]
	v_add_nc_u32_e32 v11, 4, v40
	v_add_co_u32 v28, vcc_lo, s4, v24
	v_add_co_ci_u32_e64 v29, null, s5, v25, vcc_lo
	v_add_co_u32 v32, vcc_lo, s2, v32
	v_add_co_ci_u32_e64 v33, null, s3, v33, vcc_lo
	s_clause 0x1
	global_load_dwordx4 v[24:27], v[28:29], off offset:16
	global_load_dwordx4 v[28:31], v[28:29], off
	global_load_dwordx2 v[48:49], v[32:33], off
	v_lshlrev_b64 v[32:33], 3, v[11:12]
	v_add_nc_u32_e32 v11, -6, v9
	v_lshlrev_b64 v[41:42], 3, v[11:12]
	v_add_co_u32 v36, vcc_lo, s4, v32
	v_add_co_ci_u32_e64 v37, null, s5, v33, vcc_lo
	s_clause 0x1
	global_load_dwordx4 v[32:35], v[36:37], off offset:16
	global_load_dwordx4 v[36:39], v[36:37], off
	v_add_nc_u32_e32 v11, -5, v9
	v_add_co_u32 v41, vcc_lo, s2, v41
	v_add_co_ci_u32_e64 v42, null, s3, v42, vcc_lo
	v_lshlrev_b64 v[43:44], 3, v[11:12]
	v_add_nc_u32_e32 v11, -4, v9
	global_load_dwordx2 v[50:51], v[41:42], off
	v_add_co_u32 v41, vcc_lo, s2, v43
	v_add_co_ci_u32_e64 v42, null, s3, v44, vcc_lo
	v_lshlrev_b64 v[45:46], 3, v[11:12]
	v_add_nc_u32_e32 v11, -3, v9
	global_load_dwordx2 v[52:53], v[41:42], off
	v_lshlrev_b64 v[43:44], 3, v[11:12]
	v_add_nc_u32_e32 v11, 8, v40
	v_add_co_u32 v40, vcc_lo, s2, v45
	v_add_co_ci_u32_e64 v41, null, s3, v46, vcc_lo
	v_lshlrev_b64 v[45:46], 3, v[11:12]
	v_add_nc_u32_e32 v11, -2, v9
	global_load_dwordx2 v[54:55], v[40:41], off
	v_add_co_u32 v40, vcc_lo, s2, v43
	v_add_co_ci_u32_e64 v41, null, s3, v44, vcc_lo
	v_add_co_u32 v44, vcc_lo, s4, v45
	v_add_co_ci_u32_e64 v45, null, s5, v46, vcc_lo
	v_lshlrev_b64 v[56:57], 3, v[11:12]
	global_load_dwordx2 v[58:59], v[40:41], off
	s_clause 0x1
	global_load_dwordx4 v[40:43], v[44:45], off
	global_load_dwordx4 v[44:47], v[44:45], off offset:16
	v_add_nc_u32_e32 v11, -1, v9
	v_add_co_u32 v56, vcc_lo, s2, v56
	v_add_co_ci_u32_e64 v57, null, s3, v57, vcc_lo
	v_lshlrev_b64 v[60:61], 3, v[11:12]
	v_lshlrev_b64 v[10:11], 3, v[9:10]
	v_add_nc_u32_e32 v9, 0x300, v9
	global_load_dwordx2 v[56:57], v[56:57], off
	v_add_co_u32 v60, vcc_lo, s2, v60
	v_add_co_ci_u32_e64 v61, null, s3, v61, vcc_lo
	v_add_co_u32 v10, vcc_lo, s2, v10
	v_add_co_ci_u32_e64 v11, null, s3, v11, vcc_lo
	global_load_dwordx2 v[60:61], v[60:61], off
	v_cmp_ge_i32_e32 vcc_lo, v7, v14
	global_load_dwordx2 v[10:11], v[10:11], off
	s_or_b32 s10, vcc_lo, s10
	s_waitcnt vmcnt(12)
	v_fmac_f32_e32 v15, v20, v28
	v_fmac_f32_e32 v13, v21, v28
	v_fma_f32 v8, -v21, v29, v15
	v_fmac_f32_e32 v13, v20, v29
	v_fmac_f32_e32 v8, v22, v30
	v_fmac_f32_e32 v13, v23, v30
	v_fma_f32 v8, -v23, v31, v8
	v_fmac_f32_e32 v13, v22, v31
	;; [unrolled: 4-line block ×4, first 2 shown]
	s_waitcnt vmcnt(9)
	v_fmac_f32_e32 v8, v48, v36
	v_fmac_f32_e32 v13, v49, v36
	v_fma_f32 v8, -v49, v37, v8
	v_fmac_f32_e32 v13, v48, v37
	s_waitcnt vmcnt(8)
	v_fmac_f32_e32 v8, v50, v38
	v_fmac_f32_e32 v13, v51, v38
	v_fma_f32 v8, -v51, v39, v8
	v_fmac_f32_e32 v13, v50, v39
	;; [unrolled: 5-line block ×8, first 2 shown]
	s_andn2_b32 exec_lo, exec_lo, s10
	s_cbranch_execnz .LBB206_6
; %bb.7:
	s_or_b32 exec_lo, exec_lo, s10
.LBB206_8:
	s_or_b32 exec_lo, exec_lo, s9
	v_mbcnt_lo_u32_b32 v7, -1, 0
	v_or_b32_e32 v8, 32, v7
	v_xor_b32_e32 v10, 16, v7
	v_xor_b32_e32 v12, 8, v7
	v_cmp_gt_i32_e32 vcc_lo, 32, v8
	v_cndmask_b32_e32 v8, v7, v8, vcc_lo
	v_cmp_gt_i32_e32 vcc_lo, 32, v10
	v_lshlrev_b32_e32 v8, 2, v8
	v_cndmask_b32_e32 v10, v7, v10, vcc_lo
	v_cmp_gt_i32_e32 vcc_lo, 32, v12
	ds_bpermute_b32 v9, v8, v15
	ds_bpermute_b32 v8, v8, v13
	v_lshlrev_b32_e32 v10, 2, v10
	v_cndmask_b32_e32 v12, v7, v12, vcc_lo
	v_lshlrev_b32_e32 v12, 2, v12
	s_waitcnt lgkmcnt(1)
	v_add_f32_e32 v9, v15, v9
	s_waitcnt lgkmcnt(0)
	v_add_f32_e32 v8, v13, v8
	ds_bpermute_b32 v11, v10, v9
	ds_bpermute_b32 v10, v10, v8
	s_waitcnt lgkmcnt(1)
	v_add_f32_e32 v9, v9, v11
	s_waitcnt lgkmcnt(0)
	v_add_f32_e32 v8, v8, v10
	ds_bpermute_b32 v10, v12, v9
	ds_bpermute_b32 v11, v12, v8
	v_xor_b32_e32 v12, 4, v7
	v_cmp_gt_i32_e32 vcc_lo, 32, v12
	v_cndmask_b32_e32 v12, v7, v12, vcc_lo
	v_lshlrev_b32_e32 v12, 2, v12
	s_waitcnt lgkmcnt(1)
	v_add_f32_e32 v9, v9, v10
	s_waitcnt lgkmcnt(0)
	v_add_f32_e32 v8, v8, v11
	ds_bpermute_b32 v10, v12, v9
	ds_bpermute_b32 v11, v12, v8
	v_xor_b32_e32 v12, 2, v7
	v_cmp_gt_i32_e32 vcc_lo, 32, v12
	v_cndmask_b32_e32 v12, v7, v12, vcc_lo
	v_lshlrev_b32_e32 v12, 2, v12
	s_waitcnt lgkmcnt(1)
	v_add_f32_e32 v9, v9, v10
	s_waitcnt lgkmcnt(0)
	v_add_f32_e32 v8, v8, v11
	ds_bpermute_b32 v10, v12, v9
	ds_bpermute_b32 v11, v12, v8
	v_xor_b32_e32 v12, 1, v7
	v_cmp_gt_i32_e32 vcc_lo, 32, v12
	v_cndmask_b32_e32 v7, v7, v12, vcc_lo
	v_cmp_eq_u32_e32 vcc_lo, 63, v0
	v_lshlrev_b32_e32 v12, 2, v7
	s_waitcnt lgkmcnt(1)
	v_add_f32_e32 v7, v9, v10
	s_waitcnt lgkmcnt(0)
	v_add_f32_e32 v9, v8, v11
	ds_bpermute_b32 v8, v12, v7
	ds_bpermute_b32 v10, v12, v9
	s_and_b32 exec_lo, exec_lo, vcc_lo
	s_cbranch_execz .LBB206_13
; %bb.9:
	s_waitcnt lgkmcnt(0)
	v_add_f32_e32 v0, v9, v10
	v_add_f32_e32 v9, v7, v8
	v_cmp_eq_f32_e32 vcc_lo, 0, v1
	v_cmp_eq_f32_e64 s0, 0, v2
	v_lshlrev_b64 v[5:6], 3, v[5:6]
	v_mul_f32_e64 v7, v0, -v4
	v_mul_f32_e32 v8, v3, v0
	s_and_b32 s0, vcc_lo, s0
	v_fmac_f32_e32 v7, v3, v9
	v_fmac_f32_e32 v8, v4, v9
	s_and_saveexec_b32 s1, s0
	s_xor_b32 s0, exec_lo, s1
	s_cbranch_execz .LBB206_11
; %bb.10:
	v_add_co_u32 v0, vcc_lo, s6, v5
	v_add_co_ci_u32_e64 v1, null, s7, v6, vcc_lo
                                        ; implicit-def: $vgpr5_vgpr6
	global_store_dwordx2 v[0:1], v[7:8], off
                                        ; implicit-def: $vgpr1_vgpr2
                                        ; implicit-def: $vgpr7
.LBB206_11:
	s_andn2_saveexec_b32 s0, s0
	s_cbranch_execz .LBB206_13
; %bb.12:
	v_add_co_u32 v3, vcc_lo, s6, v5
	v_add_co_ci_u32_e64 v4, null, s7, v6, vcc_lo
	global_load_dwordx2 v[5:6], v[3:4], off
	s_waitcnt vmcnt(0)
	v_fmac_f32_e32 v7, v1, v5
	v_fmac_f32_e32 v8, v2, v5
	v_fma_f32 v7, -v2, v6, v7
	v_fmac_f32_e32 v8, v1, v6
	global_store_dwordx2 v[3:4], v[7:8], off
.LBB206_13:
	s_endpgm
	.section	.rodata,"a",@progbits
	.p2align	6, 0x0
	.amdhsa_kernel _ZN9rocsparseL19gebsrmvn_1xn_kernelILj128ELj12ELj64E21rocsparse_complex_numIfEEEvi20rocsparse_direction_NS_24const_host_device_scalarIT2_EEPKiS8_PKS5_SA_S6_PS5_21rocsparse_index_base_b
		.amdhsa_group_segment_fixed_size 0
		.amdhsa_private_segment_fixed_size 0
		.amdhsa_kernarg_size 72
		.amdhsa_user_sgpr_count 6
		.amdhsa_user_sgpr_private_segment_buffer 1
		.amdhsa_user_sgpr_dispatch_ptr 0
		.amdhsa_user_sgpr_queue_ptr 0
		.amdhsa_user_sgpr_kernarg_segment_ptr 1
		.amdhsa_user_sgpr_dispatch_id 0
		.amdhsa_user_sgpr_flat_scratch_init 0
		.amdhsa_user_sgpr_private_segment_size 0
		.amdhsa_wavefront_size32 1
		.amdhsa_uses_dynamic_stack 0
		.amdhsa_system_sgpr_private_segment_wavefront_offset 0
		.amdhsa_system_sgpr_workgroup_id_x 1
		.amdhsa_system_sgpr_workgroup_id_y 0
		.amdhsa_system_sgpr_workgroup_id_z 0
		.amdhsa_system_sgpr_workgroup_info 0
		.amdhsa_system_vgpr_workitem_id 0
		.amdhsa_next_free_vgpr 62
		.amdhsa_next_free_sgpr 13
		.amdhsa_reserve_vcc 1
		.amdhsa_reserve_flat_scratch 0
		.amdhsa_float_round_mode_32 0
		.amdhsa_float_round_mode_16_64 0
		.amdhsa_float_denorm_mode_32 3
		.amdhsa_float_denorm_mode_16_64 3
		.amdhsa_dx10_clamp 1
		.amdhsa_ieee_mode 1
		.amdhsa_fp16_overflow 0
		.amdhsa_workgroup_processor_mode 1
		.amdhsa_memory_ordered 1
		.amdhsa_forward_progress 1
		.amdhsa_shared_vgpr_count 0
		.amdhsa_exception_fp_ieee_invalid_op 0
		.amdhsa_exception_fp_denorm_src 0
		.amdhsa_exception_fp_ieee_div_zero 0
		.amdhsa_exception_fp_ieee_overflow 0
		.amdhsa_exception_fp_ieee_underflow 0
		.amdhsa_exception_fp_ieee_inexact 0
		.amdhsa_exception_int_div_zero 0
	.end_amdhsa_kernel
	.section	.text._ZN9rocsparseL19gebsrmvn_1xn_kernelILj128ELj12ELj64E21rocsparse_complex_numIfEEEvi20rocsparse_direction_NS_24const_host_device_scalarIT2_EEPKiS8_PKS5_SA_S6_PS5_21rocsparse_index_base_b,"axG",@progbits,_ZN9rocsparseL19gebsrmvn_1xn_kernelILj128ELj12ELj64E21rocsparse_complex_numIfEEEvi20rocsparse_direction_NS_24const_host_device_scalarIT2_EEPKiS8_PKS5_SA_S6_PS5_21rocsparse_index_base_b,comdat
.Lfunc_end206:
	.size	_ZN9rocsparseL19gebsrmvn_1xn_kernelILj128ELj12ELj64E21rocsparse_complex_numIfEEEvi20rocsparse_direction_NS_24const_host_device_scalarIT2_EEPKiS8_PKS5_SA_S6_PS5_21rocsparse_index_base_b, .Lfunc_end206-_ZN9rocsparseL19gebsrmvn_1xn_kernelILj128ELj12ELj64E21rocsparse_complex_numIfEEEvi20rocsparse_direction_NS_24const_host_device_scalarIT2_EEPKiS8_PKS5_SA_S6_PS5_21rocsparse_index_base_b
                                        ; -- End function
	.set _ZN9rocsparseL19gebsrmvn_1xn_kernelILj128ELj12ELj64E21rocsparse_complex_numIfEEEvi20rocsparse_direction_NS_24const_host_device_scalarIT2_EEPKiS8_PKS5_SA_S6_PS5_21rocsparse_index_base_b.num_vgpr, 62
	.set _ZN9rocsparseL19gebsrmvn_1xn_kernelILj128ELj12ELj64E21rocsparse_complex_numIfEEEvi20rocsparse_direction_NS_24const_host_device_scalarIT2_EEPKiS8_PKS5_SA_S6_PS5_21rocsparse_index_base_b.num_agpr, 0
	.set _ZN9rocsparseL19gebsrmvn_1xn_kernelILj128ELj12ELj64E21rocsparse_complex_numIfEEEvi20rocsparse_direction_NS_24const_host_device_scalarIT2_EEPKiS8_PKS5_SA_S6_PS5_21rocsparse_index_base_b.numbered_sgpr, 13
	.set _ZN9rocsparseL19gebsrmvn_1xn_kernelILj128ELj12ELj64E21rocsparse_complex_numIfEEEvi20rocsparse_direction_NS_24const_host_device_scalarIT2_EEPKiS8_PKS5_SA_S6_PS5_21rocsparse_index_base_b.num_named_barrier, 0
	.set _ZN9rocsparseL19gebsrmvn_1xn_kernelILj128ELj12ELj64E21rocsparse_complex_numIfEEEvi20rocsparse_direction_NS_24const_host_device_scalarIT2_EEPKiS8_PKS5_SA_S6_PS5_21rocsparse_index_base_b.private_seg_size, 0
	.set _ZN9rocsparseL19gebsrmvn_1xn_kernelILj128ELj12ELj64E21rocsparse_complex_numIfEEEvi20rocsparse_direction_NS_24const_host_device_scalarIT2_EEPKiS8_PKS5_SA_S6_PS5_21rocsparse_index_base_b.uses_vcc, 1
	.set _ZN9rocsparseL19gebsrmvn_1xn_kernelILj128ELj12ELj64E21rocsparse_complex_numIfEEEvi20rocsparse_direction_NS_24const_host_device_scalarIT2_EEPKiS8_PKS5_SA_S6_PS5_21rocsparse_index_base_b.uses_flat_scratch, 0
	.set _ZN9rocsparseL19gebsrmvn_1xn_kernelILj128ELj12ELj64E21rocsparse_complex_numIfEEEvi20rocsparse_direction_NS_24const_host_device_scalarIT2_EEPKiS8_PKS5_SA_S6_PS5_21rocsparse_index_base_b.has_dyn_sized_stack, 0
	.set _ZN9rocsparseL19gebsrmvn_1xn_kernelILj128ELj12ELj64E21rocsparse_complex_numIfEEEvi20rocsparse_direction_NS_24const_host_device_scalarIT2_EEPKiS8_PKS5_SA_S6_PS5_21rocsparse_index_base_b.has_recursion, 0
	.set _ZN9rocsparseL19gebsrmvn_1xn_kernelILj128ELj12ELj64E21rocsparse_complex_numIfEEEvi20rocsparse_direction_NS_24const_host_device_scalarIT2_EEPKiS8_PKS5_SA_S6_PS5_21rocsparse_index_base_b.has_indirect_call, 0
	.section	.AMDGPU.csdata,"",@progbits
; Kernel info:
; codeLenInByte = 1652
; TotalNumSgprs: 15
; NumVgprs: 62
; ScratchSize: 0
; MemoryBound: 0
; FloatMode: 240
; IeeeMode: 1
; LDSByteSize: 0 bytes/workgroup (compile time only)
; SGPRBlocks: 0
; VGPRBlocks: 7
; NumSGPRsForWavesPerEU: 15
; NumVGPRsForWavesPerEU: 62
; Occupancy: 16
; WaveLimiterHint : 1
; COMPUTE_PGM_RSRC2:SCRATCH_EN: 0
; COMPUTE_PGM_RSRC2:USER_SGPR: 6
; COMPUTE_PGM_RSRC2:TRAP_HANDLER: 0
; COMPUTE_PGM_RSRC2:TGID_X_EN: 1
; COMPUTE_PGM_RSRC2:TGID_Y_EN: 0
; COMPUTE_PGM_RSRC2:TGID_Z_EN: 0
; COMPUTE_PGM_RSRC2:TIDIG_COMP_CNT: 0
	.section	.text._ZN9rocsparseL19gebsrmvn_1xn_kernelILj128ELj13ELj4E21rocsparse_complex_numIfEEEvi20rocsparse_direction_NS_24const_host_device_scalarIT2_EEPKiS8_PKS5_SA_S6_PS5_21rocsparse_index_base_b,"axG",@progbits,_ZN9rocsparseL19gebsrmvn_1xn_kernelILj128ELj13ELj4E21rocsparse_complex_numIfEEEvi20rocsparse_direction_NS_24const_host_device_scalarIT2_EEPKiS8_PKS5_SA_S6_PS5_21rocsparse_index_base_b,comdat
	.globl	_ZN9rocsparseL19gebsrmvn_1xn_kernelILj128ELj13ELj4E21rocsparse_complex_numIfEEEvi20rocsparse_direction_NS_24const_host_device_scalarIT2_EEPKiS8_PKS5_SA_S6_PS5_21rocsparse_index_base_b ; -- Begin function _ZN9rocsparseL19gebsrmvn_1xn_kernelILj128ELj13ELj4E21rocsparse_complex_numIfEEEvi20rocsparse_direction_NS_24const_host_device_scalarIT2_EEPKiS8_PKS5_SA_S6_PS5_21rocsparse_index_base_b
	.p2align	8
	.type	_ZN9rocsparseL19gebsrmvn_1xn_kernelILj128ELj13ELj4E21rocsparse_complex_numIfEEEvi20rocsparse_direction_NS_24const_host_device_scalarIT2_EEPKiS8_PKS5_SA_S6_PS5_21rocsparse_index_base_b,@function
_ZN9rocsparseL19gebsrmvn_1xn_kernelILj128ELj13ELj4E21rocsparse_complex_numIfEEEvi20rocsparse_direction_NS_24const_host_device_scalarIT2_EEPKiS8_PKS5_SA_S6_PS5_21rocsparse_index_base_b: ; @_ZN9rocsparseL19gebsrmvn_1xn_kernelILj128ELj13ELj4E21rocsparse_complex_numIfEEEvi20rocsparse_direction_NS_24const_host_device_scalarIT2_EEPKiS8_PKS5_SA_S6_PS5_21rocsparse_index_base_b
; %bb.0:
	s_clause 0x2
	s_load_dwordx2 s[8:9], s[4:5], 0x40
	s_load_dwordx2 s[0:1], s[4:5], 0x8
	;; [unrolled: 1-line block ×3, first 2 shown]
	s_add_u32 s7, s4, 8
	s_addc_u32 s10, s5, 0
	s_add_u32 s11, s4, 48
	s_addc_u32 s12, s5, 0
	s_waitcnt lgkmcnt(0)
	s_bitcmp1_b32 s9, 0
	s_cselect_b32 s0, s7, s0
	s_cselect_b32 s1, s10, s1
	v_mov_b32_e32 v1, s0
	v_mov_b32_e32 v2, s1
	s_cselect_b32 s0, s11, s2
	s_cselect_b32 s1, s12, s3
	flat_load_dwordx2 v[3:4], v[1:2]
	v_mov_b32_e32 v1, s0
	v_mov_b32_e32 v2, s1
	flat_load_dwordx2 v[1:2], v[1:2]
	s_waitcnt vmcnt(1) lgkmcnt(1)
	v_cmp_eq_f32_e32 vcc_lo, 0, v3
	v_cmp_eq_f32_e64 s0, 0, v4
	s_and_b32 s2, vcc_lo, s0
	s_mov_b32 s0, -1
	s_and_saveexec_b32 s1, s2
	s_cbranch_execz .LBB207_2
; %bb.1:
	s_waitcnt vmcnt(0) lgkmcnt(0)
	v_cmp_neq_f32_e32 vcc_lo, 1.0, v1
	v_cmp_neq_f32_e64 s0, 0, v2
	s_or_b32 s0, vcc_lo, s0
	s_orn2_b32 s0, s0, exec_lo
.LBB207_2:
	s_or_b32 exec_lo, exec_lo, s1
	s_and_saveexec_b32 s1, s0
	s_cbranch_execz .LBB207_13
; %bb.3:
	s_load_dword s0, s[4:5], 0x0
	v_lshrrev_b32_e32 v5, 2, v0
	v_lshl_or_b32 v5, s6, 5, v5
	s_waitcnt lgkmcnt(0)
	v_cmp_gt_i32_e32 vcc_lo, s0, v5
	s_and_b32 exec_lo, exec_lo, vcc_lo
	s_cbranch_execz .LBB207_13
; %bb.4:
	s_clause 0x1
	s_load_dwordx2 s[0:1], s[4:5], 0x10
	s_load_dwordx2 s[6:7], s[4:5], 0x38
	v_ashrrev_i32_e32 v6, 31, v5
	v_and_b32_e32 v0, 3, v0
	v_mov_b32_e32 v15, 0
	v_mov_b32_e32 v17, 0
	s_mov_b32 s9, exec_lo
	v_lshlrev_b64 v[7:8], 2, v[5:6]
	v_subrev_nc_u32_e32 v9, s8, v0
	s_waitcnt lgkmcnt(0)
	v_add_co_u32 v7, vcc_lo, s0, v7
	v_add_co_ci_u32_e64 v8, null, s1, v8, vcc_lo
	global_load_dwordx2 v[7:8], v[7:8], off
	s_waitcnt vmcnt(0)
	v_subrev_nc_u32_e32 v16, s8, v8
	v_add_nc_u32_e32 v7, v7, v9
	v_cmpx_lt_i32_e64 v7, v16
	s_cbranch_execz .LBB207_8
; %bb.5:
	s_clause 0x1
	s_load_dwordx4 s[0:3], s[4:5], 0x18
	s_load_dwordx2 s[4:5], s[4:5], 0x28
	v_mad_u64_u32 v[9:10], null, v7, 13, 12
	v_mov_b32_e32 v12, 0
	v_mov_b32_e32 v15, 0
	;; [unrolled: 1-line block ×3, first 2 shown]
	s_mov_b32 s10, 0
.LBB207_6:                              ; =>This Inner Loop Header: Depth=1
	v_ashrrev_i32_e32 v8, 31, v7
	v_add_nc_u32_e32 v11, -12, v9
	v_mov_b32_e32 v10, v12
	v_mov_b32_e32 v14, v12
	v_lshlrev_b64 v[20:21], 2, v[7:8]
	v_lshlrev_b64 v[18:19], 3, v[11:12]
	v_add_nc_u32_e32 v11, -11, v9
	v_lshlrev_b64 v[22:23], 3, v[9:10]
	v_add_nc_u32_e32 v7, 4, v7
	s_waitcnt lgkmcnt(0)
	v_add_co_u32 v20, vcc_lo, s0, v20
	v_add_co_ci_u32_e64 v21, null, s1, v21, vcc_lo
	v_lshlrev_b64 v[10:11], 3, v[11:12]
	v_add_co_u32 v18, vcc_lo, s2, v18
	global_load_dword v8, v[20:21], off
	v_add_co_ci_u32_e64 v19, null, s3, v19, vcc_lo
	v_add_co_u32 v22, vcc_lo, s2, v22
	v_add_co_ci_u32_e64 v23, null, s3, v23, vcc_lo
	v_add_co_u32 v20, vcc_lo, s2, v10
	v_add_co_ci_u32_e64 v21, null, s3, v11, vcc_lo
	s_waitcnt vmcnt(0)
	v_subrev_nc_u32_e32 v8, s8, v8
	v_mul_lo_u32 v13, v8, 13
	v_add_nc_u32_e32 v11, 1, v13
	v_lshlrev_b64 v[24:25], 3, v[13:14]
	v_lshlrev_b64 v[26:27], 3, v[11:12]
	v_add_nc_u32_e32 v11, -10, v9
	v_add_co_u32 v24, vcc_lo, s4, v24
	v_add_co_ci_u32_e64 v25, null, s5, v25, vcc_lo
	v_lshlrev_b64 v[28:29], 3, v[11:12]
	v_add_nc_u32_e32 v11, 2, v13
	v_add_co_u32 v26, vcc_lo, s4, v26
	v_add_co_ci_u32_e64 v27, null, s5, v27, vcc_lo
	v_lshlrev_b64 v[30:31], 3, v[11:12]
	v_add_nc_u32_e32 v11, -9, v9
	v_add_co_u32 v28, vcc_lo, s2, v28
	v_add_co_ci_u32_e64 v29, null, s3, v29, vcc_lo
	v_lshlrev_b64 v[32:33], 3, v[11:12]
	v_add_nc_u32_e32 v11, 3, v13
	v_add_co_u32 v30, vcc_lo, s4, v30
	v_add_co_ci_u32_e64 v31, null, s5, v31, vcc_lo
	;; [unrolled: 8-line block ×9, first 2 shown]
	v_lshlrev_b64 v[62:63], 3, v[11:12]
	v_add_co_u32 v60, vcc_lo, s2, v60
	v_add_co_ci_u32_e64 v61, null, s3, v61, vcc_lo
	v_add_nc_u32_e32 v11, -1, v9
	v_add_co_u32 v62, vcc_lo, s4, v62
	v_add_co_ci_u32_e64 v63, null, s5, v63, vcc_lo
	global_load_dwordx2 v[18:19], v[18:19], off
	global_load_dwordx2 v[24:25], v[24:25], off
	;; [unrolled: 1-line block ×22, first 2 shown]
	v_lshlrev_b64 v[64:65], 3, v[11:12]
	v_add_nc_u32_e32 v11, 11, v13
	v_add_nc_u32_e32 v9, 52, v9
	v_lshlrev_b64 v[66:67], 3, v[11:12]
	v_add_nc_u32_e32 v11, 12, v13
	v_add_co_u32 v13, vcc_lo, s2, v64
	v_add_co_ci_u32_e64 v14, null, s3, v65, vcc_lo
	v_add_co_u32 v64, vcc_lo, s4, v66
	v_add_co_ci_u32_e64 v65, null, s5, v67, vcc_lo
	v_lshlrev_b64 v[10:11], 3, v[11:12]
	v_add_co_u32 v10, vcc_lo, s4, v10
	v_add_co_ci_u32_e64 v11, null, s5, v11, vcc_lo
	v_cmp_ge_i32_e32 vcc_lo, v7, v16
	s_or_b32 s10, vcc_lo, s10
	s_waitcnt vmcnt(20)
	v_fmac_f32_e32 v17, v18, v24
	v_fmac_f32_e32 v15, v19, v24
	v_fma_f32 v8, -v19, v25, v17
	v_fmac_f32_e32 v15, v18, v25
	global_load_dwordx2 v[13:14], v[13:14], off
	global_load_dwordx2 v[17:18], v[64:65], off
	;; [unrolled: 1-line block ×4, first 2 shown]
	s_waitcnt vmcnt(22)
	v_fmac_f32_e32 v8, v20, v26
	v_fmac_f32_e32 v15, v21, v26
	v_fma_f32 v8, -v21, v27, v8
	v_fmac_f32_e32 v15, v20, v27
	s_waitcnt vmcnt(20)
	v_fmac_f32_e32 v8, v28, v30
	v_fmac_f32_e32 v15, v29, v30
	v_fma_f32 v8, -v29, v31, v8
	v_fmac_f32_e32 v15, v28, v31
	;; [unrolled: 5-line block ×12, first 2 shown]
	s_andn2_b32 exec_lo, exec_lo, s10
	s_cbranch_execnz .LBB207_6
; %bb.7:
	s_or_b32 exec_lo, exec_lo, s10
.LBB207_8:
	s_or_b32 exec_lo, exec_lo, s9
	v_mbcnt_lo_u32_b32 v7, -1, 0
	v_xor_b32_e32 v8, 2, v7
	v_xor_b32_e32 v10, 1, v7
	v_cmp_gt_i32_e32 vcc_lo, 32, v8
	v_cndmask_b32_e32 v8, v7, v8, vcc_lo
	v_cmp_gt_i32_e32 vcc_lo, 32, v10
	v_lshlrev_b32_e32 v8, 2, v8
	v_cndmask_b32_e32 v7, v7, v10, vcc_lo
	v_cmp_eq_u32_e32 vcc_lo, 3, v0
	ds_bpermute_b32 v9, v8, v17
	ds_bpermute_b32 v8, v8, v15
	v_lshlrev_b32_e32 v10, 2, v7
	s_waitcnt lgkmcnt(1)
	v_add_f32_e32 v7, v17, v9
	s_waitcnt lgkmcnt(0)
	v_add_f32_e32 v9, v15, v8
	ds_bpermute_b32 v8, v10, v7
	ds_bpermute_b32 v10, v10, v9
	s_and_b32 exec_lo, exec_lo, vcc_lo
	s_cbranch_execz .LBB207_13
; %bb.9:
	s_waitcnt lgkmcnt(0)
	v_add_f32_e32 v0, v9, v10
	v_add_f32_e32 v9, v7, v8
	v_cmp_eq_f32_e32 vcc_lo, 0, v1
	v_cmp_eq_f32_e64 s0, 0, v2
	v_lshlrev_b64 v[5:6], 3, v[5:6]
	v_mul_f32_e64 v7, v0, -v4
	v_mul_f32_e32 v8, v3, v0
	s_and_b32 s0, vcc_lo, s0
	v_fmac_f32_e32 v7, v3, v9
	v_fmac_f32_e32 v8, v4, v9
	s_and_saveexec_b32 s1, s0
	s_xor_b32 s0, exec_lo, s1
	s_cbranch_execz .LBB207_11
; %bb.10:
	v_add_co_u32 v0, vcc_lo, s6, v5
	v_add_co_ci_u32_e64 v1, null, s7, v6, vcc_lo
                                        ; implicit-def: $vgpr5_vgpr6
	global_store_dwordx2 v[0:1], v[7:8], off
                                        ; implicit-def: $vgpr1_vgpr2
                                        ; implicit-def: $vgpr7
.LBB207_11:
	s_andn2_saveexec_b32 s0, s0
	s_cbranch_execz .LBB207_13
; %bb.12:
	v_add_co_u32 v3, vcc_lo, s6, v5
	v_add_co_ci_u32_e64 v4, null, s7, v6, vcc_lo
	global_load_dwordx2 v[5:6], v[3:4], off
	s_waitcnt vmcnt(0)
	v_fmac_f32_e32 v7, v1, v5
	v_fmac_f32_e32 v8, v2, v5
	v_fma_f32 v7, -v2, v6, v7
	v_fmac_f32_e32 v8, v1, v6
	global_store_dwordx2 v[3:4], v[7:8], off
.LBB207_13:
	s_endpgm
	.section	.rodata,"a",@progbits
	.p2align	6, 0x0
	.amdhsa_kernel _ZN9rocsparseL19gebsrmvn_1xn_kernelILj128ELj13ELj4E21rocsparse_complex_numIfEEEvi20rocsparse_direction_NS_24const_host_device_scalarIT2_EEPKiS8_PKS5_SA_S6_PS5_21rocsparse_index_base_b
		.amdhsa_group_segment_fixed_size 0
		.amdhsa_private_segment_fixed_size 0
		.amdhsa_kernarg_size 72
		.amdhsa_user_sgpr_count 6
		.amdhsa_user_sgpr_private_segment_buffer 1
		.amdhsa_user_sgpr_dispatch_ptr 0
		.amdhsa_user_sgpr_queue_ptr 0
		.amdhsa_user_sgpr_kernarg_segment_ptr 1
		.amdhsa_user_sgpr_dispatch_id 0
		.amdhsa_user_sgpr_flat_scratch_init 0
		.amdhsa_user_sgpr_private_segment_size 0
		.amdhsa_wavefront_size32 1
		.amdhsa_uses_dynamic_stack 0
		.amdhsa_system_sgpr_private_segment_wavefront_offset 0
		.amdhsa_system_sgpr_workgroup_id_x 1
		.amdhsa_system_sgpr_workgroup_id_y 0
		.amdhsa_system_sgpr_workgroup_id_z 0
		.amdhsa_system_sgpr_workgroup_info 0
		.amdhsa_system_vgpr_workitem_id 0
		.amdhsa_next_free_vgpr 68
		.amdhsa_next_free_sgpr 13
		.amdhsa_reserve_vcc 1
		.amdhsa_reserve_flat_scratch 0
		.amdhsa_float_round_mode_32 0
		.amdhsa_float_round_mode_16_64 0
		.amdhsa_float_denorm_mode_32 3
		.amdhsa_float_denorm_mode_16_64 3
		.amdhsa_dx10_clamp 1
		.amdhsa_ieee_mode 1
		.amdhsa_fp16_overflow 0
		.amdhsa_workgroup_processor_mode 1
		.amdhsa_memory_ordered 1
		.amdhsa_forward_progress 1
		.amdhsa_shared_vgpr_count 0
		.amdhsa_exception_fp_ieee_invalid_op 0
		.amdhsa_exception_fp_denorm_src 0
		.amdhsa_exception_fp_ieee_div_zero 0
		.amdhsa_exception_fp_ieee_overflow 0
		.amdhsa_exception_fp_ieee_underflow 0
		.amdhsa_exception_fp_ieee_inexact 0
		.amdhsa_exception_int_div_zero 0
	.end_amdhsa_kernel
	.section	.text._ZN9rocsparseL19gebsrmvn_1xn_kernelILj128ELj13ELj4E21rocsparse_complex_numIfEEEvi20rocsparse_direction_NS_24const_host_device_scalarIT2_EEPKiS8_PKS5_SA_S6_PS5_21rocsparse_index_base_b,"axG",@progbits,_ZN9rocsparseL19gebsrmvn_1xn_kernelILj128ELj13ELj4E21rocsparse_complex_numIfEEEvi20rocsparse_direction_NS_24const_host_device_scalarIT2_EEPKiS8_PKS5_SA_S6_PS5_21rocsparse_index_base_b,comdat
.Lfunc_end207:
	.size	_ZN9rocsparseL19gebsrmvn_1xn_kernelILj128ELj13ELj4E21rocsparse_complex_numIfEEEvi20rocsparse_direction_NS_24const_host_device_scalarIT2_EEPKiS8_PKS5_SA_S6_PS5_21rocsparse_index_base_b, .Lfunc_end207-_ZN9rocsparseL19gebsrmvn_1xn_kernelILj128ELj13ELj4E21rocsparse_complex_numIfEEEvi20rocsparse_direction_NS_24const_host_device_scalarIT2_EEPKiS8_PKS5_SA_S6_PS5_21rocsparse_index_base_b
                                        ; -- End function
	.set _ZN9rocsparseL19gebsrmvn_1xn_kernelILj128ELj13ELj4E21rocsparse_complex_numIfEEEvi20rocsparse_direction_NS_24const_host_device_scalarIT2_EEPKiS8_PKS5_SA_S6_PS5_21rocsparse_index_base_b.num_vgpr, 68
	.set _ZN9rocsparseL19gebsrmvn_1xn_kernelILj128ELj13ELj4E21rocsparse_complex_numIfEEEvi20rocsparse_direction_NS_24const_host_device_scalarIT2_EEPKiS8_PKS5_SA_S6_PS5_21rocsparse_index_base_b.num_agpr, 0
	.set _ZN9rocsparseL19gebsrmvn_1xn_kernelILj128ELj13ELj4E21rocsparse_complex_numIfEEEvi20rocsparse_direction_NS_24const_host_device_scalarIT2_EEPKiS8_PKS5_SA_S6_PS5_21rocsparse_index_base_b.numbered_sgpr, 13
	.set _ZN9rocsparseL19gebsrmvn_1xn_kernelILj128ELj13ELj4E21rocsparse_complex_numIfEEEvi20rocsparse_direction_NS_24const_host_device_scalarIT2_EEPKiS8_PKS5_SA_S6_PS5_21rocsparse_index_base_b.num_named_barrier, 0
	.set _ZN9rocsparseL19gebsrmvn_1xn_kernelILj128ELj13ELj4E21rocsparse_complex_numIfEEEvi20rocsparse_direction_NS_24const_host_device_scalarIT2_EEPKiS8_PKS5_SA_S6_PS5_21rocsparse_index_base_b.private_seg_size, 0
	.set _ZN9rocsparseL19gebsrmvn_1xn_kernelILj128ELj13ELj4E21rocsparse_complex_numIfEEEvi20rocsparse_direction_NS_24const_host_device_scalarIT2_EEPKiS8_PKS5_SA_S6_PS5_21rocsparse_index_base_b.uses_vcc, 1
	.set _ZN9rocsparseL19gebsrmvn_1xn_kernelILj128ELj13ELj4E21rocsparse_complex_numIfEEEvi20rocsparse_direction_NS_24const_host_device_scalarIT2_EEPKiS8_PKS5_SA_S6_PS5_21rocsparse_index_base_b.uses_flat_scratch, 0
	.set _ZN9rocsparseL19gebsrmvn_1xn_kernelILj128ELj13ELj4E21rocsparse_complex_numIfEEEvi20rocsparse_direction_NS_24const_host_device_scalarIT2_EEPKiS8_PKS5_SA_S6_PS5_21rocsparse_index_base_b.has_dyn_sized_stack, 0
	.set _ZN9rocsparseL19gebsrmvn_1xn_kernelILj128ELj13ELj4E21rocsparse_complex_numIfEEEvi20rocsparse_direction_NS_24const_host_device_scalarIT2_EEPKiS8_PKS5_SA_S6_PS5_21rocsparse_index_base_b.has_recursion, 0
	.set _ZN9rocsparseL19gebsrmvn_1xn_kernelILj128ELj13ELj4E21rocsparse_complex_numIfEEEvi20rocsparse_direction_NS_24const_host_device_scalarIT2_EEPKiS8_PKS5_SA_S6_PS5_21rocsparse_index_base_b.has_indirect_call, 0
	.section	.AMDGPU.csdata,"",@progbits
; Kernel info:
; codeLenInByte = 1948
; TotalNumSgprs: 15
; NumVgprs: 68
; ScratchSize: 0
; MemoryBound: 0
; FloatMode: 240
; IeeeMode: 1
; LDSByteSize: 0 bytes/workgroup (compile time only)
; SGPRBlocks: 0
; VGPRBlocks: 8
; NumSGPRsForWavesPerEU: 15
; NumVGPRsForWavesPerEU: 68
; Occupancy: 12
; WaveLimiterHint : 1
; COMPUTE_PGM_RSRC2:SCRATCH_EN: 0
; COMPUTE_PGM_RSRC2:USER_SGPR: 6
; COMPUTE_PGM_RSRC2:TRAP_HANDLER: 0
; COMPUTE_PGM_RSRC2:TGID_X_EN: 1
; COMPUTE_PGM_RSRC2:TGID_Y_EN: 0
; COMPUTE_PGM_RSRC2:TGID_Z_EN: 0
; COMPUTE_PGM_RSRC2:TIDIG_COMP_CNT: 0
	.section	.text._ZN9rocsparseL19gebsrmvn_1xn_kernelILj128ELj13ELj8E21rocsparse_complex_numIfEEEvi20rocsparse_direction_NS_24const_host_device_scalarIT2_EEPKiS8_PKS5_SA_S6_PS5_21rocsparse_index_base_b,"axG",@progbits,_ZN9rocsparseL19gebsrmvn_1xn_kernelILj128ELj13ELj8E21rocsparse_complex_numIfEEEvi20rocsparse_direction_NS_24const_host_device_scalarIT2_EEPKiS8_PKS5_SA_S6_PS5_21rocsparse_index_base_b,comdat
	.globl	_ZN9rocsparseL19gebsrmvn_1xn_kernelILj128ELj13ELj8E21rocsparse_complex_numIfEEEvi20rocsparse_direction_NS_24const_host_device_scalarIT2_EEPKiS8_PKS5_SA_S6_PS5_21rocsparse_index_base_b ; -- Begin function _ZN9rocsparseL19gebsrmvn_1xn_kernelILj128ELj13ELj8E21rocsparse_complex_numIfEEEvi20rocsparse_direction_NS_24const_host_device_scalarIT2_EEPKiS8_PKS5_SA_S6_PS5_21rocsparse_index_base_b
	.p2align	8
	.type	_ZN9rocsparseL19gebsrmvn_1xn_kernelILj128ELj13ELj8E21rocsparse_complex_numIfEEEvi20rocsparse_direction_NS_24const_host_device_scalarIT2_EEPKiS8_PKS5_SA_S6_PS5_21rocsparse_index_base_b,@function
_ZN9rocsparseL19gebsrmvn_1xn_kernelILj128ELj13ELj8E21rocsparse_complex_numIfEEEvi20rocsparse_direction_NS_24const_host_device_scalarIT2_EEPKiS8_PKS5_SA_S6_PS5_21rocsparse_index_base_b: ; @_ZN9rocsparseL19gebsrmvn_1xn_kernelILj128ELj13ELj8E21rocsparse_complex_numIfEEEvi20rocsparse_direction_NS_24const_host_device_scalarIT2_EEPKiS8_PKS5_SA_S6_PS5_21rocsparse_index_base_b
; %bb.0:
	s_clause 0x2
	s_load_dwordx2 s[8:9], s[4:5], 0x40
	s_load_dwordx2 s[0:1], s[4:5], 0x8
	;; [unrolled: 1-line block ×3, first 2 shown]
	s_add_u32 s7, s4, 8
	s_addc_u32 s10, s5, 0
	s_add_u32 s11, s4, 48
	s_addc_u32 s12, s5, 0
	s_waitcnt lgkmcnt(0)
	s_bitcmp1_b32 s9, 0
	s_cselect_b32 s0, s7, s0
	s_cselect_b32 s1, s10, s1
	v_mov_b32_e32 v1, s0
	v_mov_b32_e32 v2, s1
	s_cselect_b32 s0, s11, s2
	s_cselect_b32 s1, s12, s3
	flat_load_dwordx2 v[3:4], v[1:2]
	v_mov_b32_e32 v1, s0
	v_mov_b32_e32 v2, s1
	flat_load_dwordx2 v[1:2], v[1:2]
	s_waitcnt vmcnt(1) lgkmcnt(1)
	v_cmp_eq_f32_e32 vcc_lo, 0, v3
	v_cmp_eq_f32_e64 s0, 0, v4
	s_and_b32 s2, vcc_lo, s0
	s_mov_b32 s0, -1
	s_and_saveexec_b32 s1, s2
	s_cbranch_execz .LBB208_2
; %bb.1:
	s_waitcnt vmcnt(0) lgkmcnt(0)
	v_cmp_neq_f32_e32 vcc_lo, 1.0, v1
	v_cmp_neq_f32_e64 s0, 0, v2
	s_or_b32 s0, vcc_lo, s0
	s_orn2_b32 s0, s0, exec_lo
.LBB208_2:
	s_or_b32 exec_lo, exec_lo, s1
	s_and_saveexec_b32 s1, s0
	s_cbranch_execz .LBB208_13
; %bb.3:
	s_load_dword s0, s[4:5], 0x0
	v_lshrrev_b32_e32 v5, 3, v0
	v_lshl_or_b32 v5, s6, 4, v5
	s_waitcnt lgkmcnt(0)
	v_cmp_gt_i32_e32 vcc_lo, s0, v5
	s_and_b32 exec_lo, exec_lo, vcc_lo
	s_cbranch_execz .LBB208_13
; %bb.4:
	s_clause 0x1
	s_load_dwordx2 s[0:1], s[4:5], 0x10
	s_load_dwordx2 s[6:7], s[4:5], 0x38
	v_ashrrev_i32_e32 v6, 31, v5
	v_and_b32_e32 v0, 7, v0
	v_mov_b32_e32 v15, 0
	v_mov_b32_e32 v17, 0
	s_mov_b32 s9, exec_lo
	v_lshlrev_b64 v[7:8], 2, v[5:6]
	v_subrev_nc_u32_e32 v9, s8, v0
	s_waitcnt lgkmcnt(0)
	v_add_co_u32 v7, vcc_lo, s0, v7
	v_add_co_ci_u32_e64 v8, null, s1, v8, vcc_lo
	global_load_dwordx2 v[7:8], v[7:8], off
	s_waitcnt vmcnt(0)
	v_subrev_nc_u32_e32 v16, s8, v8
	v_add_nc_u32_e32 v7, v7, v9
	v_cmpx_lt_i32_e64 v7, v16
	s_cbranch_execz .LBB208_8
; %bb.5:
	s_clause 0x1
	s_load_dwordx4 s[0:3], s[4:5], 0x18
	s_load_dwordx2 s[4:5], s[4:5], 0x28
	v_mad_u64_u32 v[9:10], null, v7, 13, 12
	v_mov_b32_e32 v12, 0
	v_mov_b32_e32 v15, 0
	;; [unrolled: 1-line block ×3, first 2 shown]
	s_mov_b32 s10, 0
.LBB208_6:                              ; =>This Inner Loop Header: Depth=1
	v_ashrrev_i32_e32 v8, 31, v7
	v_add_nc_u32_e32 v11, -12, v9
	v_mov_b32_e32 v10, v12
	v_mov_b32_e32 v14, v12
	v_lshlrev_b64 v[20:21], 2, v[7:8]
	v_lshlrev_b64 v[18:19], 3, v[11:12]
	v_add_nc_u32_e32 v11, -11, v9
	v_lshlrev_b64 v[22:23], 3, v[9:10]
	v_add_nc_u32_e32 v7, 8, v7
	s_waitcnt lgkmcnt(0)
	v_add_co_u32 v20, vcc_lo, s0, v20
	v_add_co_ci_u32_e64 v21, null, s1, v21, vcc_lo
	v_lshlrev_b64 v[10:11], 3, v[11:12]
	v_add_co_u32 v18, vcc_lo, s2, v18
	global_load_dword v8, v[20:21], off
	v_add_co_ci_u32_e64 v19, null, s3, v19, vcc_lo
	v_add_co_u32 v22, vcc_lo, s2, v22
	v_add_co_ci_u32_e64 v23, null, s3, v23, vcc_lo
	v_add_co_u32 v20, vcc_lo, s2, v10
	v_add_co_ci_u32_e64 v21, null, s3, v11, vcc_lo
	s_waitcnt vmcnt(0)
	v_subrev_nc_u32_e32 v8, s8, v8
	v_mul_lo_u32 v13, v8, 13
	v_add_nc_u32_e32 v11, 1, v13
	v_lshlrev_b64 v[24:25], 3, v[13:14]
	v_lshlrev_b64 v[26:27], 3, v[11:12]
	v_add_nc_u32_e32 v11, -10, v9
	v_add_co_u32 v24, vcc_lo, s4, v24
	v_add_co_ci_u32_e64 v25, null, s5, v25, vcc_lo
	v_lshlrev_b64 v[28:29], 3, v[11:12]
	v_add_nc_u32_e32 v11, 2, v13
	v_add_co_u32 v26, vcc_lo, s4, v26
	v_add_co_ci_u32_e64 v27, null, s5, v27, vcc_lo
	v_lshlrev_b64 v[30:31], 3, v[11:12]
	v_add_nc_u32_e32 v11, -9, v9
	v_add_co_u32 v28, vcc_lo, s2, v28
	v_add_co_ci_u32_e64 v29, null, s3, v29, vcc_lo
	v_lshlrev_b64 v[32:33], 3, v[11:12]
	v_add_nc_u32_e32 v11, 3, v13
	v_add_co_u32 v30, vcc_lo, s4, v30
	v_add_co_ci_u32_e64 v31, null, s5, v31, vcc_lo
	;; [unrolled: 8-line block ×9, first 2 shown]
	v_lshlrev_b64 v[62:63], 3, v[11:12]
	v_add_co_u32 v60, vcc_lo, s2, v60
	v_add_co_ci_u32_e64 v61, null, s3, v61, vcc_lo
	v_add_nc_u32_e32 v11, -1, v9
	v_add_co_u32 v62, vcc_lo, s4, v62
	v_add_co_ci_u32_e64 v63, null, s5, v63, vcc_lo
	global_load_dwordx2 v[18:19], v[18:19], off
	global_load_dwordx2 v[24:25], v[24:25], off
	;; [unrolled: 1-line block ×22, first 2 shown]
	v_lshlrev_b64 v[64:65], 3, v[11:12]
	v_add_nc_u32_e32 v11, 11, v13
	v_add_nc_u32_e32 v9, 0x68, v9
	v_lshlrev_b64 v[66:67], 3, v[11:12]
	v_add_nc_u32_e32 v11, 12, v13
	v_add_co_u32 v13, vcc_lo, s2, v64
	v_add_co_ci_u32_e64 v14, null, s3, v65, vcc_lo
	v_add_co_u32 v64, vcc_lo, s4, v66
	v_add_co_ci_u32_e64 v65, null, s5, v67, vcc_lo
	v_lshlrev_b64 v[10:11], 3, v[11:12]
	v_add_co_u32 v10, vcc_lo, s4, v10
	v_add_co_ci_u32_e64 v11, null, s5, v11, vcc_lo
	v_cmp_ge_i32_e32 vcc_lo, v7, v16
	s_or_b32 s10, vcc_lo, s10
	s_waitcnt vmcnt(20)
	v_fmac_f32_e32 v17, v18, v24
	v_fmac_f32_e32 v15, v19, v24
	v_fma_f32 v8, -v19, v25, v17
	v_fmac_f32_e32 v15, v18, v25
	global_load_dwordx2 v[13:14], v[13:14], off
	global_load_dwordx2 v[17:18], v[64:65], off
	;; [unrolled: 1-line block ×4, first 2 shown]
	s_waitcnt vmcnt(22)
	v_fmac_f32_e32 v8, v20, v26
	v_fmac_f32_e32 v15, v21, v26
	v_fma_f32 v8, -v21, v27, v8
	v_fmac_f32_e32 v15, v20, v27
	s_waitcnt vmcnt(20)
	v_fmac_f32_e32 v8, v28, v30
	v_fmac_f32_e32 v15, v29, v30
	v_fma_f32 v8, -v29, v31, v8
	v_fmac_f32_e32 v15, v28, v31
	;; [unrolled: 5-line block ×12, first 2 shown]
	s_andn2_b32 exec_lo, exec_lo, s10
	s_cbranch_execnz .LBB208_6
; %bb.7:
	s_or_b32 exec_lo, exec_lo, s10
.LBB208_8:
	s_or_b32 exec_lo, exec_lo, s9
	v_mbcnt_lo_u32_b32 v7, -1, 0
	v_xor_b32_e32 v8, 4, v7
	v_xor_b32_e32 v10, 2, v7
	;; [unrolled: 1-line block ×3, first 2 shown]
	v_cmp_gt_i32_e32 vcc_lo, 32, v8
	v_cndmask_b32_e32 v8, v7, v8, vcc_lo
	v_cmp_gt_i32_e32 vcc_lo, 32, v10
	v_lshlrev_b32_e32 v8, 2, v8
	v_cndmask_b32_e32 v10, v7, v10, vcc_lo
	v_cmp_gt_i32_e32 vcc_lo, 32, v12
	ds_bpermute_b32 v9, v8, v17
	ds_bpermute_b32 v8, v8, v15
	v_lshlrev_b32_e32 v10, 2, v10
	v_cndmask_b32_e32 v7, v7, v12, vcc_lo
	v_cmp_eq_u32_e32 vcc_lo, 7, v0
	v_lshlrev_b32_e32 v12, 2, v7
	s_waitcnt lgkmcnt(1)
	v_add_f32_e32 v9, v17, v9
	s_waitcnt lgkmcnt(0)
	v_add_f32_e32 v8, v15, v8
	ds_bpermute_b32 v11, v10, v9
	ds_bpermute_b32 v10, v10, v8
	s_waitcnt lgkmcnt(1)
	v_add_f32_e32 v7, v9, v11
	s_waitcnt lgkmcnt(0)
	v_add_f32_e32 v9, v8, v10
	ds_bpermute_b32 v8, v12, v7
	ds_bpermute_b32 v10, v12, v9
	s_and_b32 exec_lo, exec_lo, vcc_lo
	s_cbranch_execz .LBB208_13
; %bb.9:
	s_waitcnt lgkmcnt(0)
	v_add_f32_e32 v0, v9, v10
	v_add_f32_e32 v9, v7, v8
	v_cmp_eq_f32_e32 vcc_lo, 0, v1
	v_cmp_eq_f32_e64 s0, 0, v2
	v_lshlrev_b64 v[5:6], 3, v[5:6]
	v_mul_f32_e64 v7, v0, -v4
	v_mul_f32_e32 v8, v3, v0
	s_and_b32 s0, vcc_lo, s0
	v_fmac_f32_e32 v7, v3, v9
	v_fmac_f32_e32 v8, v4, v9
	s_and_saveexec_b32 s1, s0
	s_xor_b32 s0, exec_lo, s1
	s_cbranch_execz .LBB208_11
; %bb.10:
	v_add_co_u32 v0, vcc_lo, s6, v5
	v_add_co_ci_u32_e64 v1, null, s7, v6, vcc_lo
                                        ; implicit-def: $vgpr5_vgpr6
	global_store_dwordx2 v[0:1], v[7:8], off
                                        ; implicit-def: $vgpr1_vgpr2
                                        ; implicit-def: $vgpr7
.LBB208_11:
	s_andn2_saveexec_b32 s0, s0
	s_cbranch_execz .LBB208_13
; %bb.12:
	v_add_co_u32 v3, vcc_lo, s6, v5
	v_add_co_ci_u32_e64 v4, null, s7, v6, vcc_lo
	global_load_dwordx2 v[5:6], v[3:4], off
	s_waitcnt vmcnt(0)
	v_fmac_f32_e32 v7, v1, v5
	v_fmac_f32_e32 v8, v2, v5
	v_fma_f32 v7, -v2, v6, v7
	v_fmac_f32_e32 v8, v1, v6
	global_store_dwordx2 v[3:4], v[7:8], off
.LBB208_13:
	s_endpgm
	.section	.rodata,"a",@progbits
	.p2align	6, 0x0
	.amdhsa_kernel _ZN9rocsparseL19gebsrmvn_1xn_kernelILj128ELj13ELj8E21rocsparse_complex_numIfEEEvi20rocsparse_direction_NS_24const_host_device_scalarIT2_EEPKiS8_PKS5_SA_S6_PS5_21rocsparse_index_base_b
		.amdhsa_group_segment_fixed_size 0
		.amdhsa_private_segment_fixed_size 0
		.amdhsa_kernarg_size 72
		.amdhsa_user_sgpr_count 6
		.amdhsa_user_sgpr_private_segment_buffer 1
		.amdhsa_user_sgpr_dispatch_ptr 0
		.amdhsa_user_sgpr_queue_ptr 0
		.amdhsa_user_sgpr_kernarg_segment_ptr 1
		.amdhsa_user_sgpr_dispatch_id 0
		.amdhsa_user_sgpr_flat_scratch_init 0
		.amdhsa_user_sgpr_private_segment_size 0
		.amdhsa_wavefront_size32 1
		.amdhsa_uses_dynamic_stack 0
		.amdhsa_system_sgpr_private_segment_wavefront_offset 0
		.amdhsa_system_sgpr_workgroup_id_x 1
		.amdhsa_system_sgpr_workgroup_id_y 0
		.amdhsa_system_sgpr_workgroup_id_z 0
		.amdhsa_system_sgpr_workgroup_info 0
		.amdhsa_system_vgpr_workitem_id 0
		.amdhsa_next_free_vgpr 68
		.amdhsa_next_free_sgpr 13
		.amdhsa_reserve_vcc 1
		.amdhsa_reserve_flat_scratch 0
		.amdhsa_float_round_mode_32 0
		.amdhsa_float_round_mode_16_64 0
		.amdhsa_float_denorm_mode_32 3
		.amdhsa_float_denorm_mode_16_64 3
		.amdhsa_dx10_clamp 1
		.amdhsa_ieee_mode 1
		.amdhsa_fp16_overflow 0
		.amdhsa_workgroup_processor_mode 1
		.amdhsa_memory_ordered 1
		.amdhsa_forward_progress 1
		.amdhsa_shared_vgpr_count 0
		.amdhsa_exception_fp_ieee_invalid_op 0
		.amdhsa_exception_fp_denorm_src 0
		.amdhsa_exception_fp_ieee_div_zero 0
		.amdhsa_exception_fp_ieee_overflow 0
		.amdhsa_exception_fp_ieee_underflow 0
		.amdhsa_exception_fp_ieee_inexact 0
		.amdhsa_exception_int_div_zero 0
	.end_amdhsa_kernel
	.section	.text._ZN9rocsparseL19gebsrmvn_1xn_kernelILj128ELj13ELj8E21rocsparse_complex_numIfEEEvi20rocsparse_direction_NS_24const_host_device_scalarIT2_EEPKiS8_PKS5_SA_S6_PS5_21rocsparse_index_base_b,"axG",@progbits,_ZN9rocsparseL19gebsrmvn_1xn_kernelILj128ELj13ELj8E21rocsparse_complex_numIfEEEvi20rocsparse_direction_NS_24const_host_device_scalarIT2_EEPKiS8_PKS5_SA_S6_PS5_21rocsparse_index_base_b,comdat
.Lfunc_end208:
	.size	_ZN9rocsparseL19gebsrmvn_1xn_kernelILj128ELj13ELj8E21rocsparse_complex_numIfEEEvi20rocsparse_direction_NS_24const_host_device_scalarIT2_EEPKiS8_PKS5_SA_S6_PS5_21rocsparse_index_base_b, .Lfunc_end208-_ZN9rocsparseL19gebsrmvn_1xn_kernelILj128ELj13ELj8E21rocsparse_complex_numIfEEEvi20rocsparse_direction_NS_24const_host_device_scalarIT2_EEPKiS8_PKS5_SA_S6_PS5_21rocsparse_index_base_b
                                        ; -- End function
	.set _ZN9rocsparseL19gebsrmvn_1xn_kernelILj128ELj13ELj8E21rocsparse_complex_numIfEEEvi20rocsparse_direction_NS_24const_host_device_scalarIT2_EEPKiS8_PKS5_SA_S6_PS5_21rocsparse_index_base_b.num_vgpr, 68
	.set _ZN9rocsparseL19gebsrmvn_1xn_kernelILj128ELj13ELj8E21rocsparse_complex_numIfEEEvi20rocsparse_direction_NS_24const_host_device_scalarIT2_EEPKiS8_PKS5_SA_S6_PS5_21rocsparse_index_base_b.num_agpr, 0
	.set _ZN9rocsparseL19gebsrmvn_1xn_kernelILj128ELj13ELj8E21rocsparse_complex_numIfEEEvi20rocsparse_direction_NS_24const_host_device_scalarIT2_EEPKiS8_PKS5_SA_S6_PS5_21rocsparse_index_base_b.numbered_sgpr, 13
	.set _ZN9rocsparseL19gebsrmvn_1xn_kernelILj128ELj13ELj8E21rocsparse_complex_numIfEEEvi20rocsparse_direction_NS_24const_host_device_scalarIT2_EEPKiS8_PKS5_SA_S6_PS5_21rocsparse_index_base_b.num_named_barrier, 0
	.set _ZN9rocsparseL19gebsrmvn_1xn_kernelILj128ELj13ELj8E21rocsparse_complex_numIfEEEvi20rocsparse_direction_NS_24const_host_device_scalarIT2_EEPKiS8_PKS5_SA_S6_PS5_21rocsparse_index_base_b.private_seg_size, 0
	.set _ZN9rocsparseL19gebsrmvn_1xn_kernelILj128ELj13ELj8E21rocsparse_complex_numIfEEEvi20rocsparse_direction_NS_24const_host_device_scalarIT2_EEPKiS8_PKS5_SA_S6_PS5_21rocsparse_index_base_b.uses_vcc, 1
	.set _ZN9rocsparseL19gebsrmvn_1xn_kernelILj128ELj13ELj8E21rocsparse_complex_numIfEEEvi20rocsparse_direction_NS_24const_host_device_scalarIT2_EEPKiS8_PKS5_SA_S6_PS5_21rocsparse_index_base_b.uses_flat_scratch, 0
	.set _ZN9rocsparseL19gebsrmvn_1xn_kernelILj128ELj13ELj8E21rocsparse_complex_numIfEEEvi20rocsparse_direction_NS_24const_host_device_scalarIT2_EEPKiS8_PKS5_SA_S6_PS5_21rocsparse_index_base_b.has_dyn_sized_stack, 0
	.set _ZN9rocsparseL19gebsrmvn_1xn_kernelILj128ELj13ELj8E21rocsparse_complex_numIfEEEvi20rocsparse_direction_NS_24const_host_device_scalarIT2_EEPKiS8_PKS5_SA_S6_PS5_21rocsparse_index_base_b.has_recursion, 0
	.set _ZN9rocsparseL19gebsrmvn_1xn_kernelILj128ELj13ELj8E21rocsparse_complex_numIfEEEvi20rocsparse_direction_NS_24const_host_device_scalarIT2_EEPKiS8_PKS5_SA_S6_PS5_21rocsparse_index_base_b.has_indirect_call, 0
	.section	.AMDGPU.csdata,"",@progbits
; Kernel info:
; codeLenInByte = 2000
; TotalNumSgprs: 15
; NumVgprs: 68
; ScratchSize: 0
; MemoryBound: 0
; FloatMode: 240
; IeeeMode: 1
; LDSByteSize: 0 bytes/workgroup (compile time only)
; SGPRBlocks: 0
; VGPRBlocks: 8
; NumSGPRsForWavesPerEU: 15
; NumVGPRsForWavesPerEU: 68
; Occupancy: 12
; WaveLimiterHint : 1
; COMPUTE_PGM_RSRC2:SCRATCH_EN: 0
; COMPUTE_PGM_RSRC2:USER_SGPR: 6
; COMPUTE_PGM_RSRC2:TRAP_HANDLER: 0
; COMPUTE_PGM_RSRC2:TGID_X_EN: 1
; COMPUTE_PGM_RSRC2:TGID_Y_EN: 0
; COMPUTE_PGM_RSRC2:TGID_Z_EN: 0
; COMPUTE_PGM_RSRC2:TIDIG_COMP_CNT: 0
	.section	.text._ZN9rocsparseL19gebsrmvn_1xn_kernelILj128ELj13ELj16E21rocsparse_complex_numIfEEEvi20rocsparse_direction_NS_24const_host_device_scalarIT2_EEPKiS8_PKS5_SA_S6_PS5_21rocsparse_index_base_b,"axG",@progbits,_ZN9rocsparseL19gebsrmvn_1xn_kernelILj128ELj13ELj16E21rocsparse_complex_numIfEEEvi20rocsparse_direction_NS_24const_host_device_scalarIT2_EEPKiS8_PKS5_SA_S6_PS5_21rocsparse_index_base_b,comdat
	.globl	_ZN9rocsparseL19gebsrmvn_1xn_kernelILj128ELj13ELj16E21rocsparse_complex_numIfEEEvi20rocsparse_direction_NS_24const_host_device_scalarIT2_EEPKiS8_PKS5_SA_S6_PS5_21rocsparse_index_base_b ; -- Begin function _ZN9rocsparseL19gebsrmvn_1xn_kernelILj128ELj13ELj16E21rocsparse_complex_numIfEEEvi20rocsparse_direction_NS_24const_host_device_scalarIT2_EEPKiS8_PKS5_SA_S6_PS5_21rocsparse_index_base_b
	.p2align	8
	.type	_ZN9rocsparseL19gebsrmvn_1xn_kernelILj128ELj13ELj16E21rocsparse_complex_numIfEEEvi20rocsparse_direction_NS_24const_host_device_scalarIT2_EEPKiS8_PKS5_SA_S6_PS5_21rocsparse_index_base_b,@function
_ZN9rocsparseL19gebsrmvn_1xn_kernelILj128ELj13ELj16E21rocsparse_complex_numIfEEEvi20rocsparse_direction_NS_24const_host_device_scalarIT2_EEPKiS8_PKS5_SA_S6_PS5_21rocsparse_index_base_b: ; @_ZN9rocsparseL19gebsrmvn_1xn_kernelILj128ELj13ELj16E21rocsparse_complex_numIfEEEvi20rocsparse_direction_NS_24const_host_device_scalarIT2_EEPKiS8_PKS5_SA_S6_PS5_21rocsparse_index_base_b
; %bb.0:
	s_clause 0x2
	s_load_dwordx2 s[8:9], s[4:5], 0x40
	s_load_dwordx2 s[0:1], s[4:5], 0x8
	;; [unrolled: 1-line block ×3, first 2 shown]
	s_add_u32 s7, s4, 8
	s_addc_u32 s10, s5, 0
	s_add_u32 s11, s4, 48
	s_addc_u32 s12, s5, 0
	s_waitcnt lgkmcnt(0)
	s_bitcmp1_b32 s9, 0
	s_cselect_b32 s0, s7, s0
	s_cselect_b32 s1, s10, s1
	v_mov_b32_e32 v1, s0
	v_mov_b32_e32 v2, s1
	s_cselect_b32 s0, s11, s2
	s_cselect_b32 s1, s12, s3
	flat_load_dwordx2 v[3:4], v[1:2]
	v_mov_b32_e32 v1, s0
	v_mov_b32_e32 v2, s1
	flat_load_dwordx2 v[1:2], v[1:2]
	s_waitcnt vmcnt(1) lgkmcnt(1)
	v_cmp_eq_f32_e32 vcc_lo, 0, v3
	v_cmp_eq_f32_e64 s0, 0, v4
	s_and_b32 s2, vcc_lo, s0
	s_mov_b32 s0, -1
	s_and_saveexec_b32 s1, s2
	s_cbranch_execz .LBB209_2
; %bb.1:
	s_waitcnt vmcnt(0) lgkmcnt(0)
	v_cmp_neq_f32_e32 vcc_lo, 1.0, v1
	v_cmp_neq_f32_e64 s0, 0, v2
	s_or_b32 s0, vcc_lo, s0
	s_orn2_b32 s0, s0, exec_lo
.LBB209_2:
	s_or_b32 exec_lo, exec_lo, s1
	s_and_saveexec_b32 s1, s0
	s_cbranch_execz .LBB209_13
; %bb.3:
	s_load_dword s0, s[4:5], 0x0
	v_lshrrev_b32_e32 v5, 4, v0
	v_lshl_or_b32 v5, s6, 3, v5
	s_waitcnt lgkmcnt(0)
	v_cmp_gt_i32_e32 vcc_lo, s0, v5
	s_and_b32 exec_lo, exec_lo, vcc_lo
	s_cbranch_execz .LBB209_13
; %bb.4:
	s_clause 0x1
	s_load_dwordx2 s[0:1], s[4:5], 0x10
	s_load_dwordx2 s[6:7], s[4:5], 0x38
	v_ashrrev_i32_e32 v6, 31, v5
	v_and_b32_e32 v0, 15, v0
	v_mov_b32_e32 v15, 0
	v_mov_b32_e32 v17, 0
	s_mov_b32 s9, exec_lo
	v_lshlrev_b64 v[7:8], 2, v[5:6]
	v_subrev_nc_u32_e32 v9, s8, v0
	s_waitcnt lgkmcnt(0)
	v_add_co_u32 v7, vcc_lo, s0, v7
	v_add_co_ci_u32_e64 v8, null, s1, v8, vcc_lo
	global_load_dwordx2 v[7:8], v[7:8], off
	s_waitcnt vmcnt(0)
	v_subrev_nc_u32_e32 v16, s8, v8
	v_add_nc_u32_e32 v7, v7, v9
	v_cmpx_lt_i32_e64 v7, v16
	s_cbranch_execz .LBB209_8
; %bb.5:
	s_clause 0x1
	s_load_dwordx4 s[0:3], s[4:5], 0x18
	s_load_dwordx2 s[4:5], s[4:5], 0x28
	v_mad_u64_u32 v[9:10], null, v7, 13, 12
	v_mov_b32_e32 v12, 0
	v_mov_b32_e32 v15, 0
	;; [unrolled: 1-line block ×3, first 2 shown]
	s_mov_b32 s10, 0
.LBB209_6:                              ; =>This Inner Loop Header: Depth=1
	v_ashrrev_i32_e32 v8, 31, v7
	v_add_nc_u32_e32 v11, -12, v9
	v_mov_b32_e32 v10, v12
	v_mov_b32_e32 v14, v12
	v_lshlrev_b64 v[20:21], 2, v[7:8]
	v_lshlrev_b64 v[18:19], 3, v[11:12]
	v_add_nc_u32_e32 v11, -11, v9
	v_lshlrev_b64 v[22:23], 3, v[9:10]
	v_add_nc_u32_e32 v7, 16, v7
	s_waitcnt lgkmcnt(0)
	v_add_co_u32 v20, vcc_lo, s0, v20
	v_add_co_ci_u32_e64 v21, null, s1, v21, vcc_lo
	v_lshlrev_b64 v[10:11], 3, v[11:12]
	v_add_co_u32 v18, vcc_lo, s2, v18
	global_load_dword v8, v[20:21], off
	v_add_co_ci_u32_e64 v19, null, s3, v19, vcc_lo
	v_add_co_u32 v22, vcc_lo, s2, v22
	v_add_co_ci_u32_e64 v23, null, s3, v23, vcc_lo
	v_add_co_u32 v20, vcc_lo, s2, v10
	v_add_co_ci_u32_e64 v21, null, s3, v11, vcc_lo
	s_waitcnt vmcnt(0)
	v_subrev_nc_u32_e32 v8, s8, v8
	v_mul_lo_u32 v13, v8, 13
	v_add_nc_u32_e32 v11, 1, v13
	v_lshlrev_b64 v[24:25], 3, v[13:14]
	v_lshlrev_b64 v[26:27], 3, v[11:12]
	v_add_nc_u32_e32 v11, -10, v9
	v_add_co_u32 v24, vcc_lo, s4, v24
	v_add_co_ci_u32_e64 v25, null, s5, v25, vcc_lo
	v_lshlrev_b64 v[28:29], 3, v[11:12]
	v_add_nc_u32_e32 v11, 2, v13
	v_add_co_u32 v26, vcc_lo, s4, v26
	v_add_co_ci_u32_e64 v27, null, s5, v27, vcc_lo
	v_lshlrev_b64 v[30:31], 3, v[11:12]
	v_add_nc_u32_e32 v11, -9, v9
	v_add_co_u32 v28, vcc_lo, s2, v28
	v_add_co_ci_u32_e64 v29, null, s3, v29, vcc_lo
	v_lshlrev_b64 v[32:33], 3, v[11:12]
	v_add_nc_u32_e32 v11, 3, v13
	v_add_co_u32 v30, vcc_lo, s4, v30
	v_add_co_ci_u32_e64 v31, null, s5, v31, vcc_lo
	;; [unrolled: 8-line block ×9, first 2 shown]
	v_lshlrev_b64 v[62:63], 3, v[11:12]
	v_add_co_u32 v60, vcc_lo, s2, v60
	v_add_co_ci_u32_e64 v61, null, s3, v61, vcc_lo
	v_add_nc_u32_e32 v11, -1, v9
	v_add_co_u32 v62, vcc_lo, s4, v62
	v_add_co_ci_u32_e64 v63, null, s5, v63, vcc_lo
	global_load_dwordx2 v[18:19], v[18:19], off
	global_load_dwordx2 v[24:25], v[24:25], off
	global_load_dwordx2 v[20:21], v[20:21], off
	global_load_dwordx2 v[26:27], v[26:27], off
	global_load_dwordx2 v[28:29], v[28:29], off
	global_load_dwordx2 v[30:31], v[30:31], off
	global_load_dwordx2 v[32:33], v[32:33], off
	global_load_dwordx2 v[34:35], v[34:35], off
	global_load_dwordx2 v[36:37], v[36:37], off
	global_load_dwordx2 v[38:39], v[38:39], off
	global_load_dwordx2 v[40:41], v[40:41], off
	global_load_dwordx2 v[42:43], v[42:43], off
	global_load_dwordx2 v[44:45], v[44:45], off
	global_load_dwordx2 v[46:47], v[46:47], off
	global_load_dwordx2 v[48:49], v[48:49], off
	global_load_dwordx2 v[50:51], v[50:51], off
	global_load_dwordx2 v[52:53], v[52:53], off
	global_load_dwordx2 v[54:55], v[54:55], off
	global_load_dwordx2 v[56:57], v[56:57], off
	global_load_dwordx2 v[58:59], v[58:59], off
	global_load_dwordx2 v[60:61], v[60:61], off
	global_load_dwordx2 v[62:63], v[62:63], off
	v_lshlrev_b64 v[64:65], 3, v[11:12]
	v_add_nc_u32_e32 v11, 11, v13
	v_add_nc_u32_e32 v9, 0xd0, v9
	v_lshlrev_b64 v[66:67], 3, v[11:12]
	v_add_nc_u32_e32 v11, 12, v13
	v_add_co_u32 v13, vcc_lo, s2, v64
	v_add_co_ci_u32_e64 v14, null, s3, v65, vcc_lo
	v_add_co_u32 v64, vcc_lo, s4, v66
	v_add_co_ci_u32_e64 v65, null, s5, v67, vcc_lo
	v_lshlrev_b64 v[10:11], 3, v[11:12]
	v_add_co_u32 v10, vcc_lo, s4, v10
	v_add_co_ci_u32_e64 v11, null, s5, v11, vcc_lo
	v_cmp_ge_i32_e32 vcc_lo, v7, v16
	s_or_b32 s10, vcc_lo, s10
	s_waitcnt vmcnt(20)
	v_fmac_f32_e32 v17, v18, v24
	v_fmac_f32_e32 v15, v19, v24
	v_fma_f32 v8, -v19, v25, v17
	v_fmac_f32_e32 v15, v18, v25
	global_load_dwordx2 v[13:14], v[13:14], off
	global_load_dwordx2 v[17:18], v[64:65], off
	;; [unrolled: 1-line block ×4, first 2 shown]
	s_waitcnt vmcnt(22)
	v_fmac_f32_e32 v8, v20, v26
	v_fmac_f32_e32 v15, v21, v26
	v_fma_f32 v8, -v21, v27, v8
	v_fmac_f32_e32 v15, v20, v27
	s_waitcnt vmcnt(20)
	v_fmac_f32_e32 v8, v28, v30
	v_fmac_f32_e32 v15, v29, v30
	v_fma_f32 v8, -v29, v31, v8
	v_fmac_f32_e32 v15, v28, v31
	s_waitcnt vmcnt(18)
	v_fmac_f32_e32 v8, v32, v34
	v_fmac_f32_e32 v15, v33, v34
	v_fma_f32 v8, -v33, v35, v8
	v_fmac_f32_e32 v15, v32, v35
	s_waitcnt vmcnt(16)
	v_fmac_f32_e32 v8, v36, v38
	v_fmac_f32_e32 v15, v37, v38
	v_fma_f32 v8, -v37, v39, v8
	v_fmac_f32_e32 v15, v36, v39
	s_waitcnt vmcnt(14)
	v_fmac_f32_e32 v8, v40, v42
	v_fmac_f32_e32 v15, v41, v42
	v_fma_f32 v8, -v41, v43, v8
	v_fmac_f32_e32 v15, v40, v43
	s_waitcnt vmcnt(12)
	v_fmac_f32_e32 v8, v44, v46
	v_fmac_f32_e32 v15, v45, v46
	v_fma_f32 v8, -v45, v47, v8
	v_fmac_f32_e32 v15, v44, v47
	s_waitcnt vmcnt(10)
	v_fmac_f32_e32 v8, v48, v50
	v_fmac_f32_e32 v15, v49, v50
	v_fma_f32 v8, -v49, v51, v8
	v_fmac_f32_e32 v15, v48, v51
	s_waitcnt vmcnt(8)
	v_fmac_f32_e32 v8, v52, v54
	v_fmac_f32_e32 v15, v53, v54
	v_fma_f32 v8, -v53, v55, v8
	v_fmac_f32_e32 v15, v52, v55
	s_waitcnt vmcnt(6)
	v_fmac_f32_e32 v8, v56, v58
	v_fmac_f32_e32 v15, v57, v58
	v_fma_f32 v8, -v57, v59, v8
	v_fmac_f32_e32 v15, v56, v59
	s_waitcnt vmcnt(4)
	v_fmac_f32_e32 v8, v60, v62
	v_fmac_f32_e32 v15, v61, v62
	v_fma_f32 v8, -v61, v63, v8
	v_fmac_f32_e32 v15, v60, v63
	s_waitcnt vmcnt(2)
	v_fmac_f32_e32 v8, v13, v17
	v_fmac_f32_e32 v15, v14, v17
	v_fma_f32 v8, -v14, v18, v8
	v_fmac_f32_e32 v15, v13, v18
	s_waitcnt vmcnt(0)
	v_fmac_f32_e32 v8, v22, v10
	v_fmac_f32_e32 v15, v23, v10
	v_fma_f32 v17, -v23, v11, v8
	v_fmac_f32_e32 v15, v22, v11
	s_andn2_b32 exec_lo, exec_lo, s10
	s_cbranch_execnz .LBB209_6
; %bb.7:
	s_or_b32 exec_lo, exec_lo, s10
.LBB209_8:
	s_or_b32 exec_lo, exec_lo, s9
	v_mbcnt_lo_u32_b32 v7, -1, 0
	v_xor_b32_e32 v8, 8, v7
	v_xor_b32_e32 v10, 4, v7
	;; [unrolled: 1-line block ×3, first 2 shown]
	v_cmp_gt_i32_e32 vcc_lo, 32, v8
	v_cndmask_b32_e32 v8, v7, v8, vcc_lo
	v_cmp_gt_i32_e32 vcc_lo, 32, v10
	v_lshlrev_b32_e32 v8, 2, v8
	v_cndmask_b32_e32 v10, v7, v10, vcc_lo
	v_cmp_gt_i32_e32 vcc_lo, 32, v12
	ds_bpermute_b32 v9, v8, v17
	ds_bpermute_b32 v8, v8, v15
	v_lshlrev_b32_e32 v10, 2, v10
	v_cndmask_b32_e32 v12, v7, v12, vcc_lo
	v_lshlrev_b32_e32 v12, 2, v12
	s_waitcnt lgkmcnt(1)
	v_add_f32_e32 v9, v17, v9
	s_waitcnt lgkmcnt(0)
	v_add_f32_e32 v8, v15, v8
	ds_bpermute_b32 v11, v10, v9
	ds_bpermute_b32 v10, v10, v8
	s_waitcnt lgkmcnt(1)
	v_add_f32_e32 v9, v9, v11
	s_waitcnt lgkmcnt(0)
	v_add_f32_e32 v8, v8, v10
	ds_bpermute_b32 v10, v12, v9
	ds_bpermute_b32 v11, v12, v8
	v_xor_b32_e32 v12, 1, v7
	v_cmp_gt_i32_e32 vcc_lo, 32, v12
	v_cndmask_b32_e32 v7, v7, v12, vcc_lo
	v_cmp_eq_u32_e32 vcc_lo, 15, v0
	v_lshlrev_b32_e32 v12, 2, v7
	s_waitcnt lgkmcnt(1)
	v_add_f32_e32 v7, v9, v10
	s_waitcnt lgkmcnt(0)
	v_add_f32_e32 v9, v8, v11
	ds_bpermute_b32 v8, v12, v7
	ds_bpermute_b32 v10, v12, v9
	s_and_b32 exec_lo, exec_lo, vcc_lo
	s_cbranch_execz .LBB209_13
; %bb.9:
	s_waitcnt lgkmcnt(0)
	v_add_f32_e32 v0, v9, v10
	v_add_f32_e32 v9, v7, v8
	v_cmp_eq_f32_e32 vcc_lo, 0, v1
	v_cmp_eq_f32_e64 s0, 0, v2
	v_lshlrev_b64 v[5:6], 3, v[5:6]
	v_mul_f32_e64 v7, v0, -v4
	v_mul_f32_e32 v8, v3, v0
	s_and_b32 s0, vcc_lo, s0
	v_fmac_f32_e32 v7, v3, v9
	v_fmac_f32_e32 v8, v4, v9
	s_and_saveexec_b32 s1, s0
	s_xor_b32 s0, exec_lo, s1
	s_cbranch_execz .LBB209_11
; %bb.10:
	v_add_co_u32 v0, vcc_lo, s6, v5
	v_add_co_ci_u32_e64 v1, null, s7, v6, vcc_lo
                                        ; implicit-def: $vgpr5_vgpr6
	global_store_dwordx2 v[0:1], v[7:8], off
                                        ; implicit-def: $vgpr1_vgpr2
                                        ; implicit-def: $vgpr7
.LBB209_11:
	s_andn2_saveexec_b32 s0, s0
	s_cbranch_execz .LBB209_13
; %bb.12:
	v_add_co_u32 v3, vcc_lo, s6, v5
	v_add_co_ci_u32_e64 v4, null, s7, v6, vcc_lo
	global_load_dwordx2 v[5:6], v[3:4], off
	s_waitcnt vmcnt(0)
	v_fmac_f32_e32 v7, v1, v5
	v_fmac_f32_e32 v8, v2, v5
	v_fma_f32 v7, -v2, v6, v7
	v_fmac_f32_e32 v8, v1, v6
	global_store_dwordx2 v[3:4], v[7:8], off
.LBB209_13:
	s_endpgm
	.section	.rodata,"a",@progbits
	.p2align	6, 0x0
	.amdhsa_kernel _ZN9rocsparseL19gebsrmvn_1xn_kernelILj128ELj13ELj16E21rocsparse_complex_numIfEEEvi20rocsparse_direction_NS_24const_host_device_scalarIT2_EEPKiS8_PKS5_SA_S6_PS5_21rocsparse_index_base_b
		.amdhsa_group_segment_fixed_size 0
		.amdhsa_private_segment_fixed_size 0
		.amdhsa_kernarg_size 72
		.amdhsa_user_sgpr_count 6
		.amdhsa_user_sgpr_private_segment_buffer 1
		.amdhsa_user_sgpr_dispatch_ptr 0
		.amdhsa_user_sgpr_queue_ptr 0
		.amdhsa_user_sgpr_kernarg_segment_ptr 1
		.amdhsa_user_sgpr_dispatch_id 0
		.amdhsa_user_sgpr_flat_scratch_init 0
		.amdhsa_user_sgpr_private_segment_size 0
		.amdhsa_wavefront_size32 1
		.amdhsa_uses_dynamic_stack 0
		.amdhsa_system_sgpr_private_segment_wavefront_offset 0
		.amdhsa_system_sgpr_workgroup_id_x 1
		.amdhsa_system_sgpr_workgroup_id_y 0
		.amdhsa_system_sgpr_workgroup_id_z 0
		.amdhsa_system_sgpr_workgroup_info 0
		.amdhsa_system_vgpr_workitem_id 0
		.amdhsa_next_free_vgpr 68
		.amdhsa_next_free_sgpr 13
		.amdhsa_reserve_vcc 1
		.amdhsa_reserve_flat_scratch 0
		.amdhsa_float_round_mode_32 0
		.amdhsa_float_round_mode_16_64 0
		.amdhsa_float_denorm_mode_32 3
		.amdhsa_float_denorm_mode_16_64 3
		.amdhsa_dx10_clamp 1
		.amdhsa_ieee_mode 1
		.amdhsa_fp16_overflow 0
		.amdhsa_workgroup_processor_mode 1
		.amdhsa_memory_ordered 1
		.amdhsa_forward_progress 1
		.amdhsa_shared_vgpr_count 0
		.amdhsa_exception_fp_ieee_invalid_op 0
		.amdhsa_exception_fp_denorm_src 0
		.amdhsa_exception_fp_ieee_div_zero 0
		.amdhsa_exception_fp_ieee_overflow 0
		.amdhsa_exception_fp_ieee_underflow 0
		.amdhsa_exception_fp_ieee_inexact 0
		.amdhsa_exception_int_div_zero 0
	.end_amdhsa_kernel
	.section	.text._ZN9rocsparseL19gebsrmvn_1xn_kernelILj128ELj13ELj16E21rocsparse_complex_numIfEEEvi20rocsparse_direction_NS_24const_host_device_scalarIT2_EEPKiS8_PKS5_SA_S6_PS5_21rocsparse_index_base_b,"axG",@progbits,_ZN9rocsparseL19gebsrmvn_1xn_kernelILj128ELj13ELj16E21rocsparse_complex_numIfEEEvi20rocsparse_direction_NS_24const_host_device_scalarIT2_EEPKiS8_PKS5_SA_S6_PS5_21rocsparse_index_base_b,comdat
.Lfunc_end209:
	.size	_ZN9rocsparseL19gebsrmvn_1xn_kernelILj128ELj13ELj16E21rocsparse_complex_numIfEEEvi20rocsparse_direction_NS_24const_host_device_scalarIT2_EEPKiS8_PKS5_SA_S6_PS5_21rocsparse_index_base_b, .Lfunc_end209-_ZN9rocsparseL19gebsrmvn_1xn_kernelILj128ELj13ELj16E21rocsparse_complex_numIfEEEvi20rocsparse_direction_NS_24const_host_device_scalarIT2_EEPKiS8_PKS5_SA_S6_PS5_21rocsparse_index_base_b
                                        ; -- End function
	.set _ZN9rocsparseL19gebsrmvn_1xn_kernelILj128ELj13ELj16E21rocsparse_complex_numIfEEEvi20rocsparse_direction_NS_24const_host_device_scalarIT2_EEPKiS8_PKS5_SA_S6_PS5_21rocsparse_index_base_b.num_vgpr, 68
	.set _ZN9rocsparseL19gebsrmvn_1xn_kernelILj128ELj13ELj16E21rocsparse_complex_numIfEEEvi20rocsparse_direction_NS_24const_host_device_scalarIT2_EEPKiS8_PKS5_SA_S6_PS5_21rocsparse_index_base_b.num_agpr, 0
	.set _ZN9rocsparseL19gebsrmvn_1xn_kernelILj128ELj13ELj16E21rocsparse_complex_numIfEEEvi20rocsparse_direction_NS_24const_host_device_scalarIT2_EEPKiS8_PKS5_SA_S6_PS5_21rocsparse_index_base_b.numbered_sgpr, 13
	.set _ZN9rocsparseL19gebsrmvn_1xn_kernelILj128ELj13ELj16E21rocsparse_complex_numIfEEEvi20rocsparse_direction_NS_24const_host_device_scalarIT2_EEPKiS8_PKS5_SA_S6_PS5_21rocsparse_index_base_b.num_named_barrier, 0
	.set _ZN9rocsparseL19gebsrmvn_1xn_kernelILj128ELj13ELj16E21rocsparse_complex_numIfEEEvi20rocsparse_direction_NS_24const_host_device_scalarIT2_EEPKiS8_PKS5_SA_S6_PS5_21rocsparse_index_base_b.private_seg_size, 0
	.set _ZN9rocsparseL19gebsrmvn_1xn_kernelILj128ELj13ELj16E21rocsparse_complex_numIfEEEvi20rocsparse_direction_NS_24const_host_device_scalarIT2_EEPKiS8_PKS5_SA_S6_PS5_21rocsparse_index_base_b.uses_vcc, 1
	.set _ZN9rocsparseL19gebsrmvn_1xn_kernelILj128ELj13ELj16E21rocsparse_complex_numIfEEEvi20rocsparse_direction_NS_24const_host_device_scalarIT2_EEPKiS8_PKS5_SA_S6_PS5_21rocsparse_index_base_b.uses_flat_scratch, 0
	.set _ZN9rocsparseL19gebsrmvn_1xn_kernelILj128ELj13ELj16E21rocsparse_complex_numIfEEEvi20rocsparse_direction_NS_24const_host_device_scalarIT2_EEPKiS8_PKS5_SA_S6_PS5_21rocsparse_index_base_b.has_dyn_sized_stack, 0
	.set _ZN9rocsparseL19gebsrmvn_1xn_kernelILj128ELj13ELj16E21rocsparse_complex_numIfEEEvi20rocsparse_direction_NS_24const_host_device_scalarIT2_EEPKiS8_PKS5_SA_S6_PS5_21rocsparse_index_base_b.has_recursion, 0
	.set _ZN9rocsparseL19gebsrmvn_1xn_kernelILj128ELj13ELj16E21rocsparse_complex_numIfEEEvi20rocsparse_direction_NS_24const_host_device_scalarIT2_EEPKiS8_PKS5_SA_S6_PS5_21rocsparse_index_base_b.has_indirect_call, 0
	.section	.AMDGPU.csdata,"",@progbits
; Kernel info:
; codeLenInByte = 2048
; TotalNumSgprs: 15
; NumVgprs: 68
; ScratchSize: 0
; MemoryBound: 0
; FloatMode: 240
; IeeeMode: 1
; LDSByteSize: 0 bytes/workgroup (compile time only)
; SGPRBlocks: 0
; VGPRBlocks: 8
; NumSGPRsForWavesPerEU: 15
; NumVGPRsForWavesPerEU: 68
; Occupancy: 12
; WaveLimiterHint : 1
; COMPUTE_PGM_RSRC2:SCRATCH_EN: 0
; COMPUTE_PGM_RSRC2:USER_SGPR: 6
; COMPUTE_PGM_RSRC2:TRAP_HANDLER: 0
; COMPUTE_PGM_RSRC2:TGID_X_EN: 1
; COMPUTE_PGM_RSRC2:TGID_Y_EN: 0
; COMPUTE_PGM_RSRC2:TGID_Z_EN: 0
; COMPUTE_PGM_RSRC2:TIDIG_COMP_CNT: 0
	.section	.text._ZN9rocsparseL19gebsrmvn_1xn_kernelILj128ELj13ELj32E21rocsparse_complex_numIfEEEvi20rocsparse_direction_NS_24const_host_device_scalarIT2_EEPKiS8_PKS5_SA_S6_PS5_21rocsparse_index_base_b,"axG",@progbits,_ZN9rocsparseL19gebsrmvn_1xn_kernelILj128ELj13ELj32E21rocsparse_complex_numIfEEEvi20rocsparse_direction_NS_24const_host_device_scalarIT2_EEPKiS8_PKS5_SA_S6_PS5_21rocsparse_index_base_b,comdat
	.globl	_ZN9rocsparseL19gebsrmvn_1xn_kernelILj128ELj13ELj32E21rocsparse_complex_numIfEEEvi20rocsparse_direction_NS_24const_host_device_scalarIT2_EEPKiS8_PKS5_SA_S6_PS5_21rocsparse_index_base_b ; -- Begin function _ZN9rocsparseL19gebsrmvn_1xn_kernelILj128ELj13ELj32E21rocsparse_complex_numIfEEEvi20rocsparse_direction_NS_24const_host_device_scalarIT2_EEPKiS8_PKS5_SA_S6_PS5_21rocsparse_index_base_b
	.p2align	8
	.type	_ZN9rocsparseL19gebsrmvn_1xn_kernelILj128ELj13ELj32E21rocsparse_complex_numIfEEEvi20rocsparse_direction_NS_24const_host_device_scalarIT2_EEPKiS8_PKS5_SA_S6_PS5_21rocsparse_index_base_b,@function
_ZN9rocsparseL19gebsrmvn_1xn_kernelILj128ELj13ELj32E21rocsparse_complex_numIfEEEvi20rocsparse_direction_NS_24const_host_device_scalarIT2_EEPKiS8_PKS5_SA_S6_PS5_21rocsparse_index_base_b: ; @_ZN9rocsparseL19gebsrmvn_1xn_kernelILj128ELj13ELj32E21rocsparse_complex_numIfEEEvi20rocsparse_direction_NS_24const_host_device_scalarIT2_EEPKiS8_PKS5_SA_S6_PS5_21rocsparse_index_base_b
; %bb.0:
	s_clause 0x2
	s_load_dwordx2 s[8:9], s[4:5], 0x40
	s_load_dwordx2 s[0:1], s[4:5], 0x8
	;; [unrolled: 1-line block ×3, first 2 shown]
	s_add_u32 s7, s4, 8
	s_addc_u32 s10, s5, 0
	s_add_u32 s11, s4, 48
	s_addc_u32 s12, s5, 0
	s_waitcnt lgkmcnt(0)
	s_bitcmp1_b32 s9, 0
	s_cselect_b32 s0, s7, s0
	s_cselect_b32 s1, s10, s1
	v_mov_b32_e32 v1, s0
	v_mov_b32_e32 v2, s1
	s_cselect_b32 s0, s11, s2
	s_cselect_b32 s1, s12, s3
	flat_load_dwordx2 v[3:4], v[1:2]
	v_mov_b32_e32 v1, s0
	v_mov_b32_e32 v2, s1
	flat_load_dwordx2 v[1:2], v[1:2]
	s_waitcnt vmcnt(1) lgkmcnt(1)
	v_cmp_eq_f32_e32 vcc_lo, 0, v3
	v_cmp_eq_f32_e64 s0, 0, v4
	s_and_b32 s2, vcc_lo, s0
	s_mov_b32 s0, -1
	s_and_saveexec_b32 s1, s2
	s_cbranch_execz .LBB210_2
; %bb.1:
	s_waitcnt vmcnt(0) lgkmcnt(0)
	v_cmp_neq_f32_e32 vcc_lo, 1.0, v1
	v_cmp_neq_f32_e64 s0, 0, v2
	s_or_b32 s0, vcc_lo, s0
	s_orn2_b32 s0, s0, exec_lo
.LBB210_2:
	s_or_b32 exec_lo, exec_lo, s1
	s_and_saveexec_b32 s1, s0
	s_cbranch_execz .LBB210_13
; %bb.3:
	s_load_dword s0, s[4:5], 0x0
	v_lshrrev_b32_e32 v5, 5, v0
	v_lshl_or_b32 v5, s6, 2, v5
	s_waitcnt lgkmcnt(0)
	v_cmp_gt_i32_e32 vcc_lo, s0, v5
	s_and_b32 exec_lo, exec_lo, vcc_lo
	s_cbranch_execz .LBB210_13
; %bb.4:
	s_clause 0x1
	s_load_dwordx2 s[0:1], s[4:5], 0x10
	s_load_dwordx2 s[6:7], s[4:5], 0x38
	v_ashrrev_i32_e32 v6, 31, v5
	v_and_b32_e32 v0, 31, v0
	v_mov_b32_e32 v15, 0
	v_mov_b32_e32 v17, 0
	s_mov_b32 s9, exec_lo
	v_lshlrev_b64 v[7:8], 2, v[5:6]
	v_subrev_nc_u32_e32 v9, s8, v0
	s_waitcnt lgkmcnt(0)
	v_add_co_u32 v7, vcc_lo, s0, v7
	v_add_co_ci_u32_e64 v8, null, s1, v8, vcc_lo
	global_load_dwordx2 v[7:8], v[7:8], off
	s_waitcnt vmcnt(0)
	v_subrev_nc_u32_e32 v16, s8, v8
	v_add_nc_u32_e32 v7, v7, v9
	v_cmpx_lt_i32_e64 v7, v16
	s_cbranch_execz .LBB210_8
; %bb.5:
	s_clause 0x1
	s_load_dwordx4 s[0:3], s[4:5], 0x18
	s_load_dwordx2 s[4:5], s[4:5], 0x28
	v_mad_u64_u32 v[9:10], null, v7, 13, 12
	v_mov_b32_e32 v12, 0
	v_mov_b32_e32 v15, 0
	;; [unrolled: 1-line block ×3, first 2 shown]
	s_mov_b32 s10, 0
.LBB210_6:                              ; =>This Inner Loop Header: Depth=1
	v_ashrrev_i32_e32 v8, 31, v7
	v_add_nc_u32_e32 v11, -12, v9
	v_mov_b32_e32 v10, v12
	v_mov_b32_e32 v14, v12
	v_lshlrev_b64 v[20:21], 2, v[7:8]
	v_lshlrev_b64 v[18:19], 3, v[11:12]
	v_add_nc_u32_e32 v11, -11, v9
	v_lshlrev_b64 v[22:23], 3, v[9:10]
	v_add_nc_u32_e32 v7, 32, v7
	s_waitcnt lgkmcnt(0)
	v_add_co_u32 v20, vcc_lo, s0, v20
	v_add_co_ci_u32_e64 v21, null, s1, v21, vcc_lo
	v_lshlrev_b64 v[10:11], 3, v[11:12]
	v_add_co_u32 v18, vcc_lo, s2, v18
	global_load_dword v8, v[20:21], off
	v_add_co_ci_u32_e64 v19, null, s3, v19, vcc_lo
	v_add_co_u32 v22, vcc_lo, s2, v22
	v_add_co_ci_u32_e64 v23, null, s3, v23, vcc_lo
	v_add_co_u32 v20, vcc_lo, s2, v10
	v_add_co_ci_u32_e64 v21, null, s3, v11, vcc_lo
	s_waitcnt vmcnt(0)
	v_subrev_nc_u32_e32 v8, s8, v8
	v_mul_lo_u32 v13, v8, 13
	v_add_nc_u32_e32 v11, 1, v13
	v_lshlrev_b64 v[24:25], 3, v[13:14]
	v_lshlrev_b64 v[26:27], 3, v[11:12]
	v_add_nc_u32_e32 v11, -10, v9
	v_add_co_u32 v24, vcc_lo, s4, v24
	v_add_co_ci_u32_e64 v25, null, s5, v25, vcc_lo
	v_lshlrev_b64 v[28:29], 3, v[11:12]
	v_add_nc_u32_e32 v11, 2, v13
	v_add_co_u32 v26, vcc_lo, s4, v26
	v_add_co_ci_u32_e64 v27, null, s5, v27, vcc_lo
	v_lshlrev_b64 v[30:31], 3, v[11:12]
	v_add_nc_u32_e32 v11, -9, v9
	v_add_co_u32 v28, vcc_lo, s2, v28
	v_add_co_ci_u32_e64 v29, null, s3, v29, vcc_lo
	v_lshlrev_b64 v[32:33], 3, v[11:12]
	v_add_nc_u32_e32 v11, 3, v13
	v_add_co_u32 v30, vcc_lo, s4, v30
	v_add_co_ci_u32_e64 v31, null, s5, v31, vcc_lo
	;; [unrolled: 8-line block ×9, first 2 shown]
	v_lshlrev_b64 v[62:63], 3, v[11:12]
	v_add_co_u32 v60, vcc_lo, s2, v60
	v_add_co_ci_u32_e64 v61, null, s3, v61, vcc_lo
	v_add_nc_u32_e32 v11, -1, v9
	v_add_co_u32 v62, vcc_lo, s4, v62
	v_add_co_ci_u32_e64 v63, null, s5, v63, vcc_lo
	global_load_dwordx2 v[18:19], v[18:19], off
	global_load_dwordx2 v[24:25], v[24:25], off
	;; [unrolled: 1-line block ×22, first 2 shown]
	v_lshlrev_b64 v[64:65], 3, v[11:12]
	v_add_nc_u32_e32 v11, 11, v13
	v_add_nc_u32_e32 v9, 0x1a0, v9
	v_lshlrev_b64 v[66:67], 3, v[11:12]
	v_add_nc_u32_e32 v11, 12, v13
	v_add_co_u32 v13, vcc_lo, s2, v64
	v_add_co_ci_u32_e64 v14, null, s3, v65, vcc_lo
	v_add_co_u32 v64, vcc_lo, s4, v66
	v_add_co_ci_u32_e64 v65, null, s5, v67, vcc_lo
	v_lshlrev_b64 v[10:11], 3, v[11:12]
	v_add_co_u32 v10, vcc_lo, s4, v10
	v_add_co_ci_u32_e64 v11, null, s5, v11, vcc_lo
	v_cmp_ge_i32_e32 vcc_lo, v7, v16
	s_or_b32 s10, vcc_lo, s10
	s_waitcnt vmcnt(20)
	v_fmac_f32_e32 v17, v18, v24
	v_fmac_f32_e32 v15, v19, v24
	v_fma_f32 v8, -v19, v25, v17
	v_fmac_f32_e32 v15, v18, v25
	global_load_dwordx2 v[13:14], v[13:14], off
	global_load_dwordx2 v[17:18], v[64:65], off
	global_load_dwordx2 v[22:23], v[22:23], off
	global_load_dwordx2 v[10:11], v[10:11], off
	s_waitcnt vmcnt(22)
	v_fmac_f32_e32 v8, v20, v26
	v_fmac_f32_e32 v15, v21, v26
	v_fma_f32 v8, -v21, v27, v8
	v_fmac_f32_e32 v15, v20, v27
	s_waitcnt vmcnt(20)
	v_fmac_f32_e32 v8, v28, v30
	v_fmac_f32_e32 v15, v29, v30
	v_fma_f32 v8, -v29, v31, v8
	v_fmac_f32_e32 v15, v28, v31
	;; [unrolled: 5-line block ×12, first 2 shown]
	s_andn2_b32 exec_lo, exec_lo, s10
	s_cbranch_execnz .LBB210_6
; %bb.7:
	s_or_b32 exec_lo, exec_lo, s10
.LBB210_8:
	s_or_b32 exec_lo, exec_lo, s9
	v_mbcnt_lo_u32_b32 v7, -1, 0
	v_xor_b32_e32 v8, 16, v7
	v_xor_b32_e32 v10, 8, v7
	;; [unrolled: 1-line block ×3, first 2 shown]
	v_cmp_gt_i32_e32 vcc_lo, 32, v8
	v_cndmask_b32_e32 v8, v7, v8, vcc_lo
	v_cmp_gt_i32_e32 vcc_lo, 32, v10
	v_lshlrev_b32_e32 v8, 2, v8
	v_cndmask_b32_e32 v10, v7, v10, vcc_lo
	v_cmp_gt_i32_e32 vcc_lo, 32, v12
	ds_bpermute_b32 v9, v8, v17
	ds_bpermute_b32 v8, v8, v15
	v_lshlrev_b32_e32 v10, 2, v10
	v_cndmask_b32_e32 v12, v7, v12, vcc_lo
	v_lshlrev_b32_e32 v12, 2, v12
	s_waitcnt lgkmcnt(1)
	v_add_f32_e32 v9, v17, v9
	s_waitcnt lgkmcnt(0)
	v_add_f32_e32 v8, v15, v8
	ds_bpermute_b32 v11, v10, v9
	ds_bpermute_b32 v10, v10, v8
	s_waitcnt lgkmcnt(1)
	v_add_f32_e32 v9, v9, v11
	s_waitcnt lgkmcnt(0)
	v_add_f32_e32 v8, v8, v10
	ds_bpermute_b32 v10, v12, v9
	ds_bpermute_b32 v11, v12, v8
	v_xor_b32_e32 v12, 2, v7
	v_cmp_gt_i32_e32 vcc_lo, 32, v12
	v_cndmask_b32_e32 v12, v7, v12, vcc_lo
	v_lshlrev_b32_e32 v12, 2, v12
	s_waitcnt lgkmcnt(1)
	v_add_f32_e32 v9, v9, v10
	s_waitcnt lgkmcnt(0)
	v_add_f32_e32 v8, v8, v11
	ds_bpermute_b32 v10, v12, v9
	ds_bpermute_b32 v11, v12, v8
	v_xor_b32_e32 v12, 1, v7
	v_cmp_gt_i32_e32 vcc_lo, 32, v12
	v_cndmask_b32_e32 v7, v7, v12, vcc_lo
	v_cmp_eq_u32_e32 vcc_lo, 31, v0
	v_lshlrev_b32_e32 v12, 2, v7
	s_waitcnt lgkmcnt(1)
	v_add_f32_e32 v7, v9, v10
	s_waitcnt lgkmcnt(0)
	v_add_f32_e32 v9, v8, v11
	ds_bpermute_b32 v8, v12, v7
	ds_bpermute_b32 v10, v12, v9
	s_and_b32 exec_lo, exec_lo, vcc_lo
	s_cbranch_execz .LBB210_13
; %bb.9:
	s_waitcnt lgkmcnt(0)
	v_add_f32_e32 v0, v9, v10
	v_add_f32_e32 v9, v7, v8
	v_cmp_eq_f32_e32 vcc_lo, 0, v1
	v_cmp_eq_f32_e64 s0, 0, v2
	v_lshlrev_b64 v[5:6], 3, v[5:6]
	v_mul_f32_e64 v7, v0, -v4
	v_mul_f32_e32 v8, v3, v0
	s_and_b32 s0, vcc_lo, s0
	v_fmac_f32_e32 v7, v3, v9
	v_fmac_f32_e32 v8, v4, v9
	s_and_saveexec_b32 s1, s0
	s_xor_b32 s0, exec_lo, s1
	s_cbranch_execz .LBB210_11
; %bb.10:
	v_add_co_u32 v0, vcc_lo, s6, v5
	v_add_co_ci_u32_e64 v1, null, s7, v6, vcc_lo
                                        ; implicit-def: $vgpr5_vgpr6
	global_store_dwordx2 v[0:1], v[7:8], off
                                        ; implicit-def: $vgpr1_vgpr2
                                        ; implicit-def: $vgpr7
.LBB210_11:
	s_andn2_saveexec_b32 s0, s0
	s_cbranch_execz .LBB210_13
; %bb.12:
	v_add_co_u32 v3, vcc_lo, s6, v5
	v_add_co_ci_u32_e64 v4, null, s7, v6, vcc_lo
	global_load_dwordx2 v[5:6], v[3:4], off
	s_waitcnt vmcnt(0)
	v_fmac_f32_e32 v7, v1, v5
	v_fmac_f32_e32 v8, v2, v5
	v_fma_f32 v7, -v2, v6, v7
	v_fmac_f32_e32 v8, v1, v6
	global_store_dwordx2 v[3:4], v[7:8], off
.LBB210_13:
	s_endpgm
	.section	.rodata,"a",@progbits
	.p2align	6, 0x0
	.amdhsa_kernel _ZN9rocsparseL19gebsrmvn_1xn_kernelILj128ELj13ELj32E21rocsparse_complex_numIfEEEvi20rocsparse_direction_NS_24const_host_device_scalarIT2_EEPKiS8_PKS5_SA_S6_PS5_21rocsparse_index_base_b
		.amdhsa_group_segment_fixed_size 0
		.amdhsa_private_segment_fixed_size 0
		.amdhsa_kernarg_size 72
		.amdhsa_user_sgpr_count 6
		.amdhsa_user_sgpr_private_segment_buffer 1
		.amdhsa_user_sgpr_dispatch_ptr 0
		.amdhsa_user_sgpr_queue_ptr 0
		.amdhsa_user_sgpr_kernarg_segment_ptr 1
		.amdhsa_user_sgpr_dispatch_id 0
		.amdhsa_user_sgpr_flat_scratch_init 0
		.amdhsa_user_sgpr_private_segment_size 0
		.amdhsa_wavefront_size32 1
		.amdhsa_uses_dynamic_stack 0
		.amdhsa_system_sgpr_private_segment_wavefront_offset 0
		.amdhsa_system_sgpr_workgroup_id_x 1
		.amdhsa_system_sgpr_workgroup_id_y 0
		.amdhsa_system_sgpr_workgroup_id_z 0
		.amdhsa_system_sgpr_workgroup_info 0
		.amdhsa_system_vgpr_workitem_id 0
		.amdhsa_next_free_vgpr 68
		.amdhsa_next_free_sgpr 13
		.amdhsa_reserve_vcc 1
		.amdhsa_reserve_flat_scratch 0
		.amdhsa_float_round_mode_32 0
		.amdhsa_float_round_mode_16_64 0
		.amdhsa_float_denorm_mode_32 3
		.amdhsa_float_denorm_mode_16_64 3
		.amdhsa_dx10_clamp 1
		.amdhsa_ieee_mode 1
		.amdhsa_fp16_overflow 0
		.amdhsa_workgroup_processor_mode 1
		.amdhsa_memory_ordered 1
		.amdhsa_forward_progress 1
		.amdhsa_shared_vgpr_count 0
		.amdhsa_exception_fp_ieee_invalid_op 0
		.amdhsa_exception_fp_denorm_src 0
		.amdhsa_exception_fp_ieee_div_zero 0
		.amdhsa_exception_fp_ieee_overflow 0
		.amdhsa_exception_fp_ieee_underflow 0
		.amdhsa_exception_fp_ieee_inexact 0
		.amdhsa_exception_int_div_zero 0
	.end_amdhsa_kernel
	.section	.text._ZN9rocsparseL19gebsrmvn_1xn_kernelILj128ELj13ELj32E21rocsparse_complex_numIfEEEvi20rocsparse_direction_NS_24const_host_device_scalarIT2_EEPKiS8_PKS5_SA_S6_PS5_21rocsparse_index_base_b,"axG",@progbits,_ZN9rocsparseL19gebsrmvn_1xn_kernelILj128ELj13ELj32E21rocsparse_complex_numIfEEEvi20rocsparse_direction_NS_24const_host_device_scalarIT2_EEPKiS8_PKS5_SA_S6_PS5_21rocsparse_index_base_b,comdat
.Lfunc_end210:
	.size	_ZN9rocsparseL19gebsrmvn_1xn_kernelILj128ELj13ELj32E21rocsparse_complex_numIfEEEvi20rocsparse_direction_NS_24const_host_device_scalarIT2_EEPKiS8_PKS5_SA_S6_PS5_21rocsparse_index_base_b, .Lfunc_end210-_ZN9rocsparseL19gebsrmvn_1xn_kernelILj128ELj13ELj32E21rocsparse_complex_numIfEEEvi20rocsparse_direction_NS_24const_host_device_scalarIT2_EEPKiS8_PKS5_SA_S6_PS5_21rocsparse_index_base_b
                                        ; -- End function
	.set _ZN9rocsparseL19gebsrmvn_1xn_kernelILj128ELj13ELj32E21rocsparse_complex_numIfEEEvi20rocsparse_direction_NS_24const_host_device_scalarIT2_EEPKiS8_PKS5_SA_S6_PS5_21rocsparse_index_base_b.num_vgpr, 68
	.set _ZN9rocsparseL19gebsrmvn_1xn_kernelILj128ELj13ELj32E21rocsparse_complex_numIfEEEvi20rocsparse_direction_NS_24const_host_device_scalarIT2_EEPKiS8_PKS5_SA_S6_PS5_21rocsparse_index_base_b.num_agpr, 0
	.set _ZN9rocsparseL19gebsrmvn_1xn_kernelILj128ELj13ELj32E21rocsparse_complex_numIfEEEvi20rocsparse_direction_NS_24const_host_device_scalarIT2_EEPKiS8_PKS5_SA_S6_PS5_21rocsparse_index_base_b.numbered_sgpr, 13
	.set _ZN9rocsparseL19gebsrmvn_1xn_kernelILj128ELj13ELj32E21rocsparse_complex_numIfEEEvi20rocsparse_direction_NS_24const_host_device_scalarIT2_EEPKiS8_PKS5_SA_S6_PS5_21rocsparse_index_base_b.num_named_barrier, 0
	.set _ZN9rocsparseL19gebsrmvn_1xn_kernelILj128ELj13ELj32E21rocsparse_complex_numIfEEEvi20rocsparse_direction_NS_24const_host_device_scalarIT2_EEPKiS8_PKS5_SA_S6_PS5_21rocsparse_index_base_b.private_seg_size, 0
	.set _ZN9rocsparseL19gebsrmvn_1xn_kernelILj128ELj13ELj32E21rocsparse_complex_numIfEEEvi20rocsparse_direction_NS_24const_host_device_scalarIT2_EEPKiS8_PKS5_SA_S6_PS5_21rocsparse_index_base_b.uses_vcc, 1
	.set _ZN9rocsparseL19gebsrmvn_1xn_kernelILj128ELj13ELj32E21rocsparse_complex_numIfEEEvi20rocsparse_direction_NS_24const_host_device_scalarIT2_EEPKiS8_PKS5_SA_S6_PS5_21rocsparse_index_base_b.uses_flat_scratch, 0
	.set _ZN9rocsparseL19gebsrmvn_1xn_kernelILj128ELj13ELj32E21rocsparse_complex_numIfEEEvi20rocsparse_direction_NS_24const_host_device_scalarIT2_EEPKiS8_PKS5_SA_S6_PS5_21rocsparse_index_base_b.has_dyn_sized_stack, 0
	.set _ZN9rocsparseL19gebsrmvn_1xn_kernelILj128ELj13ELj32E21rocsparse_complex_numIfEEEvi20rocsparse_direction_NS_24const_host_device_scalarIT2_EEPKiS8_PKS5_SA_S6_PS5_21rocsparse_index_base_b.has_recursion, 0
	.set _ZN9rocsparseL19gebsrmvn_1xn_kernelILj128ELj13ELj32E21rocsparse_complex_numIfEEEvi20rocsparse_direction_NS_24const_host_device_scalarIT2_EEPKiS8_PKS5_SA_S6_PS5_21rocsparse_index_base_b.has_indirect_call, 0
	.section	.AMDGPU.csdata,"",@progbits
; Kernel info:
; codeLenInByte = 2096
; TotalNumSgprs: 15
; NumVgprs: 68
; ScratchSize: 0
; MemoryBound: 0
; FloatMode: 240
; IeeeMode: 1
; LDSByteSize: 0 bytes/workgroup (compile time only)
; SGPRBlocks: 0
; VGPRBlocks: 8
; NumSGPRsForWavesPerEU: 15
; NumVGPRsForWavesPerEU: 68
; Occupancy: 12
; WaveLimiterHint : 1
; COMPUTE_PGM_RSRC2:SCRATCH_EN: 0
; COMPUTE_PGM_RSRC2:USER_SGPR: 6
; COMPUTE_PGM_RSRC2:TRAP_HANDLER: 0
; COMPUTE_PGM_RSRC2:TGID_X_EN: 1
; COMPUTE_PGM_RSRC2:TGID_Y_EN: 0
; COMPUTE_PGM_RSRC2:TGID_Z_EN: 0
; COMPUTE_PGM_RSRC2:TIDIG_COMP_CNT: 0
	.section	.text._ZN9rocsparseL19gebsrmvn_1xn_kernelILj128ELj13ELj64E21rocsparse_complex_numIfEEEvi20rocsparse_direction_NS_24const_host_device_scalarIT2_EEPKiS8_PKS5_SA_S6_PS5_21rocsparse_index_base_b,"axG",@progbits,_ZN9rocsparseL19gebsrmvn_1xn_kernelILj128ELj13ELj64E21rocsparse_complex_numIfEEEvi20rocsparse_direction_NS_24const_host_device_scalarIT2_EEPKiS8_PKS5_SA_S6_PS5_21rocsparse_index_base_b,comdat
	.globl	_ZN9rocsparseL19gebsrmvn_1xn_kernelILj128ELj13ELj64E21rocsparse_complex_numIfEEEvi20rocsparse_direction_NS_24const_host_device_scalarIT2_EEPKiS8_PKS5_SA_S6_PS5_21rocsparse_index_base_b ; -- Begin function _ZN9rocsparseL19gebsrmvn_1xn_kernelILj128ELj13ELj64E21rocsparse_complex_numIfEEEvi20rocsparse_direction_NS_24const_host_device_scalarIT2_EEPKiS8_PKS5_SA_S6_PS5_21rocsparse_index_base_b
	.p2align	8
	.type	_ZN9rocsparseL19gebsrmvn_1xn_kernelILj128ELj13ELj64E21rocsparse_complex_numIfEEEvi20rocsparse_direction_NS_24const_host_device_scalarIT2_EEPKiS8_PKS5_SA_S6_PS5_21rocsparse_index_base_b,@function
_ZN9rocsparseL19gebsrmvn_1xn_kernelILj128ELj13ELj64E21rocsparse_complex_numIfEEEvi20rocsparse_direction_NS_24const_host_device_scalarIT2_EEPKiS8_PKS5_SA_S6_PS5_21rocsparse_index_base_b: ; @_ZN9rocsparseL19gebsrmvn_1xn_kernelILj128ELj13ELj64E21rocsparse_complex_numIfEEEvi20rocsparse_direction_NS_24const_host_device_scalarIT2_EEPKiS8_PKS5_SA_S6_PS5_21rocsparse_index_base_b
; %bb.0:
	s_clause 0x2
	s_load_dwordx2 s[8:9], s[4:5], 0x40
	s_load_dwordx2 s[0:1], s[4:5], 0x8
	;; [unrolled: 1-line block ×3, first 2 shown]
	s_add_u32 s7, s4, 8
	s_addc_u32 s10, s5, 0
	s_add_u32 s11, s4, 48
	s_addc_u32 s12, s5, 0
	s_waitcnt lgkmcnt(0)
	s_bitcmp1_b32 s9, 0
	s_cselect_b32 s0, s7, s0
	s_cselect_b32 s1, s10, s1
	v_mov_b32_e32 v1, s0
	v_mov_b32_e32 v2, s1
	s_cselect_b32 s0, s11, s2
	s_cselect_b32 s1, s12, s3
	flat_load_dwordx2 v[3:4], v[1:2]
	v_mov_b32_e32 v1, s0
	v_mov_b32_e32 v2, s1
	flat_load_dwordx2 v[1:2], v[1:2]
	s_waitcnt vmcnt(1) lgkmcnt(1)
	v_cmp_eq_f32_e32 vcc_lo, 0, v3
	v_cmp_eq_f32_e64 s0, 0, v4
	s_and_b32 s2, vcc_lo, s0
	s_mov_b32 s0, -1
	s_and_saveexec_b32 s1, s2
	s_cbranch_execz .LBB211_2
; %bb.1:
	s_waitcnt vmcnt(0) lgkmcnt(0)
	v_cmp_neq_f32_e32 vcc_lo, 1.0, v1
	v_cmp_neq_f32_e64 s0, 0, v2
	s_or_b32 s0, vcc_lo, s0
	s_orn2_b32 s0, s0, exec_lo
.LBB211_2:
	s_or_b32 exec_lo, exec_lo, s1
	s_and_saveexec_b32 s1, s0
	s_cbranch_execz .LBB211_13
; %bb.3:
	s_load_dword s0, s[4:5], 0x0
	v_lshrrev_b32_e32 v5, 6, v0
	v_lshl_or_b32 v5, s6, 1, v5
	s_waitcnt lgkmcnt(0)
	v_cmp_gt_i32_e32 vcc_lo, s0, v5
	s_and_b32 exec_lo, exec_lo, vcc_lo
	s_cbranch_execz .LBB211_13
; %bb.4:
	s_clause 0x1
	s_load_dwordx2 s[0:1], s[4:5], 0x10
	s_load_dwordx2 s[6:7], s[4:5], 0x38
	v_ashrrev_i32_e32 v6, 31, v5
	v_and_b32_e32 v0, 63, v0
	v_mov_b32_e32 v15, 0
	v_mov_b32_e32 v17, 0
	s_mov_b32 s9, exec_lo
	v_lshlrev_b64 v[7:8], 2, v[5:6]
	v_subrev_nc_u32_e32 v9, s8, v0
	s_waitcnt lgkmcnt(0)
	v_add_co_u32 v7, vcc_lo, s0, v7
	v_add_co_ci_u32_e64 v8, null, s1, v8, vcc_lo
	global_load_dwordx2 v[7:8], v[7:8], off
	s_waitcnt vmcnt(0)
	v_subrev_nc_u32_e32 v16, s8, v8
	v_add_nc_u32_e32 v7, v7, v9
	v_cmpx_lt_i32_e64 v7, v16
	s_cbranch_execz .LBB211_8
; %bb.5:
	s_clause 0x1
	s_load_dwordx4 s[0:3], s[4:5], 0x18
	s_load_dwordx2 s[4:5], s[4:5], 0x28
	v_mad_u64_u32 v[9:10], null, v7, 13, 12
	v_mov_b32_e32 v12, 0
	v_mov_b32_e32 v15, 0
	v_mov_b32_e32 v17, 0
	s_mov_b32 s10, 0
.LBB211_6:                              ; =>This Inner Loop Header: Depth=1
	v_ashrrev_i32_e32 v8, 31, v7
	v_add_nc_u32_e32 v11, -12, v9
	v_mov_b32_e32 v10, v12
	v_mov_b32_e32 v14, v12
	v_lshlrev_b64 v[20:21], 2, v[7:8]
	v_lshlrev_b64 v[18:19], 3, v[11:12]
	v_add_nc_u32_e32 v11, -11, v9
	v_lshlrev_b64 v[22:23], 3, v[9:10]
	v_add_nc_u32_e32 v7, 64, v7
	s_waitcnt lgkmcnt(0)
	v_add_co_u32 v20, vcc_lo, s0, v20
	v_add_co_ci_u32_e64 v21, null, s1, v21, vcc_lo
	v_lshlrev_b64 v[10:11], 3, v[11:12]
	v_add_co_u32 v18, vcc_lo, s2, v18
	global_load_dword v8, v[20:21], off
	v_add_co_ci_u32_e64 v19, null, s3, v19, vcc_lo
	v_add_co_u32 v22, vcc_lo, s2, v22
	v_add_co_ci_u32_e64 v23, null, s3, v23, vcc_lo
	v_add_co_u32 v20, vcc_lo, s2, v10
	v_add_co_ci_u32_e64 v21, null, s3, v11, vcc_lo
	s_waitcnt vmcnt(0)
	v_subrev_nc_u32_e32 v8, s8, v8
	v_mul_lo_u32 v13, v8, 13
	v_add_nc_u32_e32 v11, 1, v13
	v_lshlrev_b64 v[24:25], 3, v[13:14]
	v_lshlrev_b64 v[26:27], 3, v[11:12]
	v_add_nc_u32_e32 v11, -10, v9
	v_add_co_u32 v24, vcc_lo, s4, v24
	v_add_co_ci_u32_e64 v25, null, s5, v25, vcc_lo
	v_lshlrev_b64 v[28:29], 3, v[11:12]
	v_add_nc_u32_e32 v11, 2, v13
	v_add_co_u32 v26, vcc_lo, s4, v26
	v_add_co_ci_u32_e64 v27, null, s5, v27, vcc_lo
	v_lshlrev_b64 v[30:31], 3, v[11:12]
	v_add_nc_u32_e32 v11, -9, v9
	v_add_co_u32 v28, vcc_lo, s2, v28
	v_add_co_ci_u32_e64 v29, null, s3, v29, vcc_lo
	v_lshlrev_b64 v[32:33], 3, v[11:12]
	v_add_nc_u32_e32 v11, 3, v13
	v_add_co_u32 v30, vcc_lo, s4, v30
	v_add_co_ci_u32_e64 v31, null, s5, v31, vcc_lo
	;; [unrolled: 8-line block ×9, first 2 shown]
	v_lshlrev_b64 v[62:63], 3, v[11:12]
	v_add_co_u32 v60, vcc_lo, s2, v60
	v_add_co_ci_u32_e64 v61, null, s3, v61, vcc_lo
	v_add_nc_u32_e32 v11, -1, v9
	v_add_co_u32 v62, vcc_lo, s4, v62
	v_add_co_ci_u32_e64 v63, null, s5, v63, vcc_lo
	global_load_dwordx2 v[18:19], v[18:19], off
	global_load_dwordx2 v[24:25], v[24:25], off
	;; [unrolled: 1-line block ×22, first 2 shown]
	v_lshlrev_b64 v[64:65], 3, v[11:12]
	v_add_nc_u32_e32 v11, 11, v13
	v_add_nc_u32_e32 v9, 0x340, v9
	v_lshlrev_b64 v[66:67], 3, v[11:12]
	v_add_nc_u32_e32 v11, 12, v13
	v_add_co_u32 v13, vcc_lo, s2, v64
	v_add_co_ci_u32_e64 v14, null, s3, v65, vcc_lo
	v_add_co_u32 v64, vcc_lo, s4, v66
	v_add_co_ci_u32_e64 v65, null, s5, v67, vcc_lo
	v_lshlrev_b64 v[10:11], 3, v[11:12]
	v_add_co_u32 v10, vcc_lo, s4, v10
	v_add_co_ci_u32_e64 v11, null, s5, v11, vcc_lo
	v_cmp_ge_i32_e32 vcc_lo, v7, v16
	s_or_b32 s10, vcc_lo, s10
	s_waitcnt vmcnt(20)
	v_fmac_f32_e32 v17, v18, v24
	v_fmac_f32_e32 v15, v19, v24
	v_fma_f32 v8, -v19, v25, v17
	v_fmac_f32_e32 v15, v18, v25
	global_load_dwordx2 v[13:14], v[13:14], off
	global_load_dwordx2 v[17:18], v[64:65], off
	;; [unrolled: 1-line block ×4, first 2 shown]
	s_waitcnt vmcnt(22)
	v_fmac_f32_e32 v8, v20, v26
	v_fmac_f32_e32 v15, v21, v26
	v_fma_f32 v8, -v21, v27, v8
	v_fmac_f32_e32 v15, v20, v27
	s_waitcnt vmcnt(20)
	v_fmac_f32_e32 v8, v28, v30
	v_fmac_f32_e32 v15, v29, v30
	v_fma_f32 v8, -v29, v31, v8
	v_fmac_f32_e32 v15, v28, v31
	;; [unrolled: 5-line block ×12, first 2 shown]
	s_andn2_b32 exec_lo, exec_lo, s10
	s_cbranch_execnz .LBB211_6
; %bb.7:
	s_or_b32 exec_lo, exec_lo, s10
.LBB211_8:
	s_or_b32 exec_lo, exec_lo, s9
	v_mbcnt_lo_u32_b32 v7, -1, 0
	v_or_b32_e32 v8, 32, v7
	v_xor_b32_e32 v10, 16, v7
	v_xor_b32_e32 v12, 8, v7
	v_cmp_gt_i32_e32 vcc_lo, 32, v8
	v_cndmask_b32_e32 v8, v7, v8, vcc_lo
	v_cmp_gt_i32_e32 vcc_lo, 32, v10
	v_lshlrev_b32_e32 v8, 2, v8
	v_cndmask_b32_e32 v10, v7, v10, vcc_lo
	v_cmp_gt_i32_e32 vcc_lo, 32, v12
	ds_bpermute_b32 v9, v8, v17
	ds_bpermute_b32 v8, v8, v15
	v_lshlrev_b32_e32 v10, 2, v10
	v_cndmask_b32_e32 v12, v7, v12, vcc_lo
	v_lshlrev_b32_e32 v12, 2, v12
	s_waitcnt lgkmcnt(1)
	v_add_f32_e32 v9, v17, v9
	s_waitcnt lgkmcnt(0)
	v_add_f32_e32 v8, v15, v8
	ds_bpermute_b32 v11, v10, v9
	ds_bpermute_b32 v10, v10, v8
	s_waitcnt lgkmcnt(1)
	v_add_f32_e32 v9, v9, v11
	s_waitcnt lgkmcnt(0)
	v_add_f32_e32 v8, v8, v10
	ds_bpermute_b32 v10, v12, v9
	ds_bpermute_b32 v11, v12, v8
	v_xor_b32_e32 v12, 4, v7
	v_cmp_gt_i32_e32 vcc_lo, 32, v12
	v_cndmask_b32_e32 v12, v7, v12, vcc_lo
	v_lshlrev_b32_e32 v12, 2, v12
	s_waitcnt lgkmcnt(1)
	v_add_f32_e32 v9, v9, v10
	s_waitcnt lgkmcnt(0)
	v_add_f32_e32 v8, v8, v11
	ds_bpermute_b32 v10, v12, v9
	ds_bpermute_b32 v11, v12, v8
	v_xor_b32_e32 v12, 2, v7
	v_cmp_gt_i32_e32 vcc_lo, 32, v12
	v_cndmask_b32_e32 v12, v7, v12, vcc_lo
	v_lshlrev_b32_e32 v12, 2, v12
	s_waitcnt lgkmcnt(1)
	v_add_f32_e32 v9, v9, v10
	s_waitcnt lgkmcnt(0)
	v_add_f32_e32 v8, v8, v11
	ds_bpermute_b32 v10, v12, v9
	ds_bpermute_b32 v11, v12, v8
	v_xor_b32_e32 v12, 1, v7
	v_cmp_gt_i32_e32 vcc_lo, 32, v12
	v_cndmask_b32_e32 v7, v7, v12, vcc_lo
	v_cmp_eq_u32_e32 vcc_lo, 63, v0
	v_lshlrev_b32_e32 v12, 2, v7
	s_waitcnt lgkmcnt(1)
	v_add_f32_e32 v7, v9, v10
	s_waitcnt lgkmcnt(0)
	v_add_f32_e32 v9, v8, v11
	ds_bpermute_b32 v8, v12, v7
	ds_bpermute_b32 v10, v12, v9
	s_and_b32 exec_lo, exec_lo, vcc_lo
	s_cbranch_execz .LBB211_13
; %bb.9:
	s_waitcnt lgkmcnt(0)
	v_add_f32_e32 v0, v9, v10
	v_add_f32_e32 v9, v7, v8
	v_cmp_eq_f32_e32 vcc_lo, 0, v1
	v_cmp_eq_f32_e64 s0, 0, v2
	v_lshlrev_b64 v[5:6], 3, v[5:6]
	v_mul_f32_e64 v7, v0, -v4
	v_mul_f32_e32 v8, v3, v0
	s_and_b32 s0, vcc_lo, s0
	v_fmac_f32_e32 v7, v3, v9
	v_fmac_f32_e32 v8, v4, v9
	s_and_saveexec_b32 s1, s0
	s_xor_b32 s0, exec_lo, s1
	s_cbranch_execz .LBB211_11
; %bb.10:
	v_add_co_u32 v0, vcc_lo, s6, v5
	v_add_co_ci_u32_e64 v1, null, s7, v6, vcc_lo
                                        ; implicit-def: $vgpr5_vgpr6
	global_store_dwordx2 v[0:1], v[7:8], off
                                        ; implicit-def: $vgpr1_vgpr2
                                        ; implicit-def: $vgpr7
.LBB211_11:
	s_andn2_saveexec_b32 s0, s0
	s_cbranch_execz .LBB211_13
; %bb.12:
	v_add_co_u32 v3, vcc_lo, s6, v5
	v_add_co_ci_u32_e64 v4, null, s7, v6, vcc_lo
	global_load_dwordx2 v[5:6], v[3:4], off
	s_waitcnt vmcnt(0)
	v_fmac_f32_e32 v7, v1, v5
	v_fmac_f32_e32 v8, v2, v5
	v_fma_f32 v7, -v2, v6, v7
	v_fmac_f32_e32 v8, v1, v6
	global_store_dwordx2 v[3:4], v[7:8], off
.LBB211_13:
	s_endpgm
	.section	.rodata,"a",@progbits
	.p2align	6, 0x0
	.amdhsa_kernel _ZN9rocsparseL19gebsrmvn_1xn_kernelILj128ELj13ELj64E21rocsparse_complex_numIfEEEvi20rocsparse_direction_NS_24const_host_device_scalarIT2_EEPKiS8_PKS5_SA_S6_PS5_21rocsparse_index_base_b
		.amdhsa_group_segment_fixed_size 0
		.amdhsa_private_segment_fixed_size 0
		.amdhsa_kernarg_size 72
		.amdhsa_user_sgpr_count 6
		.amdhsa_user_sgpr_private_segment_buffer 1
		.amdhsa_user_sgpr_dispatch_ptr 0
		.amdhsa_user_sgpr_queue_ptr 0
		.amdhsa_user_sgpr_kernarg_segment_ptr 1
		.amdhsa_user_sgpr_dispatch_id 0
		.amdhsa_user_sgpr_flat_scratch_init 0
		.amdhsa_user_sgpr_private_segment_size 0
		.amdhsa_wavefront_size32 1
		.amdhsa_uses_dynamic_stack 0
		.amdhsa_system_sgpr_private_segment_wavefront_offset 0
		.amdhsa_system_sgpr_workgroup_id_x 1
		.amdhsa_system_sgpr_workgroup_id_y 0
		.amdhsa_system_sgpr_workgroup_id_z 0
		.amdhsa_system_sgpr_workgroup_info 0
		.amdhsa_system_vgpr_workitem_id 0
		.amdhsa_next_free_vgpr 68
		.amdhsa_next_free_sgpr 13
		.amdhsa_reserve_vcc 1
		.amdhsa_reserve_flat_scratch 0
		.amdhsa_float_round_mode_32 0
		.amdhsa_float_round_mode_16_64 0
		.amdhsa_float_denorm_mode_32 3
		.amdhsa_float_denorm_mode_16_64 3
		.amdhsa_dx10_clamp 1
		.amdhsa_ieee_mode 1
		.amdhsa_fp16_overflow 0
		.amdhsa_workgroup_processor_mode 1
		.amdhsa_memory_ordered 1
		.amdhsa_forward_progress 1
		.amdhsa_shared_vgpr_count 0
		.amdhsa_exception_fp_ieee_invalid_op 0
		.amdhsa_exception_fp_denorm_src 0
		.amdhsa_exception_fp_ieee_div_zero 0
		.amdhsa_exception_fp_ieee_overflow 0
		.amdhsa_exception_fp_ieee_underflow 0
		.amdhsa_exception_fp_ieee_inexact 0
		.amdhsa_exception_int_div_zero 0
	.end_amdhsa_kernel
	.section	.text._ZN9rocsparseL19gebsrmvn_1xn_kernelILj128ELj13ELj64E21rocsparse_complex_numIfEEEvi20rocsparse_direction_NS_24const_host_device_scalarIT2_EEPKiS8_PKS5_SA_S6_PS5_21rocsparse_index_base_b,"axG",@progbits,_ZN9rocsparseL19gebsrmvn_1xn_kernelILj128ELj13ELj64E21rocsparse_complex_numIfEEEvi20rocsparse_direction_NS_24const_host_device_scalarIT2_EEPKiS8_PKS5_SA_S6_PS5_21rocsparse_index_base_b,comdat
.Lfunc_end211:
	.size	_ZN9rocsparseL19gebsrmvn_1xn_kernelILj128ELj13ELj64E21rocsparse_complex_numIfEEEvi20rocsparse_direction_NS_24const_host_device_scalarIT2_EEPKiS8_PKS5_SA_S6_PS5_21rocsparse_index_base_b, .Lfunc_end211-_ZN9rocsparseL19gebsrmvn_1xn_kernelILj128ELj13ELj64E21rocsparse_complex_numIfEEEvi20rocsparse_direction_NS_24const_host_device_scalarIT2_EEPKiS8_PKS5_SA_S6_PS5_21rocsparse_index_base_b
                                        ; -- End function
	.set _ZN9rocsparseL19gebsrmvn_1xn_kernelILj128ELj13ELj64E21rocsparse_complex_numIfEEEvi20rocsparse_direction_NS_24const_host_device_scalarIT2_EEPKiS8_PKS5_SA_S6_PS5_21rocsparse_index_base_b.num_vgpr, 68
	.set _ZN9rocsparseL19gebsrmvn_1xn_kernelILj128ELj13ELj64E21rocsparse_complex_numIfEEEvi20rocsparse_direction_NS_24const_host_device_scalarIT2_EEPKiS8_PKS5_SA_S6_PS5_21rocsparse_index_base_b.num_agpr, 0
	.set _ZN9rocsparseL19gebsrmvn_1xn_kernelILj128ELj13ELj64E21rocsparse_complex_numIfEEEvi20rocsparse_direction_NS_24const_host_device_scalarIT2_EEPKiS8_PKS5_SA_S6_PS5_21rocsparse_index_base_b.numbered_sgpr, 13
	.set _ZN9rocsparseL19gebsrmvn_1xn_kernelILj128ELj13ELj64E21rocsparse_complex_numIfEEEvi20rocsparse_direction_NS_24const_host_device_scalarIT2_EEPKiS8_PKS5_SA_S6_PS5_21rocsparse_index_base_b.num_named_barrier, 0
	.set _ZN9rocsparseL19gebsrmvn_1xn_kernelILj128ELj13ELj64E21rocsparse_complex_numIfEEEvi20rocsparse_direction_NS_24const_host_device_scalarIT2_EEPKiS8_PKS5_SA_S6_PS5_21rocsparse_index_base_b.private_seg_size, 0
	.set _ZN9rocsparseL19gebsrmvn_1xn_kernelILj128ELj13ELj64E21rocsparse_complex_numIfEEEvi20rocsparse_direction_NS_24const_host_device_scalarIT2_EEPKiS8_PKS5_SA_S6_PS5_21rocsparse_index_base_b.uses_vcc, 1
	.set _ZN9rocsparseL19gebsrmvn_1xn_kernelILj128ELj13ELj64E21rocsparse_complex_numIfEEEvi20rocsparse_direction_NS_24const_host_device_scalarIT2_EEPKiS8_PKS5_SA_S6_PS5_21rocsparse_index_base_b.uses_flat_scratch, 0
	.set _ZN9rocsparseL19gebsrmvn_1xn_kernelILj128ELj13ELj64E21rocsparse_complex_numIfEEEvi20rocsparse_direction_NS_24const_host_device_scalarIT2_EEPKiS8_PKS5_SA_S6_PS5_21rocsparse_index_base_b.has_dyn_sized_stack, 0
	.set _ZN9rocsparseL19gebsrmvn_1xn_kernelILj128ELj13ELj64E21rocsparse_complex_numIfEEEvi20rocsparse_direction_NS_24const_host_device_scalarIT2_EEPKiS8_PKS5_SA_S6_PS5_21rocsparse_index_base_b.has_recursion, 0
	.set _ZN9rocsparseL19gebsrmvn_1xn_kernelILj128ELj13ELj64E21rocsparse_complex_numIfEEEvi20rocsparse_direction_NS_24const_host_device_scalarIT2_EEPKiS8_PKS5_SA_S6_PS5_21rocsparse_index_base_b.has_indirect_call, 0
	.section	.AMDGPU.csdata,"",@progbits
; Kernel info:
; codeLenInByte = 2144
; TotalNumSgprs: 15
; NumVgprs: 68
; ScratchSize: 0
; MemoryBound: 0
; FloatMode: 240
; IeeeMode: 1
; LDSByteSize: 0 bytes/workgroup (compile time only)
; SGPRBlocks: 0
; VGPRBlocks: 8
; NumSGPRsForWavesPerEU: 15
; NumVGPRsForWavesPerEU: 68
; Occupancy: 12
; WaveLimiterHint : 1
; COMPUTE_PGM_RSRC2:SCRATCH_EN: 0
; COMPUTE_PGM_RSRC2:USER_SGPR: 6
; COMPUTE_PGM_RSRC2:TRAP_HANDLER: 0
; COMPUTE_PGM_RSRC2:TGID_X_EN: 1
; COMPUTE_PGM_RSRC2:TGID_Y_EN: 0
; COMPUTE_PGM_RSRC2:TGID_Z_EN: 0
; COMPUTE_PGM_RSRC2:TIDIG_COMP_CNT: 0
	.section	.text._ZN9rocsparseL19gebsrmvn_1xn_kernelILj128ELj14ELj4E21rocsparse_complex_numIfEEEvi20rocsparse_direction_NS_24const_host_device_scalarIT2_EEPKiS8_PKS5_SA_S6_PS5_21rocsparse_index_base_b,"axG",@progbits,_ZN9rocsparseL19gebsrmvn_1xn_kernelILj128ELj14ELj4E21rocsparse_complex_numIfEEEvi20rocsparse_direction_NS_24const_host_device_scalarIT2_EEPKiS8_PKS5_SA_S6_PS5_21rocsparse_index_base_b,comdat
	.globl	_ZN9rocsparseL19gebsrmvn_1xn_kernelILj128ELj14ELj4E21rocsparse_complex_numIfEEEvi20rocsparse_direction_NS_24const_host_device_scalarIT2_EEPKiS8_PKS5_SA_S6_PS5_21rocsparse_index_base_b ; -- Begin function _ZN9rocsparseL19gebsrmvn_1xn_kernelILj128ELj14ELj4E21rocsparse_complex_numIfEEEvi20rocsparse_direction_NS_24const_host_device_scalarIT2_EEPKiS8_PKS5_SA_S6_PS5_21rocsparse_index_base_b
	.p2align	8
	.type	_ZN9rocsparseL19gebsrmvn_1xn_kernelILj128ELj14ELj4E21rocsparse_complex_numIfEEEvi20rocsparse_direction_NS_24const_host_device_scalarIT2_EEPKiS8_PKS5_SA_S6_PS5_21rocsparse_index_base_b,@function
_ZN9rocsparseL19gebsrmvn_1xn_kernelILj128ELj14ELj4E21rocsparse_complex_numIfEEEvi20rocsparse_direction_NS_24const_host_device_scalarIT2_EEPKiS8_PKS5_SA_S6_PS5_21rocsparse_index_base_b: ; @_ZN9rocsparseL19gebsrmvn_1xn_kernelILj128ELj14ELj4E21rocsparse_complex_numIfEEEvi20rocsparse_direction_NS_24const_host_device_scalarIT2_EEPKiS8_PKS5_SA_S6_PS5_21rocsparse_index_base_b
; %bb.0:
	s_clause 0x2
	s_load_dwordx2 s[8:9], s[4:5], 0x40
	s_load_dwordx2 s[0:1], s[4:5], 0x8
	;; [unrolled: 1-line block ×3, first 2 shown]
	s_add_u32 s7, s4, 8
	s_addc_u32 s10, s5, 0
	s_add_u32 s11, s4, 48
	s_addc_u32 s12, s5, 0
	s_waitcnt lgkmcnt(0)
	s_bitcmp1_b32 s9, 0
	s_cselect_b32 s0, s7, s0
	s_cselect_b32 s1, s10, s1
	v_mov_b32_e32 v1, s0
	v_mov_b32_e32 v2, s1
	s_cselect_b32 s0, s11, s2
	s_cselect_b32 s1, s12, s3
	flat_load_dwordx2 v[3:4], v[1:2]
	v_mov_b32_e32 v1, s0
	v_mov_b32_e32 v2, s1
	flat_load_dwordx2 v[1:2], v[1:2]
	s_waitcnt vmcnt(1) lgkmcnt(1)
	v_cmp_eq_f32_e32 vcc_lo, 0, v3
	v_cmp_eq_f32_e64 s0, 0, v4
	s_and_b32 s2, vcc_lo, s0
	s_mov_b32 s0, -1
	s_and_saveexec_b32 s1, s2
	s_cbranch_execz .LBB212_2
; %bb.1:
	s_waitcnt vmcnt(0) lgkmcnt(0)
	v_cmp_neq_f32_e32 vcc_lo, 1.0, v1
	v_cmp_neq_f32_e64 s0, 0, v2
	s_or_b32 s0, vcc_lo, s0
	s_orn2_b32 s0, s0, exec_lo
.LBB212_2:
	s_or_b32 exec_lo, exec_lo, s1
	s_and_saveexec_b32 s1, s0
	s_cbranch_execz .LBB212_13
; %bb.3:
	s_load_dword s0, s[4:5], 0x0
	v_lshrrev_b32_e32 v5, 2, v0
	v_lshl_or_b32 v5, s6, 5, v5
	s_waitcnt lgkmcnt(0)
	v_cmp_gt_i32_e32 vcc_lo, s0, v5
	s_and_b32 exec_lo, exec_lo, vcc_lo
	s_cbranch_execz .LBB212_13
; %bb.4:
	s_clause 0x1
	s_load_dwordx2 s[0:1], s[4:5], 0x10
	s_load_dwordx2 s[6:7], s[4:5], 0x38
	v_ashrrev_i32_e32 v6, 31, v5
	v_and_b32_e32 v0, 3, v0
	v_mov_b32_e32 v13, 0
	v_mov_b32_e32 v15, 0
	s_mov_b32 s9, exec_lo
	v_lshlrev_b64 v[7:8], 2, v[5:6]
	v_subrev_nc_u32_e32 v9, s8, v0
	s_waitcnt lgkmcnt(0)
	v_add_co_u32 v7, vcc_lo, s0, v7
	v_add_co_ci_u32_e64 v8, null, s1, v8, vcc_lo
	global_load_dwordx2 v[7:8], v[7:8], off
	s_waitcnt vmcnt(0)
	v_subrev_nc_u32_e32 v14, s8, v8
	v_add_nc_u32_e32 v7, v7, v9
	v_cmpx_lt_i32_e64 v7, v14
	s_cbranch_execz .LBB212_8
; %bb.5:
	s_clause 0x1
	s_load_dwordx4 s[0:3], s[4:5], 0x18
	s_load_dwordx2 s[4:5], s[4:5], 0x28
	v_mad_u64_u32 v[9:10], null, v7, 14, 13
	v_mov_b32_e32 v12, 0
	v_mov_b32_e32 v13, 0
	;; [unrolled: 1-line block ×3, first 2 shown]
	s_mov_b32 s10, 0
.LBB212_6:                              ; =>This Inner Loop Header: Depth=1
	v_ashrrev_i32_e32 v8, 31, v7
	v_mov_b32_e32 v41, v12
	v_lshlrev_b64 v[10:11], 2, v[7:8]
	v_add_nc_u32_e32 v7, 4, v7
	s_waitcnt lgkmcnt(0)
	v_add_co_u32 v10, vcc_lo, s0, v10
	v_add_co_ci_u32_e64 v11, null, s1, v11, vcc_lo
	global_load_dword v8, v[10:11], off
	v_add_nc_u32_e32 v11, -13, v9
	v_mov_b32_e32 v10, v12
	v_lshlrev_b64 v[16:17], 3, v[11:12]
	v_add_nc_u32_e32 v11, -11, v9
	v_lshlrev_b64 v[18:19], 3, v[11:12]
	v_add_co_u32 v16, vcc_lo, s2, v16
	v_add_co_ci_u32_e64 v17, null, s3, v17, vcc_lo
	v_add_co_u32 v20, vcc_lo, s2, v18
	v_add_co_ci_u32_e64 v21, null, s3, v19, vcc_lo
	s_clause 0x1
	global_load_dwordx4 v[16:19], v[16:17], off
	global_load_dwordx2 v[44:45], v[20:21], off
	s_waitcnt vmcnt(2)
	v_subrev_nc_u32_e32 v8, s8, v8
	v_mul_lo_u32 v40, v8, 14
	v_lshlrev_b64 v[20:21], 3, v[40:41]
	v_add_nc_u32_e32 v11, 2, v40
	v_lshlrev_b64 v[24:25], 3, v[11:12]
	v_add_co_u32 v20, vcc_lo, s4, v20
	v_add_co_ci_u32_e64 v21, null, s5, v21, vcc_lo
	v_add_nc_u32_e32 v11, -10, v9
	v_add_co_u32 v24, vcc_lo, s4, v24
	global_load_dwordx4 v[20:23], v[20:21], off
	v_add_co_ci_u32_e64 v25, null, s5, v25, vcc_lo
	v_lshlrev_b64 v[26:27], 3, v[11:12]
	v_add_nc_u32_e32 v11, -9, v9
	v_add_co_u32 v30, vcc_lo, s2, v26
	v_lshlrev_b64 v[28:29], 3, v[11:12]
	v_add_co_ci_u32_e64 v31, null, s3, v27, vcc_lo
	global_load_dwordx4 v[24:27], v[24:25], off
	v_add_nc_u32_e32 v11, 4, v40
	v_add_co_u32 v28, vcc_lo, s2, v28
	v_add_co_ci_u32_e64 v29, null, s3, v29, vcc_lo
	v_lshlrev_b64 v[32:33], 3, v[11:12]
	v_add_nc_u32_e32 v11, -8, v9
	s_clause 0x1
	global_load_dwordx2 v[46:47], v[30:31], off
	global_load_dwordx2 v[48:49], v[28:29], off
	v_add_co_u32 v30, vcc_lo, s4, v32
	v_lshlrev_b64 v[34:35], 3, v[11:12]
	v_add_nc_u32_e32 v11, -7, v9
	v_add_co_ci_u32_e64 v31, null, s5, v33, vcc_lo
	v_lshlrev_b64 v[32:33], 3, v[11:12]
	global_load_dwordx4 v[28:31], v[30:31], off
	v_add_nc_u32_e32 v11, 6, v40
	v_add_co_u32 v34, vcc_lo, s2, v34
	v_add_co_ci_u32_e64 v35, null, s3, v35, vcc_lo
	v_add_co_u32 v32, vcc_lo, s2, v32
	v_lshlrev_b64 v[36:37], 3, v[11:12]
	v_add_nc_u32_e32 v11, -6, v9
	v_add_co_ci_u32_e64 v33, null, s3, v33, vcc_lo
	s_clause 0x1
	global_load_dwordx2 v[50:51], v[34:35], off
	global_load_dwordx2 v[52:53], v[32:33], off
	v_lshlrev_b64 v[34:35], 3, v[11:12]
	v_add_co_u32 v32, vcc_lo, s4, v36
	v_add_nc_u32_e32 v11, -5, v9
	v_add_co_ci_u32_e64 v33, null, s5, v37, vcc_lo
	v_add_co_u32 v38, vcc_lo, s2, v34
	v_lshlrev_b64 v[36:37], 3, v[11:12]
	v_add_co_ci_u32_e64 v39, null, s3, v35, vcc_lo
	global_load_dwordx4 v[32:35], v[32:33], off
	v_add_nc_u32_e32 v11, 8, v40
	v_add_co_u32 v36, vcc_lo, s2, v36
	v_add_co_ci_u32_e64 v37, null, s3, v37, vcc_lo
	v_lshlrev_b64 v[41:42], 3, v[11:12]
	v_add_nc_u32_e32 v11, -4, v9
	s_clause 0x1
	global_load_dwordx2 v[54:55], v[38:39], off
	global_load_dwordx2 v[56:57], v[36:37], off
	v_lshlrev_b64 v[38:39], 3, v[11:12]
	v_add_nc_u32_e32 v11, -3, v9
	v_add_co_u32 v41, vcc_lo, s4, v41
	v_add_co_ci_u32_e64 v42, null, s5, v42, vcc_lo
	v_lshlrev_b64 v[58:59], 3, v[11:12]
	v_add_nc_u32_e32 v11, 10, v40
	v_add_co_u32 v60, vcc_lo, s2, v38
	v_add_co_ci_u32_e64 v61, null, s3, v39, vcc_lo
	global_load_dwordx4 v[36:39], v[41:42], off
	v_lshlrev_b64 v[41:42], 3, v[11:12]
	v_add_nc_u32_e32 v11, -2, v9
	v_add_co_u32 v58, vcc_lo, s2, v58
	global_load_dwordx2 v[60:61], v[60:61], off
	v_add_co_ci_u32_e64 v59, null, s3, v59, vcc_lo
	v_lshlrev_b64 v[62:63], 3, v[11:12]
	v_add_co_u32 v41, vcc_lo, s4, v41
	v_add_co_ci_u32_e64 v42, null, s5, v42, vcc_lo
	v_add_nc_u32_e32 v11, -1, v9
	v_add_co_u32 v62, vcc_lo, s2, v62
	v_add_co_ci_u32_e64 v63, null, s3, v63, vcc_lo
	v_lshlrev_b64 v[64:65], 3, v[11:12]
	v_add_nc_u32_e32 v11, 12, v40
	global_load_dwordx4 v[40:43], v[41:42], off
	s_waitcnt vmcnt(12)
	v_fmac_f32_e32 v15, v16, v20
	v_fmac_f32_e32 v13, v17, v20
	v_fma_f32 v8, -v17, v21, v15
	v_fmac_f32_e32 v13, v16, v21
	v_lshlrev_b64 v[15:16], 3, v[11:12]
	v_add_co_u32 v17, vcc_lo, s2, v64
	v_fmac_f32_e32 v8, v18, v22
	v_fmac_f32_e32 v13, v19, v22
	v_lshlrev_b64 v[10:11], 3, v[9:10]
	v_add_nc_u32_e32 v9, 56, v9
	v_fma_f32 v8, -v19, v23, v8
	s_clause 0x1
	global_load_dwordx2 v[19:20], v[62:63], off
	global_load_dwordx2 v[58:59], v[58:59], off
	v_fmac_f32_e32 v13, v18, v23
	v_add_co_ci_u32_e64 v18, null, s3, v65, vcc_lo
	v_add_co_u32 v15, vcc_lo, s4, v15
	v_add_co_ci_u32_e64 v16, null, s5, v16, vcc_lo
	global_load_dwordx2 v[21:22], v[17:18], off
	global_load_dwordx4 v[15:18], v[15:16], off
	v_add_co_u32 v10, vcc_lo, s2, v10
	v_add_co_ci_u32_e64 v11, null, s3, v11, vcc_lo
	s_waitcnt vmcnt(15)
	v_fmac_f32_e32 v8, v44, v24
	v_fmac_f32_e32 v13, v45, v24
	v_cmp_ge_i32_e32 vcc_lo, v7, v14
	global_load_dwordx2 v[10:11], v[10:11], off
	v_fma_f32 v8, -v45, v25, v8
	v_fmac_f32_e32 v13, v44, v25
	s_or_b32 s10, vcc_lo, s10
	s_waitcnt vmcnt(15)
	v_fmac_f32_e32 v8, v46, v26
	v_fmac_f32_e32 v13, v47, v26
	v_fma_f32 v8, -v47, v27, v8
	v_fmac_f32_e32 v13, v46, v27
	s_waitcnt vmcnt(13)
	v_fmac_f32_e32 v8, v48, v28
	v_fmac_f32_e32 v13, v49, v28
	v_fma_f32 v8, -v49, v29, v8
	v_fmac_f32_e32 v13, v48, v29
	;; [unrolled: 5-line block ×8, first 2 shown]
	v_fmac_f32_e32 v8, v19, v42
	v_fmac_f32_e32 v13, v20, v42
	v_fma_f32 v8, -v20, v43, v8
	v_fmac_f32_e32 v13, v19, v43
	s_waitcnt vmcnt(1)
	v_fmac_f32_e32 v8, v21, v15
	v_fmac_f32_e32 v13, v22, v15
	v_fma_f32 v8, -v22, v16, v8
	v_fmac_f32_e32 v13, v21, v16
	s_waitcnt vmcnt(0)
	v_fmac_f32_e32 v8, v10, v17
	v_fmac_f32_e32 v13, v11, v17
	v_fma_f32 v15, -v11, v18, v8
	v_fmac_f32_e32 v13, v10, v18
	s_andn2_b32 exec_lo, exec_lo, s10
	s_cbranch_execnz .LBB212_6
; %bb.7:
	s_or_b32 exec_lo, exec_lo, s10
.LBB212_8:
	s_or_b32 exec_lo, exec_lo, s9
	v_mbcnt_lo_u32_b32 v7, -1, 0
	v_xor_b32_e32 v8, 2, v7
	v_xor_b32_e32 v10, 1, v7
	v_cmp_gt_i32_e32 vcc_lo, 32, v8
	v_cndmask_b32_e32 v8, v7, v8, vcc_lo
	v_cmp_gt_i32_e32 vcc_lo, 32, v10
	v_lshlrev_b32_e32 v8, 2, v8
	v_cndmask_b32_e32 v7, v7, v10, vcc_lo
	v_cmp_eq_u32_e32 vcc_lo, 3, v0
	ds_bpermute_b32 v9, v8, v15
	ds_bpermute_b32 v8, v8, v13
	v_lshlrev_b32_e32 v10, 2, v7
	s_waitcnt lgkmcnt(1)
	v_add_f32_e32 v7, v15, v9
	s_waitcnt lgkmcnt(0)
	v_add_f32_e32 v9, v13, v8
	ds_bpermute_b32 v8, v10, v7
	ds_bpermute_b32 v10, v10, v9
	s_and_b32 exec_lo, exec_lo, vcc_lo
	s_cbranch_execz .LBB212_13
; %bb.9:
	s_waitcnt lgkmcnt(0)
	v_add_f32_e32 v0, v9, v10
	v_add_f32_e32 v9, v7, v8
	v_cmp_eq_f32_e32 vcc_lo, 0, v1
	v_cmp_eq_f32_e64 s0, 0, v2
	v_lshlrev_b64 v[5:6], 3, v[5:6]
	v_mul_f32_e64 v7, v0, -v4
	v_mul_f32_e32 v8, v3, v0
	s_and_b32 s0, vcc_lo, s0
	v_fmac_f32_e32 v7, v3, v9
	v_fmac_f32_e32 v8, v4, v9
	s_and_saveexec_b32 s1, s0
	s_xor_b32 s0, exec_lo, s1
	s_cbranch_execz .LBB212_11
; %bb.10:
	v_add_co_u32 v0, vcc_lo, s6, v5
	v_add_co_ci_u32_e64 v1, null, s7, v6, vcc_lo
                                        ; implicit-def: $vgpr5_vgpr6
	global_store_dwordx2 v[0:1], v[7:8], off
                                        ; implicit-def: $vgpr1_vgpr2
                                        ; implicit-def: $vgpr7
.LBB212_11:
	s_andn2_saveexec_b32 s0, s0
	s_cbranch_execz .LBB212_13
; %bb.12:
	v_add_co_u32 v3, vcc_lo, s6, v5
	v_add_co_ci_u32_e64 v4, null, s7, v6, vcc_lo
	global_load_dwordx2 v[5:6], v[3:4], off
	s_waitcnt vmcnt(0)
	v_fmac_f32_e32 v7, v1, v5
	v_fmac_f32_e32 v8, v2, v5
	v_fma_f32 v7, -v2, v6, v7
	v_fmac_f32_e32 v8, v1, v6
	global_store_dwordx2 v[3:4], v[7:8], off
.LBB212_13:
	s_endpgm
	.section	.rodata,"a",@progbits
	.p2align	6, 0x0
	.amdhsa_kernel _ZN9rocsparseL19gebsrmvn_1xn_kernelILj128ELj14ELj4E21rocsparse_complex_numIfEEEvi20rocsparse_direction_NS_24const_host_device_scalarIT2_EEPKiS8_PKS5_SA_S6_PS5_21rocsparse_index_base_b
		.amdhsa_group_segment_fixed_size 0
		.amdhsa_private_segment_fixed_size 0
		.amdhsa_kernarg_size 72
		.amdhsa_user_sgpr_count 6
		.amdhsa_user_sgpr_private_segment_buffer 1
		.amdhsa_user_sgpr_dispatch_ptr 0
		.amdhsa_user_sgpr_queue_ptr 0
		.amdhsa_user_sgpr_kernarg_segment_ptr 1
		.amdhsa_user_sgpr_dispatch_id 0
		.amdhsa_user_sgpr_flat_scratch_init 0
		.amdhsa_user_sgpr_private_segment_size 0
		.amdhsa_wavefront_size32 1
		.amdhsa_uses_dynamic_stack 0
		.amdhsa_system_sgpr_private_segment_wavefront_offset 0
		.amdhsa_system_sgpr_workgroup_id_x 1
		.amdhsa_system_sgpr_workgroup_id_y 0
		.amdhsa_system_sgpr_workgroup_id_z 0
		.amdhsa_system_sgpr_workgroup_info 0
		.amdhsa_system_vgpr_workitem_id 0
		.amdhsa_next_free_vgpr 66
		.amdhsa_next_free_sgpr 13
		.amdhsa_reserve_vcc 1
		.amdhsa_reserve_flat_scratch 0
		.amdhsa_float_round_mode_32 0
		.amdhsa_float_round_mode_16_64 0
		.amdhsa_float_denorm_mode_32 3
		.amdhsa_float_denorm_mode_16_64 3
		.amdhsa_dx10_clamp 1
		.amdhsa_ieee_mode 1
		.amdhsa_fp16_overflow 0
		.amdhsa_workgroup_processor_mode 1
		.amdhsa_memory_ordered 1
		.amdhsa_forward_progress 1
		.amdhsa_shared_vgpr_count 0
		.amdhsa_exception_fp_ieee_invalid_op 0
		.amdhsa_exception_fp_denorm_src 0
		.amdhsa_exception_fp_ieee_div_zero 0
		.amdhsa_exception_fp_ieee_overflow 0
		.amdhsa_exception_fp_ieee_underflow 0
		.amdhsa_exception_fp_ieee_inexact 0
		.amdhsa_exception_int_div_zero 0
	.end_amdhsa_kernel
	.section	.text._ZN9rocsparseL19gebsrmvn_1xn_kernelILj128ELj14ELj4E21rocsparse_complex_numIfEEEvi20rocsparse_direction_NS_24const_host_device_scalarIT2_EEPKiS8_PKS5_SA_S6_PS5_21rocsparse_index_base_b,"axG",@progbits,_ZN9rocsparseL19gebsrmvn_1xn_kernelILj128ELj14ELj4E21rocsparse_complex_numIfEEEvi20rocsparse_direction_NS_24const_host_device_scalarIT2_EEPKiS8_PKS5_SA_S6_PS5_21rocsparse_index_base_b,comdat
.Lfunc_end212:
	.size	_ZN9rocsparseL19gebsrmvn_1xn_kernelILj128ELj14ELj4E21rocsparse_complex_numIfEEEvi20rocsparse_direction_NS_24const_host_device_scalarIT2_EEPKiS8_PKS5_SA_S6_PS5_21rocsparse_index_base_b, .Lfunc_end212-_ZN9rocsparseL19gebsrmvn_1xn_kernelILj128ELj14ELj4E21rocsparse_complex_numIfEEEvi20rocsparse_direction_NS_24const_host_device_scalarIT2_EEPKiS8_PKS5_SA_S6_PS5_21rocsparse_index_base_b
                                        ; -- End function
	.set _ZN9rocsparseL19gebsrmvn_1xn_kernelILj128ELj14ELj4E21rocsparse_complex_numIfEEEvi20rocsparse_direction_NS_24const_host_device_scalarIT2_EEPKiS8_PKS5_SA_S6_PS5_21rocsparse_index_base_b.num_vgpr, 66
	.set _ZN9rocsparseL19gebsrmvn_1xn_kernelILj128ELj14ELj4E21rocsparse_complex_numIfEEEvi20rocsparse_direction_NS_24const_host_device_scalarIT2_EEPKiS8_PKS5_SA_S6_PS5_21rocsparse_index_base_b.num_agpr, 0
	.set _ZN9rocsparseL19gebsrmvn_1xn_kernelILj128ELj14ELj4E21rocsparse_complex_numIfEEEvi20rocsparse_direction_NS_24const_host_device_scalarIT2_EEPKiS8_PKS5_SA_S6_PS5_21rocsparse_index_base_b.numbered_sgpr, 13
	.set _ZN9rocsparseL19gebsrmvn_1xn_kernelILj128ELj14ELj4E21rocsparse_complex_numIfEEEvi20rocsparse_direction_NS_24const_host_device_scalarIT2_EEPKiS8_PKS5_SA_S6_PS5_21rocsparse_index_base_b.num_named_barrier, 0
	.set _ZN9rocsparseL19gebsrmvn_1xn_kernelILj128ELj14ELj4E21rocsparse_complex_numIfEEEvi20rocsparse_direction_NS_24const_host_device_scalarIT2_EEPKiS8_PKS5_SA_S6_PS5_21rocsparse_index_base_b.private_seg_size, 0
	.set _ZN9rocsparseL19gebsrmvn_1xn_kernelILj128ELj14ELj4E21rocsparse_complex_numIfEEEvi20rocsparse_direction_NS_24const_host_device_scalarIT2_EEPKiS8_PKS5_SA_S6_PS5_21rocsparse_index_base_b.uses_vcc, 1
	.set _ZN9rocsparseL19gebsrmvn_1xn_kernelILj128ELj14ELj4E21rocsparse_complex_numIfEEEvi20rocsparse_direction_NS_24const_host_device_scalarIT2_EEPKiS8_PKS5_SA_S6_PS5_21rocsparse_index_base_b.uses_flat_scratch, 0
	.set _ZN9rocsparseL19gebsrmvn_1xn_kernelILj128ELj14ELj4E21rocsparse_complex_numIfEEEvi20rocsparse_direction_NS_24const_host_device_scalarIT2_EEPKiS8_PKS5_SA_S6_PS5_21rocsparse_index_base_b.has_dyn_sized_stack, 0
	.set _ZN9rocsparseL19gebsrmvn_1xn_kernelILj128ELj14ELj4E21rocsparse_complex_numIfEEEvi20rocsparse_direction_NS_24const_host_device_scalarIT2_EEPKiS8_PKS5_SA_S6_PS5_21rocsparse_index_base_b.has_recursion, 0
	.set _ZN9rocsparseL19gebsrmvn_1xn_kernelILj128ELj14ELj4E21rocsparse_complex_numIfEEEvi20rocsparse_direction_NS_24const_host_device_scalarIT2_EEPKiS8_PKS5_SA_S6_PS5_21rocsparse_index_base_b.has_indirect_call, 0
	.section	.AMDGPU.csdata,"",@progbits
; Kernel info:
; codeLenInByte = 1768
; TotalNumSgprs: 15
; NumVgprs: 66
; ScratchSize: 0
; MemoryBound: 0
; FloatMode: 240
; IeeeMode: 1
; LDSByteSize: 0 bytes/workgroup (compile time only)
; SGPRBlocks: 0
; VGPRBlocks: 8
; NumSGPRsForWavesPerEU: 15
; NumVGPRsForWavesPerEU: 66
; Occupancy: 12
; WaveLimiterHint : 1
; COMPUTE_PGM_RSRC2:SCRATCH_EN: 0
; COMPUTE_PGM_RSRC2:USER_SGPR: 6
; COMPUTE_PGM_RSRC2:TRAP_HANDLER: 0
; COMPUTE_PGM_RSRC2:TGID_X_EN: 1
; COMPUTE_PGM_RSRC2:TGID_Y_EN: 0
; COMPUTE_PGM_RSRC2:TGID_Z_EN: 0
; COMPUTE_PGM_RSRC2:TIDIG_COMP_CNT: 0
	.section	.text._ZN9rocsparseL19gebsrmvn_1xn_kernelILj128ELj14ELj8E21rocsparse_complex_numIfEEEvi20rocsparse_direction_NS_24const_host_device_scalarIT2_EEPKiS8_PKS5_SA_S6_PS5_21rocsparse_index_base_b,"axG",@progbits,_ZN9rocsparseL19gebsrmvn_1xn_kernelILj128ELj14ELj8E21rocsparse_complex_numIfEEEvi20rocsparse_direction_NS_24const_host_device_scalarIT2_EEPKiS8_PKS5_SA_S6_PS5_21rocsparse_index_base_b,comdat
	.globl	_ZN9rocsparseL19gebsrmvn_1xn_kernelILj128ELj14ELj8E21rocsparse_complex_numIfEEEvi20rocsparse_direction_NS_24const_host_device_scalarIT2_EEPKiS8_PKS5_SA_S6_PS5_21rocsparse_index_base_b ; -- Begin function _ZN9rocsparseL19gebsrmvn_1xn_kernelILj128ELj14ELj8E21rocsparse_complex_numIfEEEvi20rocsparse_direction_NS_24const_host_device_scalarIT2_EEPKiS8_PKS5_SA_S6_PS5_21rocsparse_index_base_b
	.p2align	8
	.type	_ZN9rocsparseL19gebsrmvn_1xn_kernelILj128ELj14ELj8E21rocsparse_complex_numIfEEEvi20rocsparse_direction_NS_24const_host_device_scalarIT2_EEPKiS8_PKS5_SA_S6_PS5_21rocsparse_index_base_b,@function
_ZN9rocsparseL19gebsrmvn_1xn_kernelILj128ELj14ELj8E21rocsparse_complex_numIfEEEvi20rocsparse_direction_NS_24const_host_device_scalarIT2_EEPKiS8_PKS5_SA_S6_PS5_21rocsparse_index_base_b: ; @_ZN9rocsparseL19gebsrmvn_1xn_kernelILj128ELj14ELj8E21rocsparse_complex_numIfEEEvi20rocsparse_direction_NS_24const_host_device_scalarIT2_EEPKiS8_PKS5_SA_S6_PS5_21rocsparse_index_base_b
; %bb.0:
	s_clause 0x2
	s_load_dwordx2 s[8:9], s[4:5], 0x40
	s_load_dwordx2 s[0:1], s[4:5], 0x8
	;; [unrolled: 1-line block ×3, first 2 shown]
	s_add_u32 s7, s4, 8
	s_addc_u32 s10, s5, 0
	s_add_u32 s11, s4, 48
	s_addc_u32 s12, s5, 0
	s_waitcnt lgkmcnt(0)
	s_bitcmp1_b32 s9, 0
	s_cselect_b32 s0, s7, s0
	s_cselect_b32 s1, s10, s1
	v_mov_b32_e32 v1, s0
	v_mov_b32_e32 v2, s1
	s_cselect_b32 s0, s11, s2
	s_cselect_b32 s1, s12, s3
	flat_load_dwordx2 v[3:4], v[1:2]
	v_mov_b32_e32 v1, s0
	v_mov_b32_e32 v2, s1
	flat_load_dwordx2 v[1:2], v[1:2]
	s_waitcnt vmcnt(1) lgkmcnt(1)
	v_cmp_eq_f32_e32 vcc_lo, 0, v3
	v_cmp_eq_f32_e64 s0, 0, v4
	s_and_b32 s2, vcc_lo, s0
	s_mov_b32 s0, -1
	s_and_saveexec_b32 s1, s2
	s_cbranch_execz .LBB213_2
; %bb.1:
	s_waitcnt vmcnt(0) lgkmcnt(0)
	v_cmp_neq_f32_e32 vcc_lo, 1.0, v1
	v_cmp_neq_f32_e64 s0, 0, v2
	s_or_b32 s0, vcc_lo, s0
	s_orn2_b32 s0, s0, exec_lo
.LBB213_2:
	s_or_b32 exec_lo, exec_lo, s1
	s_and_saveexec_b32 s1, s0
	s_cbranch_execz .LBB213_13
; %bb.3:
	s_load_dword s0, s[4:5], 0x0
	v_lshrrev_b32_e32 v5, 3, v0
	v_lshl_or_b32 v5, s6, 4, v5
	s_waitcnt lgkmcnt(0)
	v_cmp_gt_i32_e32 vcc_lo, s0, v5
	s_and_b32 exec_lo, exec_lo, vcc_lo
	s_cbranch_execz .LBB213_13
; %bb.4:
	s_clause 0x1
	s_load_dwordx2 s[0:1], s[4:5], 0x10
	s_load_dwordx2 s[6:7], s[4:5], 0x38
	v_ashrrev_i32_e32 v6, 31, v5
	v_and_b32_e32 v0, 7, v0
	v_mov_b32_e32 v13, 0
	v_mov_b32_e32 v15, 0
	s_mov_b32 s9, exec_lo
	v_lshlrev_b64 v[7:8], 2, v[5:6]
	v_subrev_nc_u32_e32 v9, s8, v0
	s_waitcnt lgkmcnt(0)
	v_add_co_u32 v7, vcc_lo, s0, v7
	v_add_co_ci_u32_e64 v8, null, s1, v8, vcc_lo
	global_load_dwordx2 v[7:8], v[7:8], off
	s_waitcnt vmcnt(0)
	v_subrev_nc_u32_e32 v14, s8, v8
	v_add_nc_u32_e32 v7, v7, v9
	v_cmpx_lt_i32_e64 v7, v14
	s_cbranch_execz .LBB213_8
; %bb.5:
	s_clause 0x1
	s_load_dwordx4 s[0:3], s[4:5], 0x18
	s_load_dwordx2 s[4:5], s[4:5], 0x28
	v_mad_u64_u32 v[9:10], null, v7, 14, 13
	v_mov_b32_e32 v12, 0
	v_mov_b32_e32 v13, 0
	v_mov_b32_e32 v15, 0
	s_mov_b32 s10, 0
.LBB213_6:                              ; =>This Inner Loop Header: Depth=1
	v_ashrrev_i32_e32 v8, 31, v7
	v_mov_b32_e32 v41, v12
	v_lshlrev_b64 v[10:11], 2, v[7:8]
	v_add_nc_u32_e32 v7, 8, v7
	s_waitcnt lgkmcnt(0)
	v_add_co_u32 v10, vcc_lo, s0, v10
	v_add_co_ci_u32_e64 v11, null, s1, v11, vcc_lo
	global_load_dword v8, v[10:11], off
	v_add_nc_u32_e32 v11, -13, v9
	v_mov_b32_e32 v10, v12
	v_lshlrev_b64 v[16:17], 3, v[11:12]
	v_add_nc_u32_e32 v11, -11, v9
	v_lshlrev_b64 v[18:19], 3, v[11:12]
	v_add_co_u32 v16, vcc_lo, s2, v16
	v_add_co_ci_u32_e64 v17, null, s3, v17, vcc_lo
	v_add_co_u32 v20, vcc_lo, s2, v18
	v_add_co_ci_u32_e64 v21, null, s3, v19, vcc_lo
	s_clause 0x1
	global_load_dwordx4 v[16:19], v[16:17], off
	global_load_dwordx2 v[44:45], v[20:21], off
	s_waitcnt vmcnt(2)
	v_subrev_nc_u32_e32 v8, s8, v8
	v_mul_lo_u32 v40, v8, 14
	v_lshlrev_b64 v[20:21], 3, v[40:41]
	v_add_nc_u32_e32 v11, 2, v40
	v_lshlrev_b64 v[24:25], 3, v[11:12]
	v_add_co_u32 v20, vcc_lo, s4, v20
	v_add_co_ci_u32_e64 v21, null, s5, v21, vcc_lo
	v_add_nc_u32_e32 v11, -10, v9
	v_add_co_u32 v24, vcc_lo, s4, v24
	global_load_dwordx4 v[20:23], v[20:21], off
	v_add_co_ci_u32_e64 v25, null, s5, v25, vcc_lo
	v_lshlrev_b64 v[26:27], 3, v[11:12]
	v_add_nc_u32_e32 v11, -9, v9
	v_add_co_u32 v30, vcc_lo, s2, v26
	v_lshlrev_b64 v[28:29], 3, v[11:12]
	v_add_co_ci_u32_e64 v31, null, s3, v27, vcc_lo
	global_load_dwordx4 v[24:27], v[24:25], off
	v_add_nc_u32_e32 v11, 4, v40
	v_add_co_u32 v28, vcc_lo, s2, v28
	v_add_co_ci_u32_e64 v29, null, s3, v29, vcc_lo
	v_lshlrev_b64 v[32:33], 3, v[11:12]
	v_add_nc_u32_e32 v11, -8, v9
	s_clause 0x1
	global_load_dwordx2 v[46:47], v[30:31], off
	global_load_dwordx2 v[48:49], v[28:29], off
	v_add_co_u32 v30, vcc_lo, s4, v32
	v_lshlrev_b64 v[34:35], 3, v[11:12]
	v_add_nc_u32_e32 v11, -7, v9
	v_add_co_ci_u32_e64 v31, null, s5, v33, vcc_lo
	v_lshlrev_b64 v[32:33], 3, v[11:12]
	global_load_dwordx4 v[28:31], v[30:31], off
	v_add_nc_u32_e32 v11, 6, v40
	v_add_co_u32 v34, vcc_lo, s2, v34
	v_add_co_ci_u32_e64 v35, null, s3, v35, vcc_lo
	v_add_co_u32 v32, vcc_lo, s2, v32
	v_lshlrev_b64 v[36:37], 3, v[11:12]
	v_add_nc_u32_e32 v11, -6, v9
	v_add_co_ci_u32_e64 v33, null, s3, v33, vcc_lo
	s_clause 0x1
	global_load_dwordx2 v[50:51], v[34:35], off
	global_load_dwordx2 v[52:53], v[32:33], off
	v_lshlrev_b64 v[34:35], 3, v[11:12]
	v_add_co_u32 v32, vcc_lo, s4, v36
	v_add_nc_u32_e32 v11, -5, v9
	v_add_co_ci_u32_e64 v33, null, s5, v37, vcc_lo
	v_add_co_u32 v38, vcc_lo, s2, v34
	v_lshlrev_b64 v[36:37], 3, v[11:12]
	v_add_co_ci_u32_e64 v39, null, s3, v35, vcc_lo
	global_load_dwordx4 v[32:35], v[32:33], off
	v_add_nc_u32_e32 v11, 8, v40
	v_add_co_u32 v36, vcc_lo, s2, v36
	v_add_co_ci_u32_e64 v37, null, s3, v37, vcc_lo
	v_lshlrev_b64 v[41:42], 3, v[11:12]
	v_add_nc_u32_e32 v11, -4, v9
	s_clause 0x1
	global_load_dwordx2 v[54:55], v[38:39], off
	global_load_dwordx2 v[56:57], v[36:37], off
	v_lshlrev_b64 v[38:39], 3, v[11:12]
	v_add_nc_u32_e32 v11, -3, v9
	v_add_co_u32 v41, vcc_lo, s4, v41
	v_add_co_ci_u32_e64 v42, null, s5, v42, vcc_lo
	v_lshlrev_b64 v[58:59], 3, v[11:12]
	v_add_nc_u32_e32 v11, 10, v40
	v_add_co_u32 v60, vcc_lo, s2, v38
	v_add_co_ci_u32_e64 v61, null, s3, v39, vcc_lo
	global_load_dwordx4 v[36:39], v[41:42], off
	v_lshlrev_b64 v[41:42], 3, v[11:12]
	v_add_nc_u32_e32 v11, -2, v9
	v_add_co_u32 v58, vcc_lo, s2, v58
	global_load_dwordx2 v[60:61], v[60:61], off
	v_add_co_ci_u32_e64 v59, null, s3, v59, vcc_lo
	v_lshlrev_b64 v[62:63], 3, v[11:12]
	v_add_co_u32 v41, vcc_lo, s4, v41
	v_add_co_ci_u32_e64 v42, null, s5, v42, vcc_lo
	v_add_nc_u32_e32 v11, -1, v9
	v_add_co_u32 v62, vcc_lo, s2, v62
	v_add_co_ci_u32_e64 v63, null, s3, v63, vcc_lo
	v_lshlrev_b64 v[64:65], 3, v[11:12]
	v_add_nc_u32_e32 v11, 12, v40
	global_load_dwordx4 v[40:43], v[41:42], off
	s_waitcnt vmcnt(12)
	v_fmac_f32_e32 v15, v16, v20
	v_fmac_f32_e32 v13, v17, v20
	v_fma_f32 v8, -v17, v21, v15
	v_fmac_f32_e32 v13, v16, v21
	v_lshlrev_b64 v[15:16], 3, v[11:12]
	v_add_co_u32 v17, vcc_lo, s2, v64
	v_fmac_f32_e32 v8, v18, v22
	v_fmac_f32_e32 v13, v19, v22
	v_lshlrev_b64 v[10:11], 3, v[9:10]
	v_add_nc_u32_e32 v9, 0x70, v9
	v_fma_f32 v8, -v19, v23, v8
	s_clause 0x1
	global_load_dwordx2 v[19:20], v[62:63], off
	global_load_dwordx2 v[58:59], v[58:59], off
	v_fmac_f32_e32 v13, v18, v23
	v_add_co_ci_u32_e64 v18, null, s3, v65, vcc_lo
	v_add_co_u32 v15, vcc_lo, s4, v15
	v_add_co_ci_u32_e64 v16, null, s5, v16, vcc_lo
	global_load_dwordx2 v[21:22], v[17:18], off
	global_load_dwordx4 v[15:18], v[15:16], off
	v_add_co_u32 v10, vcc_lo, s2, v10
	v_add_co_ci_u32_e64 v11, null, s3, v11, vcc_lo
	s_waitcnt vmcnt(15)
	v_fmac_f32_e32 v8, v44, v24
	v_fmac_f32_e32 v13, v45, v24
	v_cmp_ge_i32_e32 vcc_lo, v7, v14
	global_load_dwordx2 v[10:11], v[10:11], off
	v_fma_f32 v8, -v45, v25, v8
	v_fmac_f32_e32 v13, v44, v25
	s_or_b32 s10, vcc_lo, s10
	s_waitcnt vmcnt(15)
	v_fmac_f32_e32 v8, v46, v26
	v_fmac_f32_e32 v13, v47, v26
	v_fma_f32 v8, -v47, v27, v8
	v_fmac_f32_e32 v13, v46, v27
	s_waitcnt vmcnt(13)
	v_fmac_f32_e32 v8, v48, v28
	v_fmac_f32_e32 v13, v49, v28
	v_fma_f32 v8, -v49, v29, v8
	v_fmac_f32_e32 v13, v48, v29
	;; [unrolled: 5-line block ×8, first 2 shown]
	v_fmac_f32_e32 v8, v19, v42
	v_fmac_f32_e32 v13, v20, v42
	v_fma_f32 v8, -v20, v43, v8
	v_fmac_f32_e32 v13, v19, v43
	s_waitcnt vmcnt(1)
	v_fmac_f32_e32 v8, v21, v15
	v_fmac_f32_e32 v13, v22, v15
	v_fma_f32 v8, -v22, v16, v8
	v_fmac_f32_e32 v13, v21, v16
	s_waitcnt vmcnt(0)
	v_fmac_f32_e32 v8, v10, v17
	v_fmac_f32_e32 v13, v11, v17
	v_fma_f32 v15, -v11, v18, v8
	v_fmac_f32_e32 v13, v10, v18
	s_andn2_b32 exec_lo, exec_lo, s10
	s_cbranch_execnz .LBB213_6
; %bb.7:
	s_or_b32 exec_lo, exec_lo, s10
.LBB213_8:
	s_or_b32 exec_lo, exec_lo, s9
	v_mbcnt_lo_u32_b32 v7, -1, 0
	v_xor_b32_e32 v8, 4, v7
	v_xor_b32_e32 v10, 2, v7
	;; [unrolled: 1-line block ×3, first 2 shown]
	v_cmp_gt_i32_e32 vcc_lo, 32, v8
	v_cndmask_b32_e32 v8, v7, v8, vcc_lo
	v_cmp_gt_i32_e32 vcc_lo, 32, v10
	v_lshlrev_b32_e32 v8, 2, v8
	v_cndmask_b32_e32 v10, v7, v10, vcc_lo
	v_cmp_gt_i32_e32 vcc_lo, 32, v12
	ds_bpermute_b32 v9, v8, v15
	ds_bpermute_b32 v8, v8, v13
	v_lshlrev_b32_e32 v10, 2, v10
	v_cndmask_b32_e32 v7, v7, v12, vcc_lo
	v_cmp_eq_u32_e32 vcc_lo, 7, v0
	v_lshlrev_b32_e32 v12, 2, v7
	s_waitcnt lgkmcnt(1)
	v_add_f32_e32 v9, v15, v9
	s_waitcnt lgkmcnt(0)
	v_add_f32_e32 v8, v13, v8
	ds_bpermute_b32 v11, v10, v9
	ds_bpermute_b32 v10, v10, v8
	s_waitcnt lgkmcnt(1)
	v_add_f32_e32 v7, v9, v11
	s_waitcnt lgkmcnt(0)
	v_add_f32_e32 v9, v8, v10
	ds_bpermute_b32 v8, v12, v7
	ds_bpermute_b32 v10, v12, v9
	s_and_b32 exec_lo, exec_lo, vcc_lo
	s_cbranch_execz .LBB213_13
; %bb.9:
	s_waitcnt lgkmcnt(0)
	v_add_f32_e32 v0, v9, v10
	v_add_f32_e32 v9, v7, v8
	v_cmp_eq_f32_e32 vcc_lo, 0, v1
	v_cmp_eq_f32_e64 s0, 0, v2
	v_lshlrev_b64 v[5:6], 3, v[5:6]
	v_mul_f32_e64 v7, v0, -v4
	v_mul_f32_e32 v8, v3, v0
	s_and_b32 s0, vcc_lo, s0
	v_fmac_f32_e32 v7, v3, v9
	v_fmac_f32_e32 v8, v4, v9
	s_and_saveexec_b32 s1, s0
	s_xor_b32 s0, exec_lo, s1
	s_cbranch_execz .LBB213_11
; %bb.10:
	v_add_co_u32 v0, vcc_lo, s6, v5
	v_add_co_ci_u32_e64 v1, null, s7, v6, vcc_lo
                                        ; implicit-def: $vgpr5_vgpr6
	global_store_dwordx2 v[0:1], v[7:8], off
                                        ; implicit-def: $vgpr1_vgpr2
                                        ; implicit-def: $vgpr7
.LBB213_11:
	s_andn2_saveexec_b32 s0, s0
	s_cbranch_execz .LBB213_13
; %bb.12:
	v_add_co_u32 v3, vcc_lo, s6, v5
	v_add_co_ci_u32_e64 v4, null, s7, v6, vcc_lo
	global_load_dwordx2 v[5:6], v[3:4], off
	s_waitcnt vmcnt(0)
	v_fmac_f32_e32 v7, v1, v5
	v_fmac_f32_e32 v8, v2, v5
	v_fma_f32 v7, -v2, v6, v7
	v_fmac_f32_e32 v8, v1, v6
	global_store_dwordx2 v[3:4], v[7:8], off
.LBB213_13:
	s_endpgm
	.section	.rodata,"a",@progbits
	.p2align	6, 0x0
	.amdhsa_kernel _ZN9rocsparseL19gebsrmvn_1xn_kernelILj128ELj14ELj8E21rocsparse_complex_numIfEEEvi20rocsparse_direction_NS_24const_host_device_scalarIT2_EEPKiS8_PKS5_SA_S6_PS5_21rocsparse_index_base_b
		.amdhsa_group_segment_fixed_size 0
		.amdhsa_private_segment_fixed_size 0
		.amdhsa_kernarg_size 72
		.amdhsa_user_sgpr_count 6
		.amdhsa_user_sgpr_private_segment_buffer 1
		.amdhsa_user_sgpr_dispatch_ptr 0
		.amdhsa_user_sgpr_queue_ptr 0
		.amdhsa_user_sgpr_kernarg_segment_ptr 1
		.amdhsa_user_sgpr_dispatch_id 0
		.amdhsa_user_sgpr_flat_scratch_init 0
		.amdhsa_user_sgpr_private_segment_size 0
		.amdhsa_wavefront_size32 1
		.amdhsa_uses_dynamic_stack 0
		.amdhsa_system_sgpr_private_segment_wavefront_offset 0
		.amdhsa_system_sgpr_workgroup_id_x 1
		.amdhsa_system_sgpr_workgroup_id_y 0
		.amdhsa_system_sgpr_workgroup_id_z 0
		.amdhsa_system_sgpr_workgroup_info 0
		.amdhsa_system_vgpr_workitem_id 0
		.amdhsa_next_free_vgpr 66
		.amdhsa_next_free_sgpr 13
		.amdhsa_reserve_vcc 1
		.amdhsa_reserve_flat_scratch 0
		.amdhsa_float_round_mode_32 0
		.amdhsa_float_round_mode_16_64 0
		.amdhsa_float_denorm_mode_32 3
		.amdhsa_float_denorm_mode_16_64 3
		.amdhsa_dx10_clamp 1
		.amdhsa_ieee_mode 1
		.amdhsa_fp16_overflow 0
		.amdhsa_workgroup_processor_mode 1
		.amdhsa_memory_ordered 1
		.amdhsa_forward_progress 1
		.amdhsa_shared_vgpr_count 0
		.amdhsa_exception_fp_ieee_invalid_op 0
		.amdhsa_exception_fp_denorm_src 0
		.amdhsa_exception_fp_ieee_div_zero 0
		.amdhsa_exception_fp_ieee_overflow 0
		.amdhsa_exception_fp_ieee_underflow 0
		.amdhsa_exception_fp_ieee_inexact 0
		.amdhsa_exception_int_div_zero 0
	.end_amdhsa_kernel
	.section	.text._ZN9rocsparseL19gebsrmvn_1xn_kernelILj128ELj14ELj8E21rocsparse_complex_numIfEEEvi20rocsparse_direction_NS_24const_host_device_scalarIT2_EEPKiS8_PKS5_SA_S6_PS5_21rocsparse_index_base_b,"axG",@progbits,_ZN9rocsparseL19gebsrmvn_1xn_kernelILj128ELj14ELj8E21rocsparse_complex_numIfEEEvi20rocsparse_direction_NS_24const_host_device_scalarIT2_EEPKiS8_PKS5_SA_S6_PS5_21rocsparse_index_base_b,comdat
.Lfunc_end213:
	.size	_ZN9rocsparseL19gebsrmvn_1xn_kernelILj128ELj14ELj8E21rocsparse_complex_numIfEEEvi20rocsparse_direction_NS_24const_host_device_scalarIT2_EEPKiS8_PKS5_SA_S6_PS5_21rocsparse_index_base_b, .Lfunc_end213-_ZN9rocsparseL19gebsrmvn_1xn_kernelILj128ELj14ELj8E21rocsparse_complex_numIfEEEvi20rocsparse_direction_NS_24const_host_device_scalarIT2_EEPKiS8_PKS5_SA_S6_PS5_21rocsparse_index_base_b
                                        ; -- End function
	.set _ZN9rocsparseL19gebsrmvn_1xn_kernelILj128ELj14ELj8E21rocsparse_complex_numIfEEEvi20rocsparse_direction_NS_24const_host_device_scalarIT2_EEPKiS8_PKS5_SA_S6_PS5_21rocsparse_index_base_b.num_vgpr, 66
	.set _ZN9rocsparseL19gebsrmvn_1xn_kernelILj128ELj14ELj8E21rocsparse_complex_numIfEEEvi20rocsparse_direction_NS_24const_host_device_scalarIT2_EEPKiS8_PKS5_SA_S6_PS5_21rocsparse_index_base_b.num_agpr, 0
	.set _ZN9rocsparseL19gebsrmvn_1xn_kernelILj128ELj14ELj8E21rocsparse_complex_numIfEEEvi20rocsparse_direction_NS_24const_host_device_scalarIT2_EEPKiS8_PKS5_SA_S6_PS5_21rocsparse_index_base_b.numbered_sgpr, 13
	.set _ZN9rocsparseL19gebsrmvn_1xn_kernelILj128ELj14ELj8E21rocsparse_complex_numIfEEEvi20rocsparse_direction_NS_24const_host_device_scalarIT2_EEPKiS8_PKS5_SA_S6_PS5_21rocsparse_index_base_b.num_named_barrier, 0
	.set _ZN9rocsparseL19gebsrmvn_1xn_kernelILj128ELj14ELj8E21rocsparse_complex_numIfEEEvi20rocsparse_direction_NS_24const_host_device_scalarIT2_EEPKiS8_PKS5_SA_S6_PS5_21rocsparse_index_base_b.private_seg_size, 0
	.set _ZN9rocsparseL19gebsrmvn_1xn_kernelILj128ELj14ELj8E21rocsparse_complex_numIfEEEvi20rocsparse_direction_NS_24const_host_device_scalarIT2_EEPKiS8_PKS5_SA_S6_PS5_21rocsparse_index_base_b.uses_vcc, 1
	.set _ZN9rocsparseL19gebsrmvn_1xn_kernelILj128ELj14ELj8E21rocsparse_complex_numIfEEEvi20rocsparse_direction_NS_24const_host_device_scalarIT2_EEPKiS8_PKS5_SA_S6_PS5_21rocsparse_index_base_b.uses_flat_scratch, 0
	.set _ZN9rocsparseL19gebsrmvn_1xn_kernelILj128ELj14ELj8E21rocsparse_complex_numIfEEEvi20rocsparse_direction_NS_24const_host_device_scalarIT2_EEPKiS8_PKS5_SA_S6_PS5_21rocsparse_index_base_b.has_dyn_sized_stack, 0
	.set _ZN9rocsparseL19gebsrmvn_1xn_kernelILj128ELj14ELj8E21rocsparse_complex_numIfEEEvi20rocsparse_direction_NS_24const_host_device_scalarIT2_EEPKiS8_PKS5_SA_S6_PS5_21rocsparse_index_base_b.has_recursion, 0
	.set _ZN9rocsparseL19gebsrmvn_1xn_kernelILj128ELj14ELj8E21rocsparse_complex_numIfEEEvi20rocsparse_direction_NS_24const_host_device_scalarIT2_EEPKiS8_PKS5_SA_S6_PS5_21rocsparse_index_base_b.has_indirect_call, 0
	.section	.AMDGPU.csdata,"",@progbits
; Kernel info:
; codeLenInByte = 1820
; TotalNumSgprs: 15
; NumVgprs: 66
; ScratchSize: 0
; MemoryBound: 0
; FloatMode: 240
; IeeeMode: 1
; LDSByteSize: 0 bytes/workgroup (compile time only)
; SGPRBlocks: 0
; VGPRBlocks: 8
; NumSGPRsForWavesPerEU: 15
; NumVGPRsForWavesPerEU: 66
; Occupancy: 12
; WaveLimiterHint : 1
; COMPUTE_PGM_RSRC2:SCRATCH_EN: 0
; COMPUTE_PGM_RSRC2:USER_SGPR: 6
; COMPUTE_PGM_RSRC2:TRAP_HANDLER: 0
; COMPUTE_PGM_RSRC2:TGID_X_EN: 1
; COMPUTE_PGM_RSRC2:TGID_Y_EN: 0
; COMPUTE_PGM_RSRC2:TGID_Z_EN: 0
; COMPUTE_PGM_RSRC2:TIDIG_COMP_CNT: 0
	.section	.text._ZN9rocsparseL19gebsrmvn_1xn_kernelILj128ELj14ELj16E21rocsparse_complex_numIfEEEvi20rocsparse_direction_NS_24const_host_device_scalarIT2_EEPKiS8_PKS5_SA_S6_PS5_21rocsparse_index_base_b,"axG",@progbits,_ZN9rocsparseL19gebsrmvn_1xn_kernelILj128ELj14ELj16E21rocsparse_complex_numIfEEEvi20rocsparse_direction_NS_24const_host_device_scalarIT2_EEPKiS8_PKS5_SA_S6_PS5_21rocsparse_index_base_b,comdat
	.globl	_ZN9rocsparseL19gebsrmvn_1xn_kernelILj128ELj14ELj16E21rocsparse_complex_numIfEEEvi20rocsparse_direction_NS_24const_host_device_scalarIT2_EEPKiS8_PKS5_SA_S6_PS5_21rocsparse_index_base_b ; -- Begin function _ZN9rocsparseL19gebsrmvn_1xn_kernelILj128ELj14ELj16E21rocsparse_complex_numIfEEEvi20rocsparse_direction_NS_24const_host_device_scalarIT2_EEPKiS8_PKS5_SA_S6_PS5_21rocsparse_index_base_b
	.p2align	8
	.type	_ZN9rocsparseL19gebsrmvn_1xn_kernelILj128ELj14ELj16E21rocsparse_complex_numIfEEEvi20rocsparse_direction_NS_24const_host_device_scalarIT2_EEPKiS8_PKS5_SA_S6_PS5_21rocsparse_index_base_b,@function
_ZN9rocsparseL19gebsrmvn_1xn_kernelILj128ELj14ELj16E21rocsparse_complex_numIfEEEvi20rocsparse_direction_NS_24const_host_device_scalarIT2_EEPKiS8_PKS5_SA_S6_PS5_21rocsparse_index_base_b: ; @_ZN9rocsparseL19gebsrmvn_1xn_kernelILj128ELj14ELj16E21rocsparse_complex_numIfEEEvi20rocsparse_direction_NS_24const_host_device_scalarIT2_EEPKiS8_PKS5_SA_S6_PS5_21rocsparse_index_base_b
; %bb.0:
	s_clause 0x2
	s_load_dwordx2 s[8:9], s[4:5], 0x40
	s_load_dwordx2 s[0:1], s[4:5], 0x8
	;; [unrolled: 1-line block ×3, first 2 shown]
	s_add_u32 s7, s4, 8
	s_addc_u32 s10, s5, 0
	s_add_u32 s11, s4, 48
	s_addc_u32 s12, s5, 0
	s_waitcnt lgkmcnt(0)
	s_bitcmp1_b32 s9, 0
	s_cselect_b32 s0, s7, s0
	s_cselect_b32 s1, s10, s1
	v_mov_b32_e32 v1, s0
	v_mov_b32_e32 v2, s1
	s_cselect_b32 s0, s11, s2
	s_cselect_b32 s1, s12, s3
	flat_load_dwordx2 v[3:4], v[1:2]
	v_mov_b32_e32 v1, s0
	v_mov_b32_e32 v2, s1
	flat_load_dwordx2 v[1:2], v[1:2]
	s_waitcnt vmcnt(1) lgkmcnt(1)
	v_cmp_eq_f32_e32 vcc_lo, 0, v3
	v_cmp_eq_f32_e64 s0, 0, v4
	s_and_b32 s2, vcc_lo, s0
	s_mov_b32 s0, -1
	s_and_saveexec_b32 s1, s2
	s_cbranch_execz .LBB214_2
; %bb.1:
	s_waitcnt vmcnt(0) lgkmcnt(0)
	v_cmp_neq_f32_e32 vcc_lo, 1.0, v1
	v_cmp_neq_f32_e64 s0, 0, v2
	s_or_b32 s0, vcc_lo, s0
	s_orn2_b32 s0, s0, exec_lo
.LBB214_2:
	s_or_b32 exec_lo, exec_lo, s1
	s_and_saveexec_b32 s1, s0
	s_cbranch_execz .LBB214_13
; %bb.3:
	s_load_dword s0, s[4:5], 0x0
	v_lshrrev_b32_e32 v5, 4, v0
	v_lshl_or_b32 v5, s6, 3, v5
	s_waitcnt lgkmcnt(0)
	v_cmp_gt_i32_e32 vcc_lo, s0, v5
	s_and_b32 exec_lo, exec_lo, vcc_lo
	s_cbranch_execz .LBB214_13
; %bb.4:
	s_clause 0x1
	s_load_dwordx2 s[0:1], s[4:5], 0x10
	s_load_dwordx2 s[6:7], s[4:5], 0x38
	v_ashrrev_i32_e32 v6, 31, v5
	v_and_b32_e32 v0, 15, v0
	v_mov_b32_e32 v13, 0
	v_mov_b32_e32 v15, 0
	s_mov_b32 s9, exec_lo
	v_lshlrev_b64 v[7:8], 2, v[5:6]
	v_subrev_nc_u32_e32 v9, s8, v0
	s_waitcnt lgkmcnt(0)
	v_add_co_u32 v7, vcc_lo, s0, v7
	v_add_co_ci_u32_e64 v8, null, s1, v8, vcc_lo
	global_load_dwordx2 v[7:8], v[7:8], off
	s_waitcnt vmcnt(0)
	v_subrev_nc_u32_e32 v14, s8, v8
	v_add_nc_u32_e32 v7, v7, v9
	v_cmpx_lt_i32_e64 v7, v14
	s_cbranch_execz .LBB214_8
; %bb.5:
	s_clause 0x1
	s_load_dwordx4 s[0:3], s[4:5], 0x18
	s_load_dwordx2 s[4:5], s[4:5], 0x28
	v_mad_u64_u32 v[9:10], null, v7, 14, 13
	v_mov_b32_e32 v12, 0
	v_mov_b32_e32 v13, 0
	;; [unrolled: 1-line block ×3, first 2 shown]
	s_mov_b32 s10, 0
.LBB214_6:                              ; =>This Inner Loop Header: Depth=1
	v_ashrrev_i32_e32 v8, 31, v7
	v_mov_b32_e32 v41, v12
	v_lshlrev_b64 v[10:11], 2, v[7:8]
	v_add_nc_u32_e32 v7, 16, v7
	s_waitcnt lgkmcnt(0)
	v_add_co_u32 v10, vcc_lo, s0, v10
	v_add_co_ci_u32_e64 v11, null, s1, v11, vcc_lo
	global_load_dword v8, v[10:11], off
	v_add_nc_u32_e32 v11, -13, v9
	v_mov_b32_e32 v10, v12
	v_lshlrev_b64 v[16:17], 3, v[11:12]
	v_add_nc_u32_e32 v11, -11, v9
	v_lshlrev_b64 v[18:19], 3, v[11:12]
	v_add_co_u32 v16, vcc_lo, s2, v16
	v_add_co_ci_u32_e64 v17, null, s3, v17, vcc_lo
	v_add_co_u32 v20, vcc_lo, s2, v18
	v_add_co_ci_u32_e64 v21, null, s3, v19, vcc_lo
	s_clause 0x1
	global_load_dwordx4 v[16:19], v[16:17], off
	global_load_dwordx2 v[44:45], v[20:21], off
	s_waitcnt vmcnt(2)
	v_subrev_nc_u32_e32 v8, s8, v8
	v_mul_lo_u32 v40, v8, 14
	v_lshlrev_b64 v[20:21], 3, v[40:41]
	v_add_nc_u32_e32 v11, 2, v40
	v_lshlrev_b64 v[24:25], 3, v[11:12]
	v_add_co_u32 v20, vcc_lo, s4, v20
	v_add_co_ci_u32_e64 v21, null, s5, v21, vcc_lo
	v_add_nc_u32_e32 v11, -10, v9
	v_add_co_u32 v24, vcc_lo, s4, v24
	global_load_dwordx4 v[20:23], v[20:21], off
	v_add_co_ci_u32_e64 v25, null, s5, v25, vcc_lo
	v_lshlrev_b64 v[26:27], 3, v[11:12]
	v_add_nc_u32_e32 v11, -9, v9
	v_add_co_u32 v30, vcc_lo, s2, v26
	v_lshlrev_b64 v[28:29], 3, v[11:12]
	v_add_co_ci_u32_e64 v31, null, s3, v27, vcc_lo
	global_load_dwordx4 v[24:27], v[24:25], off
	v_add_nc_u32_e32 v11, 4, v40
	v_add_co_u32 v28, vcc_lo, s2, v28
	v_add_co_ci_u32_e64 v29, null, s3, v29, vcc_lo
	v_lshlrev_b64 v[32:33], 3, v[11:12]
	v_add_nc_u32_e32 v11, -8, v9
	s_clause 0x1
	global_load_dwordx2 v[46:47], v[30:31], off
	global_load_dwordx2 v[48:49], v[28:29], off
	v_add_co_u32 v30, vcc_lo, s4, v32
	v_lshlrev_b64 v[34:35], 3, v[11:12]
	v_add_nc_u32_e32 v11, -7, v9
	v_add_co_ci_u32_e64 v31, null, s5, v33, vcc_lo
	v_lshlrev_b64 v[32:33], 3, v[11:12]
	global_load_dwordx4 v[28:31], v[30:31], off
	v_add_nc_u32_e32 v11, 6, v40
	v_add_co_u32 v34, vcc_lo, s2, v34
	v_add_co_ci_u32_e64 v35, null, s3, v35, vcc_lo
	v_add_co_u32 v32, vcc_lo, s2, v32
	v_lshlrev_b64 v[36:37], 3, v[11:12]
	v_add_nc_u32_e32 v11, -6, v9
	v_add_co_ci_u32_e64 v33, null, s3, v33, vcc_lo
	s_clause 0x1
	global_load_dwordx2 v[50:51], v[34:35], off
	global_load_dwordx2 v[52:53], v[32:33], off
	v_lshlrev_b64 v[34:35], 3, v[11:12]
	v_add_co_u32 v32, vcc_lo, s4, v36
	v_add_nc_u32_e32 v11, -5, v9
	v_add_co_ci_u32_e64 v33, null, s5, v37, vcc_lo
	v_add_co_u32 v38, vcc_lo, s2, v34
	v_lshlrev_b64 v[36:37], 3, v[11:12]
	v_add_co_ci_u32_e64 v39, null, s3, v35, vcc_lo
	global_load_dwordx4 v[32:35], v[32:33], off
	v_add_nc_u32_e32 v11, 8, v40
	v_add_co_u32 v36, vcc_lo, s2, v36
	v_add_co_ci_u32_e64 v37, null, s3, v37, vcc_lo
	v_lshlrev_b64 v[41:42], 3, v[11:12]
	v_add_nc_u32_e32 v11, -4, v9
	s_clause 0x1
	global_load_dwordx2 v[54:55], v[38:39], off
	global_load_dwordx2 v[56:57], v[36:37], off
	v_lshlrev_b64 v[38:39], 3, v[11:12]
	v_add_nc_u32_e32 v11, -3, v9
	v_add_co_u32 v41, vcc_lo, s4, v41
	v_add_co_ci_u32_e64 v42, null, s5, v42, vcc_lo
	v_lshlrev_b64 v[58:59], 3, v[11:12]
	v_add_nc_u32_e32 v11, 10, v40
	v_add_co_u32 v60, vcc_lo, s2, v38
	v_add_co_ci_u32_e64 v61, null, s3, v39, vcc_lo
	global_load_dwordx4 v[36:39], v[41:42], off
	v_lshlrev_b64 v[41:42], 3, v[11:12]
	v_add_nc_u32_e32 v11, -2, v9
	v_add_co_u32 v58, vcc_lo, s2, v58
	global_load_dwordx2 v[60:61], v[60:61], off
	v_add_co_ci_u32_e64 v59, null, s3, v59, vcc_lo
	v_lshlrev_b64 v[62:63], 3, v[11:12]
	v_add_co_u32 v41, vcc_lo, s4, v41
	v_add_co_ci_u32_e64 v42, null, s5, v42, vcc_lo
	v_add_nc_u32_e32 v11, -1, v9
	v_add_co_u32 v62, vcc_lo, s2, v62
	v_add_co_ci_u32_e64 v63, null, s3, v63, vcc_lo
	v_lshlrev_b64 v[64:65], 3, v[11:12]
	v_add_nc_u32_e32 v11, 12, v40
	global_load_dwordx4 v[40:43], v[41:42], off
	s_waitcnt vmcnt(12)
	v_fmac_f32_e32 v15, v16, v20
	v_fmac_f32_e32 v13, v17, v20
	v_fma_f32 v8, -v17, v21, v15
	v_fmac_f32_e32 v13, v16, v21
	v_lshlrev_b64 v[15:16], 3, v[11:12]
	v_add_co_u32 v17, vcc_lo, s2, v64
	v_fmac_f32_e32 v8, v18, v22
	v_fmac_f32_e32 v13, v19, v22
	v_lshlrev_b64 v[10:11], 3, v[9:10]
	v_add_nc_u32_e32 v9, 0xe0, v9
	v_fma_f32 v8, -v19, v23, v8
	s_clause 0x1
	global_load_dwordx2 v[19:20], v[62:63], off
	global_load_dwordx2 v[58:59], v[58:59], off
	v_fmac_f32_e32 v13, v18, v23
	v_add_co_ci_u32_e64 v18, null, s3, v65, vcc_lo
	v_add_co_u32 v15, vcc_lo, s4, v15
	v_add_co_ci_u32_e64 v16, null, s5, v16, vcc_lo
	global_load_dwordx2 v[21:22], v[17:18], off
	global_load_dwordx4 v[15:18], v[15:16], off
	v_add_co_u32 v10, vcc_lo, s2, v10
	v_add_co_ci_u32_e64 v11, null, s3, v11, vcc_lo
	s_waitcnt vmcnt(15)
	v_fmac_f32_e32 v8, v44, v24
	v_fmac_f32_e32 v13, v45, v24
	v_cmp_ge_i32_e32 vcc_lo, v7, v14
	global_load_dwordx2 v[10:11], v[10:11], off
	v_fma_f32 v8, -v45, v25, v8
	v_fmac_f32_e32 v13, v44, v25
	s_or_b32 s10, vcc_lo, s10
	s_waitcnt vmcnt(15)
	v_fmac_f32_e32 v8, v46, v26
	v_fmac_f32_e32 v13, v47, v26
	v_fma_f32 v8, -v47, v27, v8
	v_fmac_f32_e32 v13, v46, v27
	s_waitcnt vmcnt(13)
	v_fmac_f32_e32 v8, v48, v28
	v_fmac_f32_e32 v13, v49, v28
	v_fma_f32 v8, -v49, v29, v8
	v_fmac_f32_e32 v13, v48, v29
	;; [unrolled: 5-line block ×8, first 2 shown]
	v_fmac_f32_e32 v8, v19, v42
	v_fmac_f32_e32 v13, v20, v42
	v_fma_f32 v8, -v20, v43, v8
	v_fmac_f32_e32 v13, v19, v43
	s_waitcnt vmcnt(1)
	v_fmac_f32_e32 v8, v21, v15
	v_fmac_f32_e32 v13, v22, v15
	v_fma_f32 v8, -v22, v16, v8
	v_fmac_f32_e32 v13, v21, v16
	s_waitcnt vmcnt(0)
	v_fmac_f32_e32 v8, v10, v17
	v_fmac_f32_e32 v13, v11, v17
	v_fma_f32 v15, -v11, v18, v8
	v_fmac_f32_e32 v13, v10, v18
	s_andn2_b32 exec_lo, exec_lo, s10
	s_cbranch_execnz .LBB214_6
; %bb.7:
	s_or_b32 exec_lo, exec_lo, s10
.LBB214_8:
	s_or_b32 exec_lo, exec_lo, s9
	v_mbcnt_lo_u32_b32 v7, -1, 0
	v_xor_b32_e32 v8, 8, v7
	v_xor_b32_e32 v10, 4, v7
	;; [unrolled: 1-line block ×3, first 2 shown]
	v_cmp_gt_i32_e32 vcc_lo, 32, v8
	v_cndmask_b32_e32 v8, v7, v8, vcc_lo
	v_cmp_gt_i32_e32 vcc_lo, 32, v10
	v_lshlrev_b32_e32 v8, 2, v8
	v_cndmask_b32_e32 v10, v7, v10, vcc_lo
	v_cmp_gt_i32_e32 vcc_lo, 32, v12
	ds_bpermute_b32 v9, v8, v15
	ds_bpermute_b32 v8, v8, v13
	v_lshlrev_b32_e32 v10, 2, v10
	v_cndmask_b32_e32 v12, v7, v12, vcc_lo
	v_lshlrev_b32_e32 v12, 2, v12
	s_waitcnt lgkmcnt(1)
	v_add_f32_e32 v9, v15, v9
	s_waitcnt lgkmcnt(0)
	v_add_f32_e32 v8, v13, v8
	ds_bpermute_b32 v11, v10, v9
	ds_bpermute_b32 v10, v10, v8
	s_waitcnt lgkmcnt(1)
	v_add_f32_e32 v9, v9, v11
	s_waitcnt lgkmcnt(0)
	v_add_f32_e32 v8, v8, v10
	ds_bpermute_b32 v10, v12, v9
	ds_bpermute_b32 v11, v12, v8
	v_xor_b32_e32 v12, 1, v7
	v_cmp_gt_i32_e32 vcc_lo, 32, v12
	v_cndmask_b32_e32 v7, v7, v12, vcc_lo
	v_cmp_eq_u32_e32 vcc_lo, 15, v0
	v_lshlrev_b32_e32 v12, 2, v7
	s_waitcnt lgkmcnt(1)
	v_add_f32_e32 v7, v9, v10
	s_waitcnt lgkmcnt(0)
	v_add_f32_e32 v9, v8, v11
	ds_bpermute_b32 v8, v12, v7
	ds_bpermute_b32 v10, v12, v9
	s_and_b32 exec_lo, exec_lo, vcc_lo
	s_cbranch_execz .LBB214_13
; %bb.9:
	s_waitcnt lgkmcnt(0)
	v_add_f32_e32 v0, v9, v10
	v_add_f32_e32 v9, v7, v8
	v_cmp_eq_f32_e32 vcc_lo, 0, v1
	v_cmp_eq_f32_e64 s0, 0, v2
	v_lshlrev_b64 v[5:6], 3, v[5:6]
	v_mul_f32_e64 v7, v0, -v4
	v_mul_f32_e32 v8, v3, v0
	s_and_b32 s0, vcc_lo, s0
	v_fmac_f32_e32 v7, v3, v9
	v_fmac_f32_e32 v8, v4, v9
	s_and_saveexec_b32 s1, s0
	s_xor_b32 s0, exec_lo, s1
	s_cbranch_execz .LBB214_11
; %bb.10:
	v_add_co_u32 v0, vcc_lo, s6, v5
	v_add_co_ci_u32_e64 v1, null, s7, v6, vcc_lo
                                        ; implicit-def: $vgpr5_vgpr6
	global_store_dwordx2 v[0:1], v[7:8], off
                                        ; implicit-def: $vgpr1_vgpr2
                                        ; implicit-def: $vgpr7
.LBB214_11:
	s_andn2_saveexec_b32 s0, s0
	s_cbranch_execz .LBB214_13
; %bb.12:
	v_add_co_u32 v3, vcc_lo, s6, v5
	v_add_co_ci_u32_e64 v4, null, s7, v6, vcc_lo
	global_load_dwordx2 v[5:6], v[3:4], off
	s_waitcnt vmcnt(0)
	v_fmac_f32_e32 v7, v1, v5
	v_fmac_f32_e32 v8, v2, v5
	v_fma_f32 v7, -v2, v6, v7
	v_fmac_f32_e32 v8, v1, v6
	global_store_dwordx2 v[3:4], v[7:8], off
.LBB214_13:
	s_endpgm
	.section	.rodata,"a",@progbits
	.p2align	6, 0x0
	.amdhsa_kernel _ZN9rocsparseL19gebsrmvn_1xn_kernelILj128ELj14ELj16E21rocsparse_complex_numIfEEEvi20rocsparse_direction_NS_24const_host_device_scalarIT2_EEPKiS8_PKS5_SA_S6_PS5_21rocsparse_index_base_b
		.amdhsa_group_segment_fixed_size 0
		.amdhsa_private_segment_fixed_size 0
		.amdhsa_kernarg_size 72
		.amdhsa_user_sgpr_count 6
		.amdhsa_user_sgpr_private_segment_buffer 1
		.amdhsa_user_sgpr_dispatch_ptr 0
		.amdhsa_user_sgpr_queue_ptr 0
		.amdhsa_user_sgpr_kernarg_segment_ptr 1
		.amdhsa_user_sgpr_dispatch_id 0
		.amdhsa_user_sgpr_flat_scratch_init 0
		.amdhsa_user_sgpr_private_segment_size 0
		.amdhsa_wavefront_size32 1
		.amdhsa_uses_dynamic_stack 0
		.amdhsa_system_sgpr_private_segment_wavefront_offset 0
		.amdhsa_system_sgpr_workgroup_id_x 1
		.amdhsa_system_sgpr_workgroup_id_y 0
		.amdhsa_system_sgpr_workgroup_id_z 0
		.amdhsa_system_sgpr_workgroup_info 0
		.amdhsa_system_vgpr_workitem_id 0
		.amdhsa_next_free_vgpr 66
		.amdhsa_next_free_sgpr 13
		.amdhsa_reserve_vcc 1
		.amdhsa_reserve_flat_scratch 0
		.amdhsa_float_round_mode_32 0
		.amdhsa_float_round_mode_16_64 0
		.amdhsa_float_denorm_mode_32 3
		.amdhsa_float_denorm_mode_16_64 3
		.amdhsa_dx10_clamp 1
		.amdhsa_ieee_mode 1
		.amdhsa_fp16_overflow 0
		.amdhsa_workgroup_processor_mode 1
		.amdhsa_memory_ordered 1
		.amdhsa_forward_progress 1
		.amdhsa_shared_vgpr_count 0
		.amdhsa_exception_fp_ieee_invalid_op 0
		.amdhsa_exception_fp_denorm_src 0
		.amdhsa_exception_fp_ieee_div_zero 0
		.amdhsa_exception_fp_ieee_overflow 0
		.amdhsa_exception_fp_ieee_underflow 0
		.amdhsa_exception_fp_ieee_inexact 0
		.amdhsa_exception_int_div_zero 0
	.end_amdhsa_kernel
	.section	.text._ZN9rocsparseL19gebsrmvn_1xn_kernelILj128ELj14ELj16E21rocsparse_complex_numIfEEEvi20rocsparse_direction_NS_24const_host_device_scalarIT2_EEPKiS8_PKS5_SA_S6_PS5_21rocsparse_index_base_b,"axG",@progbits,_ZN9rocsparseL19gebsrmvn_1xn_kernelILj128ELj14ELj16E21rocsparse_complex_numIfEEEvi20rocsparse_direction_NS_24const_host_device_scalarIT2_EEPKiS8_PKS5_SA_S6_PS5_21rocsparse_index_base_b,comdat
.Lfunc_end214:
	.size	_ZN9rocsparseL19gebsrmvn_1xn_kernelILj128ELj14ELj16E21rocsparse_complex_numIfEEEvi20rocsparse_direction_NS_24const_host_device_scalarIT2_EEPKiS8_PKS5_SA_S6_PS5_21rocsparse_index_base_b, .Lfunc_end214-_ZN9rocsparseL19gebsrmvn_1xn_kernelILj128ELj14ELj16E21rocsparse_complex_numIfEEEvi20rocsparse_direction_NS_24const_host_device_scalarIT2_EEPKiS8_PKS5_SA_S6_PS5_21rocsparse_index_base_b
                                        ; -- End function
	.set _ZN9rocsparseL19gebsrmvn_1xn_kernelILj128ELj14ELj16E21rocsparse_complex_numIfEEEvi20rocsparse_direction_NS_24const_host_device_scalarIT2_EEPKiS8_PKS5_SA_S6_PS5_21rocsparse_index_base_b.num_vgpr, 66
	.set _ZN9rocsparseL19gebsrmvn_1xn_kernelILj128ELj14ELj16E21rocsparse_complex_numIfEEEvi20rocsparse_direction_NS_24const_host_device_scalarIT2_EEPKiS8_PKS5_SA_S6_PS5_21rocsparse_index_base_b.num_agpr, 0
	.set _ZN9rocsparseL19gebsrmvn_1xn_kernelILj128ELj14ELj16E21rocsparse_complex_numIfEEEvi20rocsparse_direction_NS_24const_host_device_scalarIT2_EEPKiS8_PKS5_SA_S6_PS5_21rocsparse_index_base_b.numbered_sgpr, 13
	.set _ZN9rocsparseL19gebsrmvn_1xn_kernelILj128ELj14ELj16E21rocsparse_complex_numIfEEEvi20rocsparse_direction_NS_24const_host_device_scalarIT2_EEPKiS8_PKS5_SA_S6_PS5_21rocsparse_index_base_b.num_named_barrier, 0
	.set _ZN9rocsparseL19gebsrmvn_1xn_kernelILj128ELj14ELj16E21rocsparse_complex_numIfEEEvi20rocsparse_direction_NS_24const_host_device_scalarIT2_EEPKiS8_PKS5_SA_S6_PS5_21rocsparse_index_base_b.private_seg_size, 0
	.set _ZN9rocsparseL19gebsrmvn_1xn_kernelILj128ELj14ELj16E21rocsparse_complex_numIfEEEvi20rocsparse_direction_NS_24const_host_device_scalarIT2_EEPKiS8_PKS5_SA_S6_PS5_21rocsparse_index_base_b.uses_vcc, 1
	.set _ZN9rocsparseL19gebsrmvn_1xn_kernelILj128ELj14ELj16E21rocsparse_complex_numIfEEEvi20rocsparse_direction_NS_24const_host_device_scalarIT2_EEPKiS8_PKS5_SA_S6_PS5_21rocsparse_index_base_b.uses_flat_scratch, 0
	.set _ZN9rocsparseL19gebsrmvn_1xn_kernelILj128ELj14ELj16E21rocsparse_complex_numIfEEEvi20rocsparse_direction_NS_24const_host_device_scalarIT2_EEPKiS8_PKS5_SA_S6_PS5_21rocsparse_index_base_b.has_dyn_sized_stack, 0
	.set _ZN9rocsparseL19gebsrmvn_1xn_kernelILj128ELj14ELj16E21rocsparse_complex_numIfEEEvi20rocsparse_direction_NS_24const_host_device_scalarIT2_EEPKiS8_PKS5_SA_S6_PS5_21rocsparse_index_base_b.has_recursion, 0
	.set _ZN9rocsparseL19gebsrmvn_1xn_kernelILj128ELj14ELj16E21rocsparse_complex_numIfEEEvi20rocsparse_direction_NS_24const_host_device_scalarIT2_EEPKiS8_PKS5_SA_S6_PS5_21rocsparse_index_base_b.has_indirect_call, 0
	.section	.AMDGPU.csdata,"",@progbits
; Kernel info:
; codeLenInByte = 1868
; TotalNumSgprs: 15
; NumVgprs: 66
; ScratchSize: 0
; MemoryBound: 0
; FloatMode: 240
; IeeeMode: 1
; LDSByteSize: 0 bytes/workgroup (compile time only)
; SGPRBlocks: 0
; VGPRBlocks: 8
; NumSGPRsForWavesPerEU: 15
; NumVGPRsForWavesPerEU: 66
; Occupancy: 12
; WaveLimiterHint : 1
; COMPUTE_PGM_RSRC2:SCRATCH_EN: 0
; COMPUTE_PGM_RSRC2:USER_SGPR: 6
; COMPUTE_PGM_RSRC2:TRAP_HANDLER: 0
; COMPUTE_PGM_RSRC2:TGID_X_EN: 1
; COMPUTE_PGM_RSRC2:TGID_Y_EN: 0
; COMPUTE_PGM_RSRC2:TGID_Z_EN: 0
; COMPUTE_PGM_RSRC2:TIDIG_COMP_CNT: 0
	.section	.text._ZN9rocsparseL19gebsrmvn_1xn_kernelILj128ELj14ELj32E21rocsparse_complex_numIfEEEvi20rocsparse_direction_NS_24const_host_device_scalarIT2_EEPKiS8_PKS5_SA_S6_PS5_21rocsparse_index_base_b,"axG",@progbits,_ZN9rocsparseL19gebsrmvn_1xn_kernelILj128ELj14ELj32E21rocsparse_complex_numIfEEEvi20rocsparse_direction_NS_24const_host_device_scalarIT2_EEPKiS8_PKS5_SA_S6_PS5_21rocsparse_index_base_b,comdat
	.globl	_ZN9rocsparseL19gebsrmvn_1xn_kernelILj128ELj14ELj32E21rocsparse_complex_numIfEEEvi20rocsparse_direction_NS_24const_host_device_scalarIT2_EEPKiS8_PKS5_SA_S6_PS5_21rocsparse_index_base_b ; -- Begin function _ZN9rocsparseL19gebsrmvn_1xn_kernelILj128ELj14ELj32E21rocsparse_complex_numIfEEEvi20rocsparse_direction_NS_24const_host_device_scalarIT2_EEPKiS8_PKS5_SA_S6_PS5_21rocsparse_index_base_b
	.p2align	8
	.type	_ZN9rocsparseL19gebsrmvn_1xn_kernelILj128ELj14ELj32E21rocsparse_complex_numIfEEEvi20rocsparse_direction_NS_24const_host_device_scalarIT2_EEPKiS8_PKS5_SA_S6_PS5_21rocsparse_index_base_b,@function
_ZN9rocsparseL19gebsrmvn_1xn_kernelILj128ELj14ELj32E21rocsparse_complex_numIfEEEvi20rocsparse_direction_NS_24const_host_device_scalarIT2_EEPKiS8_PKS5_SA_S6_PS5_21rocsparse_index_base_b: ; @_ZN9rocsparseL19gebsrmvn_1xn_kernelILj128ELj14ELj32E21rocsparse_complex_numIfEEEvi20rocsparse_direction_NS_24const_host_device_scalarIT2_EEPKiS8_PKS5_SA_S6_PS5_21rocsparse_index_base_b
; %bb.0:
	s_clause 0x2
	s_load_dwordx2 s[8:9], s[4:5], 0x40
	s_load_dwordx2 s[0:1], s[4:5], 0x8
	;; [unrolled: 1-line block ×3, first 2 shown]
	s_add_u32 s7, s4, 8
	s_addc_u32 s10, s5, 0
	s_add_u32 s11, s4, 48
	s_addc_u32 s12, s5, 0
	s_waitcnt lgkmcnt(0)
	s_bitcmp1_b32 s9, 0
	s_cselect_b32 s0, s7, s0
	s_cselect_b32 s1, s10, s1
	v_mov_b32_e32 v1, s0
	v_mov_b32_e32 v2, s1
	s_cselect_b32 s0, s11, s2
	s_cselect_b32 s1, s12, s3
	flat_load_dwordx2 v[3:4], v[1:2]
	v_mov_b32_e32 v1, s0
	v_mov_b32_e32 v2, s1
	flat_load_dwordx2 v[1:2], v[1:2]
	s_waitcnt vmcnt(1) lgkmcnt(1)
	v_cmp_eq_f32_e32 vcc_lo, 0, v3
	v_cmp_eq_f32_e64 s0, 0, v4
	s_and_b32 s2, vcc_lo, s0
	s_mov_b32 s0, -1
	s_and_saveexec_b32 s1, s2
	s_cbranch_execz .LBB215_2
; %bb.1:
	s_waitcnt vmcnt(0) lgkmcnt(0)
	v_cmp_neq_f32_e32 vcc_lo, 1.0, v1
	v_cmp_neq_f32_e64 s0, 0, v2
	s_or_b32 s0, vcc_lo, s0
	s_orn2_b32 s0, s0, exec_lo
.LBB215_2:
	s_or_b32 exec_lo, exec_lo, s1
	s_and_saveexec_b32 s1, s0
	s_cbranch_execz .LBB215_13
; %bb.3:
	s_load_dword s0, s[4:5], 0x0
	v_lshrrev_b32_e32 v5, 5, v0
	v_lshl_or_b32 v5, s6, 2, v5
	s_waitcnt lgkmcnt(0)
	v_cmp_gt_i32_e32 vcc_lo, s0, v5
	s_and_b32 exec_lo, exec_lo, vcc_lo
	s_cbranch_execz .LBB215_13
; %bb.4:
	s_clause 0x1
	s_load_dwordx2 s[0:1], s[4:5], 0x10
	s_load_dwordx2 s[6:7], s[4:5], 0x38
	v_ashrrev_i32_e32 v6, 31, v5
	v_and_b32_e32 v0, 31, v0
	v_mov_b32_e32 v13, 0
	v_mov_b32_e32 v15, 0
	s_mov_b32 s9, exec_lo
	v_lshlrev_b64 v[7:8], 2, v[5:6]
	v_subrev_nc_u32_e32 v9, s8, v0
	s_waitcnt lgkmcnt(0)
	v_add_co_u32 v7, vcc_lo, s0, v7
	v_add_co_ci_u32_e64 v8, null, s1, v8, vcc_lo
	global_load_dwordx2 v[7:8], v[7:8], off
	s_waitcnt vmcnt(0)
	v_subrev_nc_u32_e32 v14, s8, v8
	v_add_nc_u32_e32 v7, v7, v9
	v_cmpx_lt_i32_e64 v7, v14
	s_cbranch_execz .LBB215_8
; %bb.5:
	s_clause 0x1
	s_load_dwordx4 s[0:3], s[4:5], 0x18
	s_load_dwordx2 s[4:5], s[4:5], 0x28
	v_mad_u64_u32 v[9:10], null, v7, 14, 13
	v_mov_b32_e32 v12, 0
	v_mov_b32_e32 v13, 0
	;; [unrolled: 1-line block ×3, first 2 shown]
	s_mov_b32 s10, 0
.LBB215_6:                              ; =>This Inner Loop Header: Depth=1
	v_ashrrev_i32_e32 v8, 31, v7
	v_mov_b32_e32 v41, v12
	v_lshlrev_b64 v[10:11], 2, v[7:8]
	v_add_nc_u32_e32 v7, 32, v7
	s_waitcnt lgkmcnt(0)
	v_add_co_u32 v10, vcc_lo, s0, v10
	v_add_co_ci_u32_e64 v11, null, s1, v11, vcc_lo
	global_load_dword v8, v[10:11], off
	v_add_nc_u32_e32 v11, -13, v9
	v_mov_b32_e32 v10, v12
	v_lshlrev_b64 v[16:17], 3, v[11:12]
	v_add_nc_u32_e32 v11, -11, v9
	v_lshlrev_b64 v[18:19], 3, v[11:12]
	v_add_co_u32 v16, vcc_lo, s2, v16
	v_add_co_ci_u32_e64 v17, null, s3, v17, vcc_lo
	v_add_co_u32 v20, vcc_lo, s2, v18
	v_add_co_ci_u32_e64 v21, null, s3, v19, vcc_lo
	s_clause 0x1
	global_load_dwordx4 v[16:19], v[16:17], off
	global_load_dwordx2 v[44:45], v[20:21], off
	s_waitcnt vmcnt(2)
	v_subrev_nc_u32_e32 v8, s8, v8
	v_mul_lo_u32 v40, v8, 14
	v_lshlrev_b64 v[20:21], 3, v[40:41]
	v_add_nc_u32_e32 v11, 2, v40
	v_lshlrev_b64 v[24:25], 3, v[11:12]
	v_add_co_u32 v20, vcc_lo, s4, v20
	v_add_co_ci_u32_e64 v21, null, s5, v21, vcc_lo
	v_add_nc_u32_e32 v11, -10, v9
	v_add_co_u32 v24, vcc_lo, s4, v24
	global_load_dwordx4 v[20:23], v[20:21], off
	v_add_co_ci_u32_e64 v25, null, s5, v25, vcc_lo
	v_lshlrev_b64 v[26:27], 3, v[11:12]
	v_add_nc_u32_e32 v11, -9, v9
	v_add_co_u32 v30, vcc_lo, s2, v26
	v_lshlrev_b64 v[28:29], 3, v[11:12]
	v_add_co_ci_u32_e64 v31, null, s3, v27, vcc_lo
	global_load_dwordx4 v[24:27], v[24:25], off
	v_add_nc_u32_e32 v11, 4, v40
	v_add_co_u32 v28, vcc_lo, s2, v28
	v_add_co_ci_u32_e64 v29, null, s3, v29, vcc_lo
	v_lshlrev_b64 v[32:33], 3, v[11:12]
	v_add_nc_u32_e32 v11, -8, v9
	s_clause 0x1
	global_load_dwordx2 v[46:47], v[30:31], off
	global_load_dwordx2 v[48:49], v[28:29], off
	v_add_co_u32 v30, vcc_lo, s4, v32
	v_lshlrev_b64 v[34:35], 3, v[11:12]
	v_add_nc_u32_e32 v11, -7, v9
	v_add_co_ci_u32_e64 v31, null, s5, v33, vcc_lo
	v_lshlrev_b64 v[32:33], 3, v[11:12]
	global_load_dwordx4 v[28:31], v[30:31], off
	v_add_nc_u32_e32 v11, 6, v40
	v_add_co_u32 v34, vcc_lo, s2, v34
	v_add_co_ci_u32_e64 v35, null, s3, v35, vcc_lo
	v_add_co_u32 v32, vcc_lo, s2, v32
	v_lshlrev_b64 v[36:37], 3, v[11:12]
	v_add_nc_u32_e32 v11, -6, v9
	v_add_co_ci_u32_e64 v33, null, s3, v33, vcc_lo
	s_clause 0x1
	global_load_dwordx2 v[50:51], v[34:35], off
	global_load_dwordx2 v[52:53], v[32:33], off
	v_lshlrev_b64 v[34:35], 3, v[11:12]
	v_add_co_u32 v32, vcc_lo, s4, v36
	v_add_nc_u32_e32 v11, -5, v9
	v_add_co_ci_u32_e64 v33, null, s5, v37, vcc_lo
	v_add_co_u32 v38, vcc_lo, s2, v34
	v_lshlrev_b64 v[36:37], 3, v[11:12]
	v_add_co_ci_u32_e64 v39, null, s3, v35, vcc_lo
	global_load_dwordx4 v[32:35], v[32:33], off
	v_add_nc_u32_e32 v11, 8, v40
	v_add_co_u32 v36, vcc_lo, s2, v36
	v_add_co_ci_u32_e64 v37, null, s3, v37, vcc_lo
	v_lshlrev_b64 v[41:42], 3, v[11:12]
	v_add_nc_u32_e32 v11, -4, v9
	s_clause 0x1
	global_load_dwordx2 v[54:55], v[38:39], off
	global_load_dwordx2 v[56:57], v[36:37], off
	v_lshlrev_b64 v[38:39], 3, v[11:12]
	v_add_nc_u32_e32 v11, -3, v9
	v_add_co_u32 v41, vcc_lo, s4, v41
	v_add_co_ci_u32_e64 v42, null, s5, v42, vcc_lo
	v_lshlrev_b64 v[58:59], 3, v[11:12]
	v_add_nc_u32_e32 v11, 10, v40
	v_add_co_u32 v60, vcc_lo, s2, v38
	v_add_co_ci_u32_e64 v61, null, s3, v39, vcc_lo
	global_load_dwordx4 v[36:39], v[41:42], off
	v_lshlrev_b64 v[41:42], 3, v[11:12]
	v_add_nc_u32_e32 v11, -2, v9
	v_add_co_u32 v58, vcc_lo, s2, v58
	global_load_dwordx2 v[60:61], v[60:61], off
	v_add_co_ci_u32_e64 v59, null, s3, v59, vcc_lo
	v_lshlrev_b64 v[62:63], 3, v[11:12]
	v_add_co_u32 v41, vcc_lo, s4, v41
	v_add_co_ci_u32_e64 v42, null, s5, v42, vcc_lo
	v_add_nc_u32_e32 v11, -1, v9
	v_add_co_u32 v62, vcc_lo, s2, v62
	v_add_co_ci_u32_e64 v63, null, s3, v63, vcc_lo
	v_lshlrev_b64 v[64:65], 3, v[11:12]
	v_add_nc_u32_e32 v11, 12, v40
	global_load_dwordx4 v[40:43], v[41:42], off
	s_waitcnt vmcnt(12)
	v_fmac_f32_e32 v15, v16, v20
	v_fmac_f32_e32 v13, v17, v20
	v_fma_f32 v8, -v17, v21, v15
	v_fmac_f32_e32 v13, v16, v21
	v_lshlrev_b64 v[15:16], 3, v[11:12]
	v_add_co_u32 v17, vcc_lo, s2, v64
	v_fmac_f32_e32 v8, v18, v22
	v_fmac_f32_e32 v13, v19, v22
	v_lshlrev_b64 v[10:11], 3, v[9:10]
	v_add_nc_u32_e32 v9, 0x1c0, v9
	v_fma_f32 v8, -v19, v23, v8
	s_clause 0x1
	global_load_dwordx2 v[19:20], v[62:63], off
	global_load_dwordx2 v[58:59], v[58:59], off
	v_fmac_f32_e32 v13, v18, v23
	v_add_co_ci_u32_e64 v18, null, s3, v65, vcc_lo
	v_add_co_u32 v15, vcc_lo, s4, v15
	v_add_co_ci_u32_e64 v16, null, s5, v16, vcc_lo
	global_load_dwordx2 v[21:22], v[17:18], off
	global_load_dwordx4 v[15:18], v[15:16], off
	v_add_co_u32 v10, vcc_lo, s2, v10
	v_add_co_ci_u32_e64 v11, null, s3, v11, vcc_lo
	s_waitcnt vmcnt(15)
	v_fmac_f32_e32 v8, v44, v24
	v_fmac_f32_e32 v13, v45, v24
	v_cmp_ge_i32_e32 vcc_lo, v7, v14
	global_load_dwordx2 v[10:11], v[10:11], off
	v_fma_f32 v8, -v45, v25, v8
	v_fmac_f32_e32 v13, v44, v25
	s_or_b32 s10, vcc_lo, s10
	s_waitcnt vmcnt(15)
	v_fmac_f32_e32 v8, v46, v26
	v_fmac_f32_e32 v13, v47, v26
	v_fma_f32 v8, -v47, v27, v8
	v_fmac_f32_e32 v13, v46, v27
	s_waitcnt vmcnt(13)
	v_fmac_f32_e32 v8, v48, v28
	v_fmac_f32_e32 v13, v49, v28
	v_fma_f32 v8, -v49, v29, v8
	v_fmac_f32_e32 v13, v48, v29
	;; [unrolled: 5-line block ×8, first 2 shown]
	v_fmac_f32_e32 v8, v19, v42
	v_fmac_f32_e32 v13, v20, v42
	v_fma_f32 v8, -v20, v43, v8
	v_fmac_f32_e32 v13, v19, v43
	s_waitcnt vmcnt(1)
	v_fmac_f32_e32 v8, v21, v15
	v_fmac_f32_e32 v13, v22, v15
	v_fma_f32 v8, -v22, v16, v8
	v_fmac_f32_e32 v13, v21, v16
	s_waitcnt vmcnt(0)
	v_fmac_f32_e32 v8, v10, v17
	v_fmac_f32_e32 v13, v11, v17
	v_fma_f32 v15, -v11, v18, v8
	v_fmac_f32_e32 v13, v10, v18
	s_andn2_b32 exec_lo, exec_lo, s10
	s_cbranch_execnz .LBB215_6
; %bb.7:
	s_or_b32 exec_lo, exec_lo, s10
.LBB215_8:
	s_or_b32 exec_lo, exec_lo, s9
	v_mbcnt_lo_u32_b32 v7, -1, 0
	v_xor_b32_e32 v8, 16, v7
	v_xor_b32_e32 v10, 8, v7
	;; [unrolled: 1-line block ×3, first 2 shown]
	v_cmp_gt_i32_e32 vcc_lo, 32, v8
	v_cndmask_b32_e32 v8, v7, v8, vcc_lo
	v_cmp_gt_i32_e32 vcc_lo, 32, v10
	v_lshlrev_b32_e32 v8, 2, v8
	v_cndmask_b32_e32 v10, v7, v10, vcc_lo
	v_cmp_gt_i32_e32 vcc_lo, 32, v12
	ds_bpermute_b32 v9, v8, v15
	ds_bpermute_b32 v8, v8, v13
	v_lshlrev_b32_e32 v10, 2, v10
	v_cndmask_b32_e32 v12, v7, v12, vcc_lo
	v_lshlrev_b32_e32 v12, 2, v12
	s_waitcnt lgkmcnt(1)
	v_add_f32_e32 v9, v15, v9
	s_waitcnt lgkmcnt(0)
	v_add_f32_e32 v8, v13, v8
	ds_bpermute_b32 v11, v10, v9
	ds_bpermute_b32 v10, v10, v8
	s_waitcnt lgkmcnt(1)
	v_add_f32_e32 v9, v9, v11
	s_waitcnt lgkmcnt(0)
	v_add_f32_e32 v8, v8, v10
	ds_bpermute_b32 v10, v12, v9
	ds_bpermute_b32 v11, v12, v8
	v_xor_b32_e32 v12, 2, v7
	v_cmp_gt_i32_e32 vcc_lo, 32, v12
	v_cndmask_b32_e32 v12, v7, v12, vcc_lo
	v_lshlrev_b32_e32 v12, 2, v12
	s_waitcnt lgkmcnt(1)
	v_add_f32_e32 v9, v9, v10
	s_waitcnt lgkmcnt(0)
	v_add_f32_e32 v8, v8, v11
	ds_bpermute_b32 v10, v12, v9
	ds_bpermute_b32 v11, v12, v8
	v_xor_b32_e32 v12, 1, v7
	v_cmp_gt_i32_e32 vcc_lo, 32, v12
	v_cndmask_b32_e32 v7, v7, v12, vcc_lo
	v_cmp_eq_u32_e32 vcc_lo, 31, v0
	v_lshlrev_b32_e32 v12, 2, v7
	s_waitcnt lgkmcnt(1)
	v_add_f32_e32 v7, v9, v10
	s_waitcnt lgkmcnt(0)
	v_add_f32_e32 v9, v8, v11
	ds_bpermute_b32 v8, v12, v7
	ds_bpermute_b32 v10, v12, v9
	s_and_b32 exec_lo, exec_lo, vcc_lo
	s_cbranch_execz .LBB215_13
; %bb.9:
	s_waitcnt lgkmcnt(0)
	v_add_f32_e32 v0, v9, v10
	v_add_f32_e32 v9, v7, v8
	v_cmp_eq_f32_e32 vcc_lo, 0, v1
	v_cmp_eq_f32_e64 s0, 0, v2
	v_lshlrev_b64 v[5:6], 3, v[5:6]
	v_mul_f32_e64 v7, v0, -v4
	v_mul_f32_e32 v8, v3, v0
	s_and_b32 s0, vcc_lo, s0
	v_fmac_f32_e32 v7, v3, v9
	v_fmac_f32_e32 v8, v4, v9
	s_and_saveexec_b32 s1, s0
	s_xor_b32 s0, exec_lo, s1
	s_cbranch_execz .LBB215_11
; %bb.10:
	v_add_co_u32 v0, vcc_lo, s6, v5
	v_add_co_ci_u32_e64 v1, null, s7, v6, vcc_lo
                                        ; implicit-def: $vgpr5_vgpr6
	global_store_dwordx2 v[0:1], v[7:8], off
                                        ; implicit-def: $vgpr1_vgpr2
                                        ; implicit-def: $vgpr7
.LBB215_11:
	s_andn2_saveexec_b32 s0, s0
	s_cbranch_execz .LBB215_13
; %bb.12:
	v_add_co_u32 v3, vcc_lo, s6, v5
	v_add_co_ci_u32_e64 v4, null, s7, v6, vcc_lo
	global_load_dwordx2 v[5:6], v[3:4], off
	s_waitcnt vmcnt(0)
	v_fmac_f32_e32 v7, v1, v5
	v_fmac_f32_e32 v8, v2, v5
	v_fma_f32 v7, -v2, v6, v7
	v_fmac_f32_e32 v8, v1, v6
	global_store_dwordx2 v[3:4], v[7:8], off
.LBB215_13:
	s_endpgm
	.section	.rodata,"a",@progbits
	.p2align	6, 0x0
	.amdhsa_kernel _ZN9rocsparseL19gebsrmvn_1xn_kernelILj128ELj14ELj32E21rocsparse_complex_numIfEEEvi20rocsparse_direction_NS_24const_host_device_scalarIT2_EEPKiS8_PKS5_SA_S6_PS5_21rocsparse_index_base_b
		.amdhsa_group_segment_fixed_size 0
		.amdhsa_private_segment_fixed_size 0
		.amdhsa_kernarg_size 72
		.amdhsa_user_sgpr_count 6
		.amdhsa_user_sgpr_private_segment_buffer 1
		.amdhsa_user_sgpr_dispatch_ptr 0
		.amdhsa_user_sgpr_queue_ptr 0
		.amdhsa_user_sgpr_kernarg_segment_ptr 1
		.amdhsa_user_sgpr_dispatch_id 0
		.amdhsa_user_sgpr_flat_scratch_init 0
		.amdhsa_user_sgpr_private_segment_size 0
		.amdhsa_wavefront_size32 1
		.amdhsa_uses_dynamic_stack 0
		.amdhsa_system_sgpr_private_segment_wavefront_offset 0
		.amdhsa_system_sgpr_workgroup_id_x 1
		.amdhsa_system_sgpr_workgroup_id_y 0
		.amdhsa_system_sgpr_workgroup_id_z 0
		.amdhsa_system_sgpr_workgroup_info 0
		.amdhsa_system_vgpr_workitem_id 0
		.amdhsa_next_free_vgpr 66
		.amdhsa_next_free_sgpr 13
		.amdhsa_reserve_vcc 1
		.amdhsa_reserve_flat_scratch 0
		.amdhsa_float_round_mode_32 0
		.amdhsa_float_round_mode_16_64 0
		.amdhsa_float_denorm_mode_32 3
		.amdhsa_float_denorm_mode_16_64 3
		.amdhsa_dx10_clamp 1
		.amdhsa_ieee_mode 1
		.amdhsa_fp16_overflow 0
		.amdhsa_workgroup_processor_mode 1
		.amdhsa_memory_ordered 1
		.amdhsa_forward_progress 1
		.amdhsa_shared_vgpr_count 0
		.amdhsa_exception_fp_ieee_invalid_op 0
		.amdhsa_exception_fp_denorm_src 0
		.amdhsa_exception_fp_ieee_div_zero 0
		.amdhsa_exception_fp_ieee_overflow 0
		.amdhsa_exception_fp_ieee_underflow 0
		.amdhsa_exception_fp_ieee_inexact 0
		.amdhsa_exception_int_div_zero 0
	.end_amdhsa_kernel
	.section	.text._ZN9rocsparseL19gebsrmvn_1xn_kernelILj128ELj14ELj32E21rocsparse_complex_numIfEEEvi20rocsparse_direction_NS_24const_host_device_scalarIT2_EEPKiS8_PKS5_SA_S6_PS5_21rocsparse_index_base_b,"axG",@progbits,_ZN9rocsparseL19gebsrmvn_1xn_kernelILj128ELj14ELj32E21rocsparse_complex_numIfEEEvi20rocsparse_direction_NS_24const_host_device_scalarIT2_EEPKiS8_PKS5_SA_S6_PS5_21rocsparse_index_base_b,comdat
.Lfunc_end215:
	.size	_ZN9rocsparseL19gebsrmvn_1xn_kernelILj128ELj14ELj32E21rocsparse_complex_numIfEEEvi20rocsparse_direction_NS_24const_host_device_scalarIT2_EEPKiS8_PKS5_SA_S6_PS5_21rocsparse_index_base_b, .Lfunc_end215-_ZN9rocsparseL19gebsrmvn_1xn_kernelILj128ELj14ELj32E21rocsparse_complex_numIfEEEvi20rocsparse_direction_NS_24const_host_device_scalarIT2_EEPKiS8_PKS5_SA_S6_PS5_21rocsparse_index_base_b
                                        ; -- End function
	.set _ZN9rocsparseL19gebsrmvn_1xn_kernelILj128ELj14ELj32E21rocsparse_complex_numIfEEEvi20rocsparse_direction_NS_24const_host_device_scalarIT2_EEPKiS8_PKS5_SA_S6_PS5_21rocsparse_index_base_b.num_vgpr, 66
	.set _ZN9rocsparseL19gebsrmvn_1xn_kernelILj128ELj14ELj32E21rocsparse_complex_numIfEEEvi20rocsparse_direction_NS_24const_host_device_scalarIT2_EEPKiS8_PKS5_SA_S6_PS5_21rocsparse_index_base_b.num_agpr, 0
	.set _ZN9rocsparseL19gebsrmvn_1xn_kernelILj128ELj14ELj32E21rocsparse_complex_numIfEEEvi20rocsparse_direction_NS_24const_host_device_scalarIT2_EEPKiS8_PKS5_SA_S6_PS5_21rocsparse_index_base_b.numbered_sgpr, 13
	.set _ZN9rocsparseL19gebsrmvn_1xn_kernelILj128ELj14ELj32E21rocsparse_complex_numIfEEEvi20rocsparse_direction_NS_24const_host_device_scalarIT2_EEPKiS8_PKS5_SA_S6_PS5_21rocsparse_index_base_b.num_named_barrier, 0
	.set _ZN9rocsparseL19gebsrmvn_1xn_kernelILj128ELj14ELj32E21rocsparse_complex_numIfEEEvi20rocsparse_direction_NS_24const_host_device_scalarIT2_EEPKiS8_PKS5_SA_S6_PS5_21rocsparse_index_base_b.private_seg_size, 0
	.set _ZN9rocsparseL19gebsrmvn_1xn_kernelILj128ELj14ELj32E21rocsparse_complex_numIfEEEvi20rocsparse_direction_NS_24const_host_device_scalarIT2_EEPKiS8_PKS5_SA_S6_PS5_21rocsparse_index_base_b.uses_vcc, 1
	.set _ZN9rocsparseL19gebsrmvn_1xn_kernelILj128ELj14ELj32E21rocsparse_complex_numIfEEEvi20rocsparse_direction_NS_24const_host_device_scalarIT2_EEPKiS8_PKS5_SA_S6_PS5_21rocsparse_index_base_b.uses_flat_scratch, 0
	.set _ZN9rocsparseL19gebsrmvn_1xn_kernelILj128ELj14ELj32E21rocsparse_complex_numIfEEEvi20rocsparse_direction_NS_24const_host_device_scalarIT2_EEPKiS8_PKS5_SA_S6_PS5_21rocsparse_index_base_b.has_dyn_sized_stack, 0
	.set _ZN9rocsparseL19gebsrmvn_1xn_kernelILj128ELj14ELj32E21rocsparse_complex_numIfEEEvi20rocsparse_direction_NS_24const_host_device_scalarIT2_EEPKiS8_PKS5_SA_S6_PS5_21rocsparse_index_base_b.has_recursion, 0
	.set _ZN9rocsparseL19gebsrmvn_1xn_kernelILj128ELj14ELj32E21rocsparse_complex_numIfEEEvi20rocsparse_direction_NS_24const_host_device_scalarIT2_EEPKiS8_PKS5_SA_S6_PS5_21rocsparse_index_base_b.has_indirect_call, 0
	.section	.AMDGPU.csdata,"",@progbits
; Kernel info:
; codeLenInByte = 1916
; TotalNumSgprs: 15
; NumVgprs: 66
; ScratchSize: 0
; MemoryBound: 0
; FloatMode: 240
; IeeeMode: 1
; LDSByteSize: 0 bytes/workgroup (compile time only)
; SGPRBlocks: 0
; VGPRBlocks: 8
; NumSGPRsForWavesPerEU: 15
; NumVGPRsForWavesPerEU: 66
; Occupancy: 12
; WaveLimiterHint : 1
; COMPUTE_PGM_RSRC2:SCRATCH_EN: 0
; COMPUTE_PGM_RSRC2:USER_SGPR: 6
; COMPUTE_PGM_RSRC2:TRAP_HANDLER: 0
; COMPUTE_PGM_RSRC2:TGID_X_EN: 1
; COMPUTE_PGM_RSRC2:TGID_Y_EN: 0
; COMPUTE_PGM_RSRC2:TGID_Z_EN: 0
; COMPUTE_PGM_RSRC2:TIDIG_COMP_CNT: 0
	.section	.text._ZN9rocsparseL19gebsrmvn_1xn_kernelILj128ELj14ELj64E21rocsparse_complex_numIfEEEvi20rocsparse_direction_NS_24const_host_device_scalarIT2_EEPKiS8_PKS5_SA_S6_PS5_21rocsparse_index_base_b,"axG",@progbits,_ZN9rocsparseL19gebsrmvn_1xn_kernelILj128ELj14ELj64E21rocsparse_complex_numIfEEEvi20rocsparse_direction_NS_24const_host_device_scalarIT2_EEPKiS8_PKS5_SA_S6_PS5_21rocsparse_index_base_b,comdat
	.globl	_ZN9rocsparseL19gebsrmvn_1xn_kernelILj128ELj14ELj64E21rocsparse_complex_numIfEEEvi20rocsparse_direction_NS_24const_host_device_scalarIT2_EEPKiS8_PKS5_SA_S6_PS5_21rocsparse_index_base_b ; -- Begin function _ZN9rocsparseL19gebsrmvn_1xn_kernelILj128ELj14ELj64E21rocsparse_complex_numIfEEEvi20rocsparse_direction_NS_24const_host_device_scalarIT2_EEPKiS8_PKS5_SA_S6_PS5_21rocsparse_index_base_b
	.p2align	8
	.type	_ZN9rocsparseL19gebsrmvn_1xn_kernelILj128ELj14ELj64E21rocsparse_complex_numIfEEEvi20rocsparse_direction_NS_24const_host_device_scalarIT2_EEPKiS8_PKS5_SA_S6_PS5_21rocsparse_index_base_b,@function
_ZN9rocsparseL19gebsrmvn_1xn_kernelILj128ELj14ELj64E21rocsparse_complex_numIfEEEvi20rocsparse_direction_NS_24const_host_device_scalarIT2_EEPKiS8_PKS5_SA_S6_PS5_21rocsparse_index_base_b: ; @_ZN9rocsparseL19gebsrmvn_1xn_kernelILj128ELj14ELj64E21rocsparse_complex_numIfEEEvi20rocsparse_direction_NS_24const_host_device_scalarIT2_EEPKiS8_PKS5_SA_S6_PS5_21rocsparse_index_base_b
; %bb.0:
	s_clause 0x2
	s_load_dwordx2 s[8:9], s[4:5], 0x40
	s_load_dwordx2 s[0:1], s[4:5], 0x8
	;; [unrolled: 1-line block ×3, first 2 shown]
	s_add_u32 s7, s4, 8
	s_addc_u32 s10, s5, 0
	s_add_u32 s11, s4, 48
	s_addc_u32 s12, s5, 0
	s_waitcnt lgkmcnt(0)
	s_bitcmp1_b32 s9, 0
	s_cselect_b32 s0, s7, s0
	s_cselect_b32 s1, s10, s1
	v_mov_b32_e32 v1, s0
	v_mov_b32_e32 v2, s1
	s_cselect_b32 s0, s11, s2
	s_cselect_b32 s1, s12, s3
	flat_load_dwordx2 v[3:4], v[1:2]
	v_mov_b32_e32 v1, s0
	v_mov_b32_e32 v2, s1
	flat_load_dwordx2 v[1:2], v[1:2]
	s_waitcnt vmcnt(1) lgkmcnt(1)
	v_cmp_eq_f32_e32 vcc_lo, 0, v3
	v_cmp_eq_f32_e64 s0, 0, v4
	s_and_b32 s2, vcc_lo, s0
	s_mov_b32 s0, -1
	s_and_saveexec_b32 s1, s2
	s_cbranch_execz .LBB216_2
; %bb.1:
	s_waitcnt vmcnt(0) lgkmcnt(0)
	v_cmp_neq_f32_e32 vcc_lo, 1.0, v1
	v_cmp_neq_f32_e64 s0, 0, v2
	s_or_b32 s0, vcc_lo, s0
	s_orn2_b32 s0, s0, exec_lo
.LBB216_2:
	s_or_b32 exec_lo, exec_lo, s1
	s_and_saveexec_b32 s1, s0
	s_cbranch_execz .LBB216_13
; %bb.3:
	s_load_dword s0, s[4:5], 0x0
	v_lshrrev_b32_e32 v5, 6, v0
	v_lshl_or_b32 v5, s6, 1, v5
	s_waitcnt lgkmcnt(0)
	v_cmp_gt_i32_e32 vcc_lo, s0, v5
	s_and_b32 exec_lo, exec_lo, vcc_lo
	s_cbranch_execz .LBB216_13
; %bb.4:
	s_clause 0x1
	s_load_dwordx2 s[0:1], s[4:5], 0x10
	s_load_dwordx2 s[6:7], s[4:5], 0x38
	v_ashrrev_i32_e32 v6, 31, v5
	v_and_b32_e32 v0, 63, v0
	v_mov_b32_e32 v13, 0
	v_mov_b32_e32 v15, 0
	s_mov_b32 s9, exec_lo
	v_lshlrev_b64 v[7:8], 2, v[5:6]
	v_subrev_nc_u32_e32 v9, s8, v0
	s_waitcnt lgkmcnt(0)
	v_add_co_u32 v7, vcc_lo, s0, v7
	v_add_co_ci_u32_e64 v8, null, s1, v8, vcc_lo
	global_load_dwordx2 v[7:8], v[7:8], off
	s_waitcnt vmcnt(0)
	v_subrev_nc_u32_e32 v14, s8, v8
	v_add_nc_u32_e32 v7, v7, v9
	v_cmpx_lt_i32_e64 v7, v14
	s_cbranch_execz .LBB216_8
; %bb.5:
	s_clause 0x1
	s_load_dwordx4 s[0:3], s[4:5], 0x18
	s_load_dwordx2 s[4:5], s[4:5], 0x28
	v_mad_u64_u32 v[9:10], null, v7, 14, 13
	v_mov_b32_e32 v12, 0
	v_mov_b32_e32 v13, 0
	;; [unrolled: 1-line block ×3, first 2 shown]
	s_mov_b32 s10, 0
.LBB216_6:                              ; =>This Inner Loop Header: Depth=1
	v_ashrrev_i32_e32 v8, 31, v7
	v_mov_b32_e32 v41, v12
	v_lshlrev_b64 v[10:11], 2, v[7:8]
	v_add_nc_u32_e32 v7, 64, v7
	s_waitcnt lgkmcnt(0)
	v_add_co_u32 v10, vcc_lo, s0, v10
	v_add_co_ci_u32_e64 v11, null, s1, v11, vcc_lo
	global_load_dword v8, v[10:11], off
	v_add_nc_u32_e32 v11, -13, v9
	v_mov_b32_e32 v10, v12
	v_lshlrev_b64 v[16:17], 3, v[11:12]
	v_add_nc_u32_e32 v11, -11, v9
	v_lshlrev_b64 v[18:19], 3, v[11:12]
	v_add_co_u32 v16, vcc_lo, s2, v16
	v_add_co_ci_u32_e64 v17, null, s3, v17, vcc_lo
	v_add_co_u32 v20, vcc_lo, s2, v18
	v_add_co_ci_u32_e64 v21, null, s3, v19, vcc_lo
	s_clause 0x1
	global_load_dwordx4 v[16:19], v[16:17], off
	global_load_dwordx2 v[44:45], v[20:21], off
	s_waitcnt vmcnt(2)
	v_subrev_nc_u32_e32 v8, s8, v8
	v_mul_lo_u32 v40, v8, 14
	v_lshlrev_b64 v[20:21], 3, v[40:41]
	v_add_nc_u32_e32 v11, 2, v40
	v_lshlrev_b64 v[24:25], 3, v[11:12]
	v_add_co_u32 v20, vcc_lo, s4, v20
	v_add_co_ci_u32_e64 v21, null, s5, v21, vcc_lo
	v_add_nc_u32_e32 v11, -10, v9
	v_add_co_u32 v24, vcc_lo, s4, v24
	global_load_dwordx4 v[20:23], v[20:21], off
	v_add_co_ci_u32_e64 v25, null, s5, v25, vcc_lo
	v_lshlrev_b64 v[26:27], 3, v[11:12]
	v_add_nc_u32_e32 v11, -9, v9
	v_add_co_u32 v30, vcc_lo, s2, v26
	v_lshlrev_b64 v[28:29], 3, v[11:12]
	v_add_co_ci_u32_e64 v31, null, s3, v27, vcc_lo
	global_load_dwordx4 v[24:27], v[24:25], off
	v_add_nc_u32_e32 v11, 4, v40
	v_add_co_u32 v28, vcc_lo, s2, v28
	v_add_co_ci_u32_e64 v29, null, s3, v29, vcc_lo
	v_lshlrev_b64 v[32:33], 3, v[11:12]
	v_add_nc_u32_e32 v11, -8, v9
	s_clause 0x1
	global_load_dwordx2 v[46:47], v[30:31], off
	global_load_dwordx2 v[48:49], v[28:29], off
	v_add_co_u32 v30, vcc_lo, s4, v32
	v_lshlrev_b64 v[34:35], 3, v[11:12]
	v_add_nc_u32_e32 v11, -7, v9
	v_add_co_ci_u32_e64 v31, null, s5, v33, vcc_lo
	v_lshlrev_b64 v[32:33], 3, v[11:12]
	global_load_dwordx4 v[28:31], v[30:31], off
	v_add_nc_u32_e32 v11, 6, v40
	v_add_co_u32 v34, vcc_lo, s2, v34
	v_add_co_ci_u32_e64 v35, null, s3, v35, vcc_lo
	v_add_co_u32 v32, vcc_lo, s2, v32
	v_lshlrev_b64 v[36:37], 3, v[11:12]
	v_add_nc_u32_e32 v11, -6, v9
	v_add_co_ci_u32_e64 v33, null, s3, v33, vcc_lo
	s_clause 0x1
	global_load_dwordx2 v[50:51], v[34:35], off
	global_load_dwordx2 v[52:53], v[32:33], off
	v_lshlrev_b64 v[34:35], 3, v[11:12]
	v_add_co_u32 v32, vcc_lo, s4, v36
	v_add_nc_u32_e32 v11, -5, v9
	v_add_co_ci_u32_e64 v33, null, s5, v37, vcc_lo
	v_add_co_u32 v38, vcc_lo, s2, v34
	v_lshlrev_b64 v[36:37], 3, v[11:12]
	v_add_co_ci_u32_e64 v39, null, s3, v35, vcc_lo
	global_load_dwordx4 v[32:35], v[32:33], off
	v_add_nc_u32_e32 v11, 8, v40
	v_add_co_u32 v36, vcc_lo, s2, v36
	v_add_co_ci_u32_e64 v37, null, s3, v37, vcc_lo
	v_lshlrev_b64 v[41:42], 3, v[11:12]
	v_add_nc_u32_e32 v11, -4, v9
	s_clause 0x1
	global_load_dwordx2 v[54:55], v[38:39], off
	global_load_dwordx2 v[56:57], v[36:37], off
	v_lshlrev_b64 v[38:39], 3, v[11:12]
	v_add_nc_u32_e32 v11, -3, v9
	v_add_co_u32 v41, vcc_lo, s4, v41
	v_add_co_ci_u32_e64 v42, null, s5, v42, vcc_lo
	v_lshlrev_b64 v[58:59], 3, v[11:12]
	v_add_nc_u32_e32 v11, 10, v40
	v_add_co_u32 v60, vcc_lo, s2, v38
	v_add_co_ci_u32_e64 v61, null, s3, v39, vcc_lo
	global_load_dwordx4 v[36:39], v[41:42], off
	v_lshlrev_b64 v[41:42], 3, v[11:12]
	v_add_nc_u32_e32 v11, -2, v9
	v_add_co_u32 v58, vcc_lo, s2, v58
	global_load_dwordx2 v[60:61], v[60:61], off
	v_add_co_ci_u32_e64 v59, null, s3, v59, vcc_lo
	v_lshlrev_b64 v[62:63], 3, v[11:12]
	v_add_co_u32 v41, vcc_lo, s4, v41
	v_add_co_ci_u32_e64 v42, null, s5, v42, vcc_lo
	v_add_nc_u32_e32 v11, -1, v9
	v_add_co_u32 v62, vcc_lo, s2, v62
	v_add_co_ci_u32_e64 v63, null, s3, v63, vcc_lo
	v_lshlrev_b64 v[64:65], 3, v[11:12]
	v_add_nc_u32_e32 v11, 12, v40
	global_load_dwordx4 v[40:43], v[41:42], off
	s_waitcnt vmcnt(12)
	v_fmac_f32_e32 v15, v16, v20
	v_fmac_f32_e32 v13, v17, v20
	v_fma_f32 v8, -v17, v21, v15
	v_fmac_f32_e32 v13, v16, v21
	v_lshlrev_b64 v[15:16], 3, v[11:12]
	v_add_co_u32 v17, vcc_lo, s2, v64
	v_fmac_f32_e32 v8, v18, v22
	v_fmac_f32_e32 v13, v19, v22
	v_lshlrev_b64 v[10:11], 3, v[9:10]
	v_add_nc_u32_e32 v9, 0x380, v9
	v_fma_f32 v8, -v19, v23, v8
	s_clause 0x1
	global_load_dwordx2 v[19:20], v[62:63], off
	global_load_dwordx2 v[58:59], v[58:59], off
	v_fmac_f32_e32 v13, v18, v23
	v_add_co_ci_u32_e64 v18, null, s3, v65, vcc_lo
	v_add_co_u32 v15, vcc_lo, s4, v15
	v_add_co_ci_u32_e64 v16, null, s5, v16, vcc_lo
	global_load_dwordx2 v[21:22], v[17:18], off
	global_load_dwordx4 v[15:18], v[15:16], off
	v_add_co_u32 v10, vcc_lo, s2, v10
	v_add_co_ci_u32_e64 v11, null, s3, v11, vcc_lo
	s_waitcnt vmcnt(15)
	v_fmac_f32_e32 v8, v44, v24
	v_fmac_f32_e32 v13, v45, v24
	v_cmp_ge_i32_e32 vcc_lo, v7, v14
	global_load_dwordx2 v[10:11], v[10:11], off
	v_fma_f32 v8, -v45, v25, v8
	v_fmac_f32_e32 v13, v44, v25
	s_or_b32 s10, vcc_lo, s10
	s_waitcnt vmcnt(15)
	v_fmac_f32_e32 v8, v46, v26
	v_fmac_f32_e32 v13, v47, v26
	v_fma_f32 v8, -v47, v27, v8
	v_fmac_f32_e32 v13, v46, v27
	s_waitcnt vmcnt(13)
	v_fmac_f32_e32 v8, v48, v28
	v_fmac_f32_e32 v13, v49, v28
	v_fma_f32 v8, -v49, v29, v8
	v_fmac_f32_e32 v13, v48, v29
	;; [unrolled: 5-line block ×8, first 2 shown]
	v_fmac_f32_e32 v8, v19, v42
	v_fmac_f32_e32 v13, v20, v42
	v_fma_f32 v8, -v20, v43, v8
	v_fmac_f32_e32 v13, v19, v43
	s_waitcnt vmcnt(1)
	v_fmac_f32_e32 v8, v21, v15
	v_fmac_f32_e32 v13, v22, v15
	v_fma_f32 v8, -v22, v16, v8
	v_fmac_f32_e32 v13, v21, v16
	s_waitcnt vmcnt(0)
	v_fmac_f32_e32 v8, v10, v17
	v_fmac_f32_e32 v13, v11, v17
	v_fma_f32 v15, -v11, v18, v8
	v_fmac_f32_e32 v13, v10, v18
	s_andn2_b32 exec_lo, exec_lo, s10
	s_cbranch_execnz .LBB216_6
; %bb.7:
	s_or_b32 exec_lo, exec_lo, s10
.LBB216_8:
	s_or_b32 exec_lo, exec_lo, s9
	v_mbcnt_lo_u32_b32 v7, -1, 0
	v_or_b32_e32 v8, 32, v7
	v_xor_b32_e32 v10, 16, v7
	v_xor_b32_e32 v12, 8, v7
	v_cmp_gt_i32_e32 vcc_lo, 32, v8
	v_cndmask_b32_e32 v8, v7, v8, vcc_lo
	v_cmp_gt_i32_e32 vcc_lo, 32, v10
	v_lshlrev_b32_e32 v8, 2, v8
	v_cndmask_b32_e32 v10, v7, v10, vcc_lo
	v_cmp_gt_i32_e32 vcc_lo, 32, v12
	ds_bpermute_b32 v9, v8, v15
	ds_bpermute_b32 v8, v8, v13
	v_lshlrev_b32_e32 v10, 2, v10
	v_cndmask_b32_e32 v12, v7, v12, vcc_lo
	v_lshlrev_b32_e32 v12, 2, v12
	s_waitcnt lgkmcnt(1)
	v_add_f32_e32 v9, v15, v9
	s_waitcnt lgkmcnt(0)
	v_add_f32_e32 v8, v13, v8
	ds_bpermute_b32 v11, v10, v9
	ds_bpermute_b32 v10, v10, v8
	s_waitcnt lgkmcnt(1)
	v_add_f32_e32 v9, v9, v11
	s_waitcnt lgkmcnt(0)
	v_add_f32_e32 v8, v8, v10
	ds_bpermute_b32 v10, v12, v9
	ds_bpermute_b32 v11, v12, v8
	v_xor_b32_e32 v12, 4, v7
	v_cmp_gt_i32_e32 vcc_lo, 32, v12
	v_cndmask_b32_e32 v12, v7, v12, vcc_lo
	v_lshlrev_b32_e32 v12, 2, v12
	s_waitcnt lgkmcnt(1)
	v_add_f32_e32 v9, v9, v10
	s_waitcnt lgkmcnt(0)
	v_add_f32_e32 v8, v8, v11
	ds_bpermute_b32 v10, v12, v9
	ds_bpermute_b32 v11, v12, v8
	v_xor_b32_e32 v12, 2, v7
	v_cmp_gt_i32_e32 vcc_lo, 32, v12
	v_cndmask_b32_e32 v12, v7, v12, vcc_lo
	v_lshlrev_b32_e32 v12, 2, v12
	s_waitcnt lgkmcnt(1)
	v_add_f32_e32 v9, v9, v10
	s_waitcnt lgkmcnt(0)
	v_add_f32_e32 v8, v8, v11
	ds_bpermute_b32 v10, v12, v9
	ds_bpermute_b32 v11, v12, v8
	v_xor_b32_e32 v12, 1, v7
	v_cmp_gt_i32_e32 vcc_lo, 32, v12
	v_cndmask_b32_e32 v7, v7, v12, vcc_lo
	v_cmp_eq_u32_e32 vcc_lo, 63, v0
	v_lshlrev_b32_e32 v12, 2, v7
	s_waitcnt lgkmcnt(1)
	v_add_f32_e32 v7, v9, v10
	s_waitcnt lgkmcnt(0)
	v_add_f32_e32 v9, v8, v11
	ds_bpermute_b32 v8, v12, v7
	ds_bpermute_b32 v10, v12, v9
	s_and_b32 exec_lo, exec_lo, vcc_lo
	s_cbranch_execz .LBB216_13
; %bb.9:
	s_waitcnt lgkmcnt(0)
	v_add_f32_e32 v0, v9, v10
	v_add_f32_e32 v9, v7, v8
	v_cmp_eq_f32_e32 vcc_lo, 0, v1
	v_cmp_eq_f32_e64 s0, 0, v2
	v_lshlrev_b64 v[5:6], 3, v[5:6]
	v_mul_f32_e64 v7, v0, -v4
	v_mul_f32_e32 v8, v3, v0
	s_and_b32 s0, vcc_lo, s0
	v_fmac_f32_e32 v7, v3, v9
	v_fmac_f32_e32 v8, v4, v9
	s_and_saveexec_b32 s1, s0
	s_xor_b32 s0, exec_lo, s1
	s_cbranch_execz .LBB216_11
; %bb.10:
	v_add_co_u32 v0, vcc_lo, s6, v5
	v_add_co_ci_u32_e64 v1, null, s7, v6, vcc_lo
                                        ; implicit-def: $vgpr5_vgpr6
	global_store_dwordx2 v[0:1], v[7:8], off
                                        ; implicit-def: $vgpr1_vgpr2
                                        ; implicit-def: $vgpr7
.LBB216_11:
	s_andn2_saveexec_b32 s0, s0
	s_cbranch_execz .LBB216_13
; %bb.12:
	v_add_co_u32 v3, vcc_lo, s6, v5
	v_add_co_ci_u32_e64 v4, null, s7, v6, vcc_lo
	global_load_dwordx2 v[5:6], v[3:4], off
	s_waitcnt vmcnt(0)
	v_fmac_f32_e32 v7, v1, v5
	v_fmac_f32_e32 v8, v2, v5
	v_fma_f32 v7, -v2, v6, v7
	v_fmac_f32_e32 v8, v1, v6
	global_store_dwordx2 v[3:4], v[7:8], off
.LBB216_13:
	s_endpgm
	.section	.rodata,"a",@progbits
	.p2align	6, 0x0
	.amdhsa_kernel _ZN9rocsparseL19gebsrmvn_1xn_kernelILj128ELj14ELj64E21rocsparse_complex_numIfEEEvi20rocsparse_direction_NS_24const_host_device_scalarIT2_EEPKiS8_PKS5_SA_S6_PS5_21rocsparse_index_base_b
		.amdhsa_group_segment_fixed_size 0
		.amdhsa_private_segment_fixed_size 0
		.amdhsa_kernarg_size 72
		.amdhsa_user_sgpr_count 6
		.amdhsa_user_sgpr_private_segment_buffer 1
		.amdhsa_user_sgpr_dispatch_ptr 0
		.amdhsa_user_sgpr_queue_ptr 0
		.amdhsa_user_sgpr_kernarg_segment_ptr 1
		.amdhsa_user_sgpr_dispatch_id 0
		.amdhsa_user_sgpr_flat_scratch_init 0
		.amdhsa_user_sgpr_private_segment_size 0
		.amdhsa_wavefront_size32 1
		.amdhsa_uses_dynamic_stack 0
		.amdhsa_system_sgpr_private_segment_wavefront_offset 0
		.amdhsa_system_sgpr_workgroup_id_x 1
		.amdhsa_system_sgpr_workgroup_id_y 0
		.amdhsa_system_sgpr_workgroup_id_z 0
		.amdhsa_system_sgpr_workgroup_info 0
		.amdhsa_system_vgpr_workitem_id 0
		.amdhsa_next_free_vgpr 66
		.amdhsa_next_free_sgpr 13
		.amdhsa_reserve_vcc 1
		.amdhsa_reserve_flat_scratch 0
		.amdhsa_float_round_mode_32 0
		.amdhsa_float_round_mode_16_64 0
		.amdhsa_float_denorm_mode_32 3
		.amdhsa_float_denorm_mode_16_64 3
		.amdhsa_dx10_clamp 1
		.amdhsa_ieee_mode 1
		.amdhsa_fp16_overflow 0
		.amdhsa_workgroup_processor_mode 1
		.amdhsa_memory_ordered 1
		.amdhsa_forward_progress 1
		.amdhsa_shared_vgpr_count 0
		.amdhsa_exception_fp_ieee_invalid_op 0
		.amdhsa_exception_fp_denorm_src 0
		.amdhsa_exception_fp_ieee_div_zero 0
		.amdhsa_exception_fp_ieee_overflow 0
		.amdhsa_exception_fp_ieee_underflow 0
		.amdhsa_exception_fp_ieee_inexact 0
		.amdhsa_exception_int_div_zero 0
	.end_amdhsa_kernel
	.section	.text._ZN9rocsparseL19gebsrmvn_1xn_kernelILj128ELj14ELj64E21rocsparse_complex_numIfEEEvi20rocsparse_direction_NS_24const_host_device_scalarIT2_EEPKiS8_PKS5_SA_S6_PS5_21rocsparse_index_base_b,"axG",@progbits,_ZN9rocsparseL19gebsrmvn_1xn_kernelILj128ELj14ELj64E21rocsparse_complex_numIfEEEvi20rocsparse_direction_NS_24const_host_device_scalarIT2_EEPKiS8_PKS5_SA_S6_PS5_21rocsparse_index_base_b,comdat
.Lfunc_end216:
	.size	_ZN9rocsparseL19gebsrmvn_1xn_kernelILj128ELj14ELj64E21rocsparse_complex_numIfEEEvi20rocsparse_direction_NS_24const_host_device_scalarIT2_EEPKiS8_PKS5_SA_S6_PS5_21rocsparse_index_base_b, .Lfunc_end216-_ZN9rocsparseL19gebsrmvn_1xn_kernelILj128ELj14ELj64E21rocsparse_complex_numIfEEEvi20rocsparse_direction_NS_24const_host_device_scalarIT2_EEPKiS8_PKS5_SA_S6_PS5_21rocsparse_index_base_b
                                        ; -- End function
	.set _ZN9rocsparseL19gebsrmvn_1xn_kernelILj128ELj14ELj64E21rocsparse_complex_numIfEEEvi20rocsparse_direction_NS_24const_host_device_scalarIT2_EEPKiS8_PKS5_SA_S6_PS5_21rocsparse_index_base_b.num_vgpr, 66
	.set _ZN9rocsparseL19gebsrmvn_1xn_kernelILj128ELj14ELj64E21rocsparse_complex_numIfEEEvi20rocsparse_direction_NS_24const_host_device_scalarIT2_EEPKiS8_PKS5_SA_S6_PS5_21rocsparse_index_base_b.num_agpr, 0
	.set _ZN9rocsparseL19gebsrmvn_1xn_kernelILj128ELj14ELj64E21rocsparse_complex_numIfEEEvi20rocsparse_direction_NS_24const_host_device_scalarIT2_EEPKiS8_PKS5_SA_S6_PS5_21rocsparse_index_base_b.numbered_sgpr, 13
	.set _ZN9rocsparseL19gebsrmvn_1xn_kernelILj128ELj14ELj64E21rocsparse_complex_numIfEEEvi20rocsparse_direction_NS_24const_host_device_scalarIT2_EEPKiS8_PKS5_SA_S6_PS5_21rocsparse_index_base_b.num_named_barrier, 0
	.set _ZN9rocsparseL19gebsrmvn_1xn_kernelILj128ELj14ELj64E21rocsparse_complex_numIfEEEvi20rocsparse_direction_NS_24const_host_device_scalarIT2_EEPKiS8_PKS5_SA_S6_PS5_21rocsparse_index_base_b.private_seg_size, 0
	.set _ZN9rocsparseL19gebsrmvn_1xn_kernelILj128ELj14ELj64E21rocsparse_complex_numIfEEEvi20rocsparse_direction_NS_24const_host_device_scalarIT2_EEPKiS8_PKS5_SA_S6_PS5_21rocsparse_index_base_b.uses_vcc, 1
	.set _ZN9rocsparseL19gebsrmvn_1xn_kernelILj128ELj14ELj64E21rocsparse_complex_numIfEEEvi20rocsparse_direction_NS_24const_host_device_scalarIT2_EEPKiS8_PKS5_SA_S6_PS5_21rocsparse_index_base_b.uses_flat_scratch, 0
	.set _ZN9rocsparseL19gebsrmvn_1xn_kernelILj128ELj14ELj64E21rocsparse_complex_numIfEEEvi20rocsparse_direction_NS_24const_host_device_scalarIT2_EEPKiS8_PKS5_SA_S6_PS5_21rocsparse_index_base_b.has_dyn_sized_stack, 0
	.set _ZN9rocsparseL19gebsrmvn_1xn_kernelILj128ELj14ELj64E21rocsparse_complex_numIfEEEvi20rocsparse_direction_NS_24const_host_device_scalarIT2_EEPKiS8_PKS5_SA_S6_PS5_21rocsparse_index_base_b.has_recursion, 0
	.set _ZN9rocsparseL19gebsrmvn_1xn_kernelILj128ELj14ELj64E21rocsparse_complex_numIfEEEvi20rocsparse_direction_NS_24const_host_device_scalarIT2_EEPKiS8_PKS5_SA_S6_PS5_21rocsparse_index_base_b.has_indirect_call, 0
	.section	.AMDGPU.csdata,"",@progbits
; Kernel info:
; codeLenInByte = 1964
; TotalNumSgprs: 15
; NumVgprs: 66
; ScratchSize: 0
; MemoryBound: 0
; FloatMode: 240
; IeeeMode: 1
; LDSByteSize: 0 bytes/workgroup (compile time only)
; SGPRBlocks: 0
; VGPRBlocks: 8
; NumSGPRsForWavesPerEU: 15
; NumVGPRsForWavesPerEU: 66
; Occupancy: 12
; WaveLimiterHint : 1
; COMPUTE_PGM_RSRC2:SCRATCH_EN: 0
; COMPUTE_PGM_RSRC2:USER_SGPR: 6
; COMPUTE_PGM_RSRC2:TRAP_HANDLER: 0
; COMPUTE_PGM_RSRC2:TGID_X_EN: 1
; COMPUTE_PGM_RSRC2:TGID_Y_EN: 0
; COMPUTE_PGM_RSRC2:TGID_Z_EN: 0
; COMPUTE_PGM_RSRC2:TIDIG_COMP_CNT: 0
	.section	.text._ZN9rocsparseL19gebsrmvn_1xn_kernelILj128ELj15ELj4E21rocsparse_complex_numIfEEEvi20rocsparse_direction_NS_24const_host_device_scalarIT2_EEPKiS8_PKS5_SA_S6_PS5_21rocsparse_index_base_b,"axG",@progbits,_ZN9rocsparseL19gebsrmvn_1xn_kernelILj128ELj15ELj4E21rocsparse_complex_numIfEEEvi20rocsparse_direction_NS_24const_host_device_scalarIT2_EEPKiS8_PKS5_SA_S6_PS5_21rocsparse_index_base_b,comdat
	.globl	_ZN9rocsparseL19gebsrmvn_1xn_kernelILj128ELj15ELj4E21rocsparse_complex_numIfEEEvi20rocsparse_direction_NS_24const_host_device_scalarIT2_EEPKiS8_PKS5_SA_S6_PS5_21rocsparse_index_base_b ; -- Begin function _ZN9rocsparseL19gebsrmvn_1xn_kernelILj128ELj15ELj4E21rocsparse_complex_numIfEEEvi20rocsparse_direction_NS_24const_host_device_scalarIT2_EEPKiS8_PKS5_SA_S6_PS5_21rocsparse_index_base_b
	.p2align	8
	.type	_ZN9rocsparseL19gebsrmvn_1xn_kernelILj128ELj15ELj4E21rocsparse_complex_numIfEEEvi20rocsparse_direction_NS_24const_host_device_scalarIT2_EEPKiS8_PKS5_SA_S6_PS5_21rocsparse_index_base_b,@function
_ZN9rocsparseL19gebsrmvn_1xn_kernelILj128ELj15ELj4E21rocsparse_complex_numIfEEEvi20rocsparse_direction_NS_24const_host_device_scalarIT2_EEPKiS8_PKS5_SA_S6_PS5_21rocsparse_index_base_b: ; @_ZN9rocsparseL19gebsrmvn_1xn_kernelILj128ELj15ELj4E21rocsparse_complex_numIfEEEvi20rocsparse_direction_NS_24const_host_device_scalarIT2_EEPKiS8_PKS5_SA_S6_PS5_21rocsparse_index_base_b
; %bb.0:
	s_clause 0x2
	s_load_dwordx2 s[8:9], s[4:5], 0x40
	s_load_dwordx2 s[0:1], s[4:5], 0x8
	;; [unrolled: 1-line block ×3, first 2 shown]
	s_add_u32 s7, s4, 8
	s_addc_u32 s10, s5, 0
	s_add_u32 s11, s4, 48
	s_addc_u32 s12, s5, 0
	s_waitcnt lgkmcnt(0)
	s_bitcmp1_b32 s9, 0
	s_cselect_b32 s0, s7, s0
	s_cselect_b32 s1, s10, s1
	v_mov_b32_e32 v1, s0
	v_mov_b32_e32 v2, s1
	s_cselect_b32 s0, s11, s2
	s_cselect_b32 s1, s12, s3
	flat_load_dwordx2 v[3:4], v[1:2]
	v_mov_b32_e32 v1, s0
	v_mov_b32_e32 v2, s1
	flat_load_dwordx2 v[1:2], v[1:2]
	s_waitcnt vmcnt(1) lgkmcnt(1)
	v_cmp_eq_f32_e32 vcc_lo, 0, v3
	v_cmp_eq_f32_e64 s0, 0, v4
	s_and_b32 s2, vcc_lo, s0
	s_mov_b32 s0, -1
	s_and_saveexec_b32 s1, s2
	s_cbranch_execz .LBB217_2
; %bb.1:
	s_waitcnt vmcnt(0) lgkmcnt(0)
	v_cmp_neq_f32_e32 vcc_lo, 1.0, v1
	v_cmp_neq_f32_e64 s0, 0, v2
	s_or_b32 s0, vcc_lo, s0
	s_orn2_b32 s0, s0, exec_lo
.LBB217_2:
	s_or_b32 exec_lo, exec_lo, s1
	s_and_saveexec_b32 s1, s0
	s_cbranch_execz .LBB217_13
; %bb.3:
	s_load_dword s0, s[4:5], 0x0
	v_lshrrev_b32_e32 v5, 2, v0
	v_lshl_or_b32 v5, s6, 5, v5
	s_waitcnt lgkmcnt(0)
	v_cmp_gt_i32_e32 vcc_lo, s0, v5
	s_and_b32 exec_lo, exec_lo, vcc_lo
	s_cbranch_execz .LBB217_13
; %bb.4:
	s_clause 0x1
	s_load_dwordx2 s[0:1], s[4:5], 0x10
	s_load_dwordx2 s[6:7], s[4:5], 0x38
	v_ashrrev_i32_e32 v6, 31, v5
	v_and_b32_e32 v0, 3, v0
	v_mov_b32_e32 v15, 0
	v_mov_b32_e32 v17, 0
	s_mov_b32 s9, exec_lo
	v_lshlrev_b64 v[7:8], 2, v[5:6]
	v_subrev_nc_u32_e32 v9, s8, v0
	s_waitcnt lgkmcnt(0)
	v_add_co_u32 v7, vcc_lo, s0, v7
	v_add_co_ci_u32_e64 v8, null, s1, v8, vcc_lo
	global_load_dwordx2 v[7:8], v[7:8], off
	s_waitcnt vmcnt(0)
	v_subrev_nc_u32_e32 v16, s8, v8
	v_add_nc_u32_e32 v7, v7, v9
	v_cmpx_lt_i32_e64 v7, v16
	s_cbranch_execz .LBB217_8
; %bb.5:
	s_clause 0x1
	s_load_dwordx4 s[0:3], s[4:5], 0x18
	s_load_dwordx2 s[4:5], s[4:5], 0x28
	v_mad_u64_u32 v[9:10], null, v7, 15, 14
	v_mov_b32_e32 v12, 0
	v_mov_b32_e32 v15, 0
	;; [unrolled: 1-line block ×3, first 2 shown]
	s_mov_b32 s10, 0
.LBB217_6:                              ; =>This Inner Loop Header: Depth=1
	v_ashrrev_i32_e32 v8, 31, v7
	v_add_nc_u32_e32 v11, -14, v9
	v_mov_b32_e32 v10, v12
	v_mov_b32_e32 v14, v12
	v_lshlrev_b64 v[20:21], 2, v[7:8]
	v_lshlrev_b64 v[18:19], 3, v[11:12]
	v_add_nc_u32_e32 v11, -13, v9
	v_lshlrev_b64 v[22:23], 3, v[9:10]
	v_add_nc_u32_e32 v7, 4, v7
	s_waitcnt lgkmcnt(0)
	v_add_co_u32 v20, vcc_lo, s0, v20
	v_add_co_ci_u32_e64 v21, null, s1, v21, vcc_lo
	v_lshlrev_b64 v[10:11], 3, v[11:12]
	v_add_co_u32 v18, vcc_lo, s2, v18
	global_load_dword v8, v[20:21], off
	v_add_co_ci_u32_e64 v19, null, s3, v19, vcc_lo
	v_add_co_u32 v22, vcc_lo, s2, v22
	v_add_co_ci_u32_e64 v23, null, s3, v23, vcc_lo
	v_add_co_u32 v10, vcc_lo, s2, v10
	v_add_co_ci_u32_e64 v11, null, s3, v11, vcc_lo
	s_clause 0x1
	global_load_dwordx2 v[18:19], v[18:19], off
	global_load_dwordx2 v[20:21], v[10:11], off
	s_waitcnt vmcnt(2)
	v_subrev_nc_u32_e32 v8, s8, v8
	v_mul_lo_u32 v13, v8, 15
	v_lshlrev_b64 v[24:25], 3, v[13:14]
	v_add_nc_u32_e32 v11, 1, v13
	v_lshlrev_b64 v[26:27], 3, v[11:12]
	v_add_co_u32 v24, vcc_lo, s4, v24
	v_add_co_ci_u32_e64 v25, null, s5, v25, vcc_lo
	v_add_nc_u32_e32 v11, -12, v9
	v_add_co_u32 v26, vcc_lo, s4, v26
	global_load_dwordx2 v[24:25], v[24:25], off
	v_add_co_ci_u32_e64 v27, null, s5, v27, vcc_lo
	v_lshlrev_b64 v[28:29], 3, v[11:12]
	v_add_nc_u32_e32 v11, 2, v13
	global_load_dwordx2 v[26:27], v[26:27], off
	v_lshlrev_b64 v[30:31], 3, v[11:12]
	v_add_nc_u32_e32 v11, -11, v9
	v_add_co_u32 v28, vcc_lo, s2, v28
	v_add_co_ci_u32_e64 v29, null, s3, v29, vcc_lo
	v_lshlrev_b64 v[32:33], 3, v[11:12]
	v_add_nc_u32_e32 v11, 3, v13
	v_add_co_u32 v30, vcc_lo, s4, v30
	v_add_co_ci_u32_e64 v31, null, s5, v31, vcc_lo
	v_lshlrev_b64 v[34:35], 3, v[11:12]
	v_add_nc_u32_e32 v11, -10, v9
	v_add_co_u32 v32, vcc_lo, s2, v32
	v_add_co_ci_u32_e64 v33, null, s3, v33, vcc_lo
	v_lshlrev_b64 v[36:37], 3, v[11:12]
	v_add_nc_u32_e32 v11, 4, v13
	v_add_co_u32 v34, vcc_lo, s4, v34
	v_add_co_ci_u32_e64 v35, null, s5, v35, vcc_lo
	;; [unrolled: 8-line block ×9, first 2 shown]
	s_waitcnt vmcnt(1)
	v_fmac_f32_e32 v17, v18, v24
	v_fmac_f32_e32 v15, v19, v24
	v_add_co_u32 v24, vcc_lo, s2, v64
	v_fma_f32 v8, -v19, v25, v17
	v_fmac_f32_e32 v15, v18, v25
	v_lshlrev_b64 v[17:18], 3, v[11:12]
	v_add_nc_u32_e32 v11, -2, v9
	v_add_co_ci_u32_e64 v25, null, s3, v65, vcc_lo
	s_waitcnt vmcnt(0)
	v_fmac_f32_e32 v15, v21, v26
	v_fmac_f32_e32 v8, v20, v26
	v_lshlrev_b64 v[64:65], 3, v[11:12]
	v_add_nc_u32_e32 v11, 12, v13
	v_add_co_u32 v17, vcc_lo, s4, v17
	v_fmac_f32_e32 v15, v20, v27
	v_add_co_ci_u32_e64 v18, null, s5, v18, vcc_lo
	v_lshlrev_b64 v[19:20], 3, v[11:12]
	v_add_co_u32 v26, vcc_lo, s2, v64
	v_fma_f32 v8, -v21, v27, v8
	v_add_co_ci_u32_e64 v27, null, s3, v65, vcc_lo
	v_add_co_u32 v19, vcc_lo, s4, v19
	v_add_co_ci_u32_e64 v20, null, s5, v20, vcc_lo
	global_load_dwordx2 v[28:29], v[28:29], off
	global_load_dwordx2 v[30:31], v[30:31], off
	;; [unrolled: 1-line block ×22, first 2 shown]
	v_add_nc_u32_e32 v11, -1, v9
	v_add_nc_u32_e32 v9, 60, v9
	v_lshlrev_b64 v[64:65], 3, v[11:12]
	v_add_nc_u32_e32 v11, 13, v13
	v_lshlrev_b64 v[66:67], 3, v[11:12]
	v_add_nc_u32_e32 v11, 14, v13
	v_add_co_u32 v13, vcc_lo, s2, v64
	v_add_co_ci_u32_e64 v14, null, s3, v65, vcc_lo
	v_add_co_u32 v64, vcc_lo, s4, v66
	v_add_co_ci_u32_e64 v65, null, s5, v67, vcc_lo
	v_lshlrev_b64 v[10:11], 3, v[11:12]
	v_add_co_u32 v10, vcc_lo, s4, v10
	v_add_co_ci_u32_e64 v11, null, s5, v11, vcc_lo
	v_cmp_ge_i32_e32 vcc_lo, v7, v16
	s_or_b32 s10, vcc_lo, s10
	s_waitcnt vmcnt(20)
	v_fmac_f32_e32 v8, v28, v30
	v_fmac_f32_e32 v15, v29, v30
	v_fma_f32 v8, -v29, v31, v8
	v_fmac_f32_e32 v15, v28, v31
	global_load_dwordx2 v[13:14], v[13:14], off
	global_load_dwordx2 v[28:29], v[64:65], off
	;; [unrolled: 1-line block ×4, first 2 shown]
	s_waitcnt vmcnt(22)
	v_fmac_f32_e32 v8, v32, v34
	v_fmac_f32_e32 v15, v33, v34
	v_fma_f32 v8, -v33, v35, v8
	v_fmac_f32_e32 v15, v32, v35
	s_waitcnt vmcnt(20)
	v_fmac_f32_e32 v8, v36, v38
	v_fmac_f32_e32 v15, v37, v38
	v_fma_f32 v8, -v37, v39, v8
	v_fmac_f32_e32 v15, v36, v39
	;; [unrolled: 5-line block ×12, first 2 shown]
	s_andn2_b32 exec_lo, exec_lo, s10
	s_cbranch_execnz .LBB217_6
; %bb.7:
	s_or_b32 exec_lo, exec_lo, s10
.LBB217_8:
	s_or_b32 exec_lo, exec_lo, s9
	v_mbcnt_lo_u32_b32 v7, -1, 0
	v_xor_b32_e32 v8, 2, v7
	v_xor_b32_e32 v10, 1, v7
	v_cmp_gt_i32_e32 vcc_lo, 32, v8
	v_cndmask_b32_e32 v8, v7, v8, vcc_lo
	v_cmp_gt_i32_e32 vcc_lo, 32, v10
	v_lshlrev_b32_e32 v8, 2, v8
	v_cndmask_b32_e32 v7, v7, v10, vcc_lo
	v_cmp_eq_u32_e32 vcc_lo, 3, v0
	ds_bpermute_b32 v9, v8, v17
	ds_bpermute_b32 v8, v8, v15
	v_lshlrev_b32_e32 v10, 2, v7
	s_waitcnt lgkmcnt(1)
	v_add_f32_e32 v7, v17, v9
	s_waitcnt lgkmcnt(0)
	v_add_f32_e32 v9, v15, v8
	ds_bpermute_b32 v8, v10, v7
	ds_bpermute_b32 v10, v10, v9
	s_and_b32 exec_lo, exec_lo, vcc_lo
	s_cbranch_execz .LBB217_13
; %bb.9:
	s_waitcnt lgkmcnt(0)
	v_add_f32_e32 v0, v9, v10
	v_add_f32_e32 v9, v7, v8
	v_cmp_eq_f32_e32 vcc_lo, 0, v1
	v_cmp_eq_f32_e64 s0, 0, v2
	v_lshlrev_b64 v[5:6], 3, v[5:6]
	v_mul_f32_e64 v7, v0, -v4
	v_mul_f32_e32 v8, v3, v0
	s_and_b32 s0, vcc_lo, s0
	v_fmac_f32_e32 v7, v3, v9
	v_fmac_f32_e32 v8, v4, v9
	s_and_saveexec_b32 s1, s0
	s_xor_b32 s0, exec_lo, s1
	s_cbranch_execz .LBB217_11
; %bb.10:
	v_add_co_u32 v0, vcc_lo, s6, v5
	v_add_co_ci_u32_e64 v1, null, s7, v6, vcc_lo
                                        ; implicit-def: $vgpr5_vgpr6
	global_store_dwordx2 v[0:1], v[7:8], off
                                        ; implicit-def: $vgpr1_vgpr2
                                        ; implicit-def: $vgpr7
.LBB217_11:
	s_andn2_saveexec_b32 s0, s0
	s_cbranch_execz .LBB217_13
; %bb.12:
	v_add_co_u32 v3, vcc_lo, s6, v5
	v_add_co_ci_u32_e64 v4, null, s7, v6, vcc_lo
	global_load_dwordx2 v[5:6], v[3:4], off
	s_waitcnt vmcnt(0)
	v_fmac_f32_e32 v7, v1, v5
	v_fmac_f32_e32 v8, v2, v5
	v_fma_f32 v7, -v2, v6, v7
	v_fmac_f32_e32 v8, v1, v6
	global_store_dwordx2 v[3:4], v[7:8], off
.LBB217_13:
	s_endpgm
	.section	.rodata,"a",@progbits
	.p2align	6, 0x0
	.amdhsa_kernel _ZN9rocsparseL19gebsrmvn_1xn_kernelILj128ELj15ELj4E21rocsparse_complex_numIfEEEvi20rocsparse_direction_NS_24const_host_device_scalarIT2_EEPKiS8_PKS5_SA_S6_PS5_21rocsparse_index_base_b
		.amdhsa_group_segment_fixed_size 0
		.amdhsa_private_segment_fixed_size 0
		.amdhsa_kernarg_size 72
		.amdhsa_user_sgpr_count 6
		.amdhsa_user_sgpr_private_segment_buffer 1
		.amdhsa_user_sgpr_dispatch_ptr 0
		.amdhsa_user_sgpr_queue_ptr 0
		.amdhsa_user_sgpr_kernarg_segment_ptr 1
		.amdhsa_user_sgpr_dispatch_id 0
		.amdhsa_user_sgpr_flat_scratch_init 0
		.amdhsa_user_sgpr_private_segment_size 0
		.amdhsa_wavefront_size32 1
		.amdhsa_uses_dynamic_stack 0
		.amdhsa_system_sgpr_private_segment_wavefront_offset 0
		.amdhsa_system_sgpr_workgroup_id_x 1
		.amdhsa_system_sgpr_workgroup_id_y 0
		.amdhsa_system_sgpr_workgroup_id_z 0
		.amdhsa_system_sgpr_workgroup_info 0
		.amdhsa_system_vgpr_workitem_id 0
		.amdhsa_next_free_vgpr 68
		.amdhsa_next_free_sgpr 13
		.amdhsa_reserve_vcc 1
		.amdhsa_reserve_flat_scratch 0
		.amdhsa_float_round_mode_32 0
		.amdhsa_float_round_mode_16_64 0
		.amdhsa_float_denorm_mode_32 3
		.amdhsa_float_denorm_mode_16_64 3
		.amdhsa_dx10_clamp 1
		.amdhsa_ieee_mode 1
		.amdhsa_fp16_overflow 0
		.amdhsa_workgroup_processor_mode 1
		.amdhsa_memory_ordered 1
		.amdhsa_forward_progress 1
		.amdhsa_shared_vgpr_count 0
		.amdhsa_exception_fp_ieee_invalid_op 0
		.amdhsa_exception_fp_denorm_src 0
		.amdhsa_exception_fp_ieee_div_zero 0
		.amdhsa_exception_fp_ieee_overflow 0
		.amdhsa_exception_fp_ieee_underflow 0
		.amdhsa_exception_fp_ieee_inexact 0
		.amdhsa_exception_int_div_zero 0
	.end_amdhsa_kernel
	.section	.text._ZN9rocsparseL19gebsrmvn_1xn_kernelILj128ELj15ELj4E21rocsparse_complex_numIfEEEvi20rocsparse_direction_NS_24const_host_device_scalarIT2_EEPKiS8_PKS5_SA_S6_PS5_21rocsparse_index_base_b,"axG",@progbits,_ZN9rocsparseL19gebsrmvn_1xn_kernelILj128ELj15ELj4E21rocsparse_complex_numIfEEEvi20rocsparse_direction_NS_24const_host_device_scalarIT2_EEPKiS8_PKS5_SA_S6_PS5_21rocsparse_index_base_b,comdat
.Lfunc_end217:
	.size	_ZN9rocsparseL19gebsrmvn_1xn_kernelILj128ELj15ELj4E21rocsparse_complex_numIfEEEvi20rocsparse_direction_NS_24const_host_device_scalarIT2_EEPKiS8_PKS5_SA_S6_PS5_21rocsparse_index_base_b, .Lfunc_end217-_ZN9rocsparseL19gebsrmvn_1xn_kernelILj128ELj15ELj4E21rocsparse_complex_numIfEEEvi20rocsparse_direction_NS_24const_host_device_scalarIT2_EEPKiS8_PKS5_SA_S6_PS5_21rocsparse_index_base_b
                                        ; -- End function
	.set _ZN9rocsparseL19gebsrmvn_1xn_kernelILj128ELj15ELj4E21rocsparse_complex_numIfEEEvi20rocsparse_direction_NS_24const_host_device_scalarIT2_EEPKiS8_PKS5_SA_S6_PS5_21rocsparse_index_base_b.num_vgpr, 68
	.set _ZN9rocsparseL19gebsrmvn_1xn_kernelILj128ELj15ELj4E21rocsparse_complex_numIfEEEvi20rocsparse_direction_NS_24const_host_device_scalarIT2_EEPKiS8_PKS5_SA_S6_PS5_21rocsparse_index_base_b.num_agpr, 0
	.set _ZN9rocsparseL19gebsrmvn_1xn_kernelILj128ELj15ELj4E21rocsparse_complex_numIfEEEvi20rocsparse_direction_NS_24const_host_device_scalarIT2_EEPKiS8_PKS5_SA_S6_PS5_21rocsparse_index_base_b.numbered_sgpr, 13
	.set _ZN9rocsparseL19gebsrmvn_1xn_kernelILj128ELj15ELj4E21rocsparse_complex_numIfEEEvi20rocsparse_direction_NS_24const_host_device_scalarIT2_EEPKiS8_PKS5_SA_S6_PS5_21rocsparse_index_base_b.num_named_barrier, 0
	.set _ZN9rocsparseL19gebsrmvn_1xn_kernelILj128ELj15ELj4E21rocsparse_complex_numIfEEEvi20rocsparse_direction_NS_24const_host_device_scalarIT2_EEPKiS8_PKS5_SA_S6_PS5_21rocsparse_index_base_b.private_seg_size, 0
	.set _ZN9rocsparseL19gebsrmvn_1xn_kernelILj128ELj15ELj4E21rocsparse_complex_numIfEEEvi20rocsparse_direction_NS_24const_host_device_scalarIT2_EEPKiS8_PKS5_SA_S6_PS5_21rocsparse_index_base_b.uses_vcc, 1
	.set _ZN9rocsparseL19gebsrmvn_1xn_kernelILj128ELj15ELj4E21rocsparse_complex_numIfEEEvi20rocsparse_direction_NS_24const_host_device_scalarIT2_EEPKiS8_PKS5_SA_S6_PS5_21rocsparse_index_base_b.uses_flat_scratch, 0
	.set _ZN9rocsparseL19gebsrmvn_1xn_kernelILj128ELj15ELj4E21rocsparse_complex_numIfEEEvi20rocsparse_direction_NS_24const_host_device_scalarIT2_EEPKiS8_PKS5_SA_S6_PS5_21rocsparse_index_base_b.has_dyn_sized_stack, 0
	.set _ZN9rocsparseL19gebsrmvn_1xn_kernelILj128ELj15ELj4E21rocsparse_complex_numIfEEEvi20rocsparse_direction_NS_24const_host_device_scalarIT2_EEPKiS8_PKS5_SA_S6_PS5_21rocsparse_index_base_b.has_recursion, 0
	.set _ZN9rocsparseL19gebsrmvn_1xn_kernelILj128ELj15ELj4E21rocsparse_complex_numIfEEEvi20rocsparse_direction_NS_24const_host_device_scalarIT2_EEPKiS8_PKS5_SA_S6_PS5_21rocsparse_index_base_b.has_indirect_call, 0
	.section	.AMDGPU.csdata,"",@progbits
; Kernel info:
; codeLenInByte = 2144
; TotalNumSgprs: 15
; NumVgprs: 68
; ScratchSize: 0
; MemoryBound: 0
; FloatMode: 240
; IeeeMode: 1
; LDSByteSize: 0 bytes/workgroup (compile time only)
; SGPRBlocks: 0
; VGPRBlocks: 8
; NumSGPRsForWavesPerEU: 15
; NumVGPRsForWavesPerEU: 68
; Occupancy: 12
; WaveLimiterHint : 1
; COMPUTE_PGM_RSRC2:SCRATCH_EN: 0
; COMPUTE_PGM_RSRC2:USER_SGPR: 6
; COMPUTE_PGM_RSRC2:TRAP_HANDLER: 0
; COMPUTE_PGM_RSRC2:TGID_X_EN: 1
; COMPUTE_PGM_RSRC2:TGID_Y_EN: 0
; COMPUTE_PGM_RSRC2:TGID_Z_EN: 0
; COMPUTE_PGM_RSRC2:TIDIG_COMP_CNT: 0
	.section	.text._ZN9rocsparseL19gebsrmvn_1xn_kernelILj128ELj15ELj8E21rocsparse_complex_numIfEEEvi20rocsparse_direction_NS_24const_host_device_scalarIT2_EEPKiS8_PKS5_SA_S6_PS5_21rocsparse_index_base_b,"axG",@progbits,_ZN9rocsparseL19gebsrmvn_1xn_kernelILj128ELj15ELj8E21rocsparse_complex_numIfEEEvi20rocsparse_direction_NS_24const_host_device_scalarIT2_EEPKiS8_PKS5_SA_S6_PS5_21rocsparse_index_base_b,comdat
	.globl	_ZN9rocsparseL19gebsrmvn_1xn_kernelILj128ELj15ELj8E21rocsparse_complex_numIfEEEvi20rocsparse_direction_NS_24const_host_device_scalarIT2_EEPKiS8_PKS5_SA_S6_PS5_21rocsparse_index_base_b ; -- Begin function _ZN9rocsparseL19gebsrmvn_1xn_kernelILj128ELj15ELj8E21rocsparse_complex_numIfEEEvi20rocsparse_direction_NS_24const_host_device_scalarIT2_EEPKiS8_PKS5_SA_S6_PS5_21rocsparse_index_base_b
	.p2align	8
	.type	_ZN9rocsparseL19gebsrmvn_1xn_kernelILj128ELj15ELj8E21rocsparse_complex_numIfEEEvi20rocsparse_direction_NS_24const_host_device_scalarIT2_EEPKiS8_PKS5_SA_S6_PS5_21rocsparse_index_base_b,@function
_ZN9rocsparseL19gebsrmvn_1xn_kernelILj128ELj15ELj8E21rocsparse_complex_numIfEEEvi20rocsparse_direction_NS_24const_host_device_scalarIT2_EEPKiS8_PKS5_SA_S6_PS5_21rocsparse_index_base_b: ; @_ZN9rocsparseL19gebsrmvn_1xn_kernelILj128ELj15ELj8E21rocsparse_complex_numIfEEEvi20rocsparse_direction_NS_24const_host_device_scalarIT2_EEPKiS8_PKS5_SA_S6_PS5_21rocsparse_index_base_b
; %bb.0:
	s_clause 0x2
	s_load_dwordx2 s[8:9], s[4:5], 0x40
	s_load_dwordx2 s[0:1], s[4:5], 0x8
	;; [unrolled: 1-line block ×3, first 2 shown]
	s_add_u32 s7, s4, 8
	s_addc_u32 s10, s5, 0
	s_add_u32 s11, s4, 48
	s_addc_u32 s12, s5, 0
	s_waitcnt lgkmcnt(0)
	s_bitcmp1_b32 s9, 0
	s_cselect_b32 s0, s7, s0
	s_cselect_b32 s1, s10, s1
	v_mov_b32_e32 v1, s0
	v_mov_b32_e32 v2, s1
	s_cselect_b32 s0, s11, s2
	s_cselect_b32 s1, s12, s3
	flat_load_dwordx2 v[3:4], v[1:2]
	v_mov_b32_e32 v1, s0
	v_mov_b32_e32 v2, s1
	flat_load_dwordx2 v[1:2], v[1:2]
	s_waitcnt vmcnt(1) lgkmcnt(1)
	v_cmp_eq_f32_e32 vcc_lo, 0, v3
	v_cmp_eq_f32_e64 s0, 0, v4
	s_and_b32 s2, vcc_lo, s0
	s_mov_b32 s0, -1
	s_and_saveexec_b32 s1, s2
	s_cbranch_execz .LBB218_2
; %bb.1:
	s_waitcnt vmcnt(0) lgkmcnt(0)
	v_cmp_neq_f32_e32 vcc_lo, 1.0, v1
	v_cmp_neq_f32_e64 s0, 0, v2
	s_or_b32 s0, vcc_lo, s0
	s_orn2_b32 s0, s0, exec_lo
.LBB218_2:
	s_or_b32 exec_lo, exec_lo, s1
	s_and_saveexec_b32 s1, s0
	s_cbranch_execz .LBB218_13
; %bb.3:
	s_load_dword s0, s[4:5], 0x0
	v_lshrrev_b32_e32 v5, 3, v0
	v_lshl_or_b32 v5, s6, 4, v5
	s_waitcnt lgkmcnt(0)
	v_cmp_gt_i32_e32 vcc_lo, s0, v5
	s_and_b32 exec_lo, exec_lo, vcc_lo
	s_cbranch_execz .LBB218_13
; %bb.4:
	s_clause 0x1
	s_load_dwordx2 s[0:1], s[4:5], 0x10
	s_load_dwordx2 s[6:7], s[4:5], 0x38
	v_ashrrev_i32_e32 v6, 31, v5
	v_and_b32_e32 v0, 7, v0
	v_mov_b32_e32 v15, 0
	v_mov_b32_e32 v17, 0
	s_mov_b32 s9, exec_lo
	v_lshlrev_b64 v[7:8], 2, v[5:6]
	v_subrev_nc_u32_e32 v9, s8, v0
	s_waitcnt lgkmcnt(0)
	v_add_co_u32 v7, vcc_lo, s0, v7
	v_add_co_ci_u32_e64 v8, null, s1, v8, vcc_lo
	global_load_dwordx2 v[7:8], v[7:8], off
	s_waitcnt vmcnt(0)
	v_subrev_nc_u32_e32 v16, s8, v8
	v_add_nc_u32_e32 v7, v7, v9
	v_cmpx_lt_i32_e64 v7, v16
	s_cbranch_execz .LBB218_8
; %bb.5:
	s_clause 0x1
	s_load_dwordx4 s[0:3], s[4:5], 0x18
	s_load_dwordx2 s[4:5], s[4:5], 0x28
	v_mad_u64_u32 v[9:10], null, v7, 15, 14
	v_mov_b32_e32 v12, 0
	v_mov_b32_e32 v15, 0
	;; [unrolled: 1-line block ×3, first 2 shown]
	s_mov_b32 s10, 0
.LBB218_6:                              ; =>This Inner Loop Header: Depth=1
	v_ashrrev_i32_e32 v8, 31, v7
	v_add_nc_u32_e32 v11, -14, v9
	v_mov_b32_e32 v10, v12
	v_mov_b32_e32 v14, v12
	v_lshlrev_b64 v[20:21], 2, v[7:8]
	v_lshlrev_b64 v[18:19], 3, v[11:12]
	v_add_nc_u32_e32 v11, -13, v9
	v_lshlrev_b64 v[22:23], 3, v[9:10]
	v_add_nc_u32_e32 v7, 8, v7
	s_waitcnt lgkmcnt(0)
	v_add_co_u32 v20, vcc_lo, s0, v20
	v_add_co_ci_u32_e64 v21, null, s1, v21, vcc_lo
	v_lshlrev_b64 v[10:11], 3, v[11:12]
	v_add_co_u32 v18, vcc_lo, s2, v18
	global_load_dword v8, v[20:21], off
	v_add_co_ci_u32_e64 v19, null, s3, v19, vcc_lo
	v_add_co_u32 v22, vcc_lo, s2, v22
	v_add_co_ci_u32_e64 v23, null, s3, v23, vcc_lo
	v_add_co_u32 v10, vcc_lo, s2, v10
	v_add_co_ci_u32_e64 v11, null, s3, v11, vcc_lo
	s_clause 0x1
	global_load_dwordx2 v[18:19], v[18:19], off
	global_load_dwordx2 v[20:21], v[10:11], off
	s_waitcnt vmcnt(2)
	v_subrev_nc_u32_e32 v8, s8, v8
	v_mul_lo_u32 v13, v8, 15
	v_lshlrev_b64 v[24:25], 3, v[13:14]
	v_add_nc_u32_e32 v11, 1, v13
	v_lshlrev_b64 v[26:27], 3, v[11:12]
	v_add_co_u32 v24, vcc_lo, s4, v24
	v_add_co_ci_u32_e64 v25, null, s5, v25, vcc_lo
	v_add_nc_u32_e32 v11, -12, v9
	v_add_co_u32 v26, vcc_lo, s4, v26
	global_load_dwordx2 v[24:25], v[24:25], off
	v_add_co_ci_u32_e64 v27, null, s5, v27, vcc_lo
	v_lshlrev_b64 v[28:29], 3, v[11:12]
	v_add_nc_u32_e32 v11, 2, v13
	global_load_dwordx2 v[26:27], v[26:27], off
	v_lshlrev_b64 v[30:31], 3, v[11:12]
	v_add_nc_u32_e32 v11, -11, v9
	v_add_co_u32 v28, vcc_lo, s2, v28
	v_add_co_ci_u32_e64 v29, null, s3, v29, vcc_lo
	v_lshlrev_b64 v[32:33], 3, v[11:12]
	v_add_nc_u32_e32 v11, 3, v13
	v_add_co_u32 v30, vcc_lo, s4, v30
	v_add_co_ci_u32_e64 v31, null, s5, v31, vcc_lo
	v_lshlrev_b64 v[34:35], 3, v[11:12]
	v_add_nc_u32_e32 v11, -10, v9
	v_add_co_u32 v32, vcc_lo, s2, v32
	v_add_co_ci_u32_e64 v33, null, s3, v33, vcc_lo
	v_lshlrev_b64 v[36:37], 3, v[11:12]
	v_add_nc_u32_e32 v11, 4, v13
	v_add_co_u32 v34, vcc_lo, s4, v34
	v_add_co_ci_u32_e64 v35, null, s5, v35, vcc_lo
	;; [unrolled: 8-line block ×9, first 2 shown]
	s_waitcnt vmcnt(1)
	v_fmac_f32_e32 v17, v18, v24
	v_fmac_f32_e32 v15, v19, v24
	v_add_co_u32 v24, vcc_lo, s2, v64
	v_fma_f32 v8, -v19, v25, v17
	v_fmac_f32_e32 v15, v18, v25
	v_lshlrev_b64 v[17:18], 3, v[11:12]
	v_add_nc_u32_e32 v11, -2, v9
	v_add_co_ci_u32_e64 v25, null, s3, v65, vcc_lo
	s_waitcnt vmcnt(0)
	v_fmac_f32_e32 v15, v21, v26
	v_fmac_f32_e32 v8, v20, v26
	v_lshlrev_b64 v[64:65], 3, v[11:12]
	v_add_nc_u32_e32 v11, 12, v13
	v_add_co_u32 v17, vcc_lo, s4, v17
	v_fmac_f32_e32 v15, v20, v27
	v_add_co_ci_u32_e64 v18, null, s5, v18, vcc_lo
	v_lshlrev_b64 v[19:20], 3, v[11:12]
	v_add_co_u32 v26, vcc_lo, s2, v64
	v_fma_f32 v8, -v21, v27, v8
	v_add_co_ci_u32_e64 v27, null, s3, v65, vcc_lo
	v_add_co_u32 v19, vcc_lo, s4, v19
	v_add_co_ci_u32_e64 v20, null, s5, v20, vcc_lo
	global_load_dwordx2 v[28:29], v[28:29], off
	global_load_dwordx2 v[30:31], v[30:31], off
	;; [unrolled: 1-line block ×22, first 2 shown]
	v_add_nc_u32_e32 v11, -1, v9
	v_add_nc_u32_e32 v9, 0x78, v9
	v_lshlrev_b64 v[64:65], 3, v[11:12]
	v_add_nc_u32_e32 v11, 13, v13
	v_lshlrev_b64 v[66:67], 3, v[11:12]
	v_add_nc_u32_e32 v11, 14, v13
	v_add_co_u32 v13, vcc_lo, s2, v64
	v_add_co_ci_u32_e64 v14, null, s3, v65, vcc_lo
	v_add_co_u32 v64, vcc_lo, s4, v66
	v_add_co_ci_u32_e64 v65, null, s5, v67, vcc_lo
	v_lshlrev_b64 v[10:11], 3, v[11:12]
	v_add_co_u32 v10, vcc_lo, s4, v10
	v_add_co_ci_u32_e64 v11, null, s5, v11, vcc_lo
	v_cmp_ge_i32_e32 vcc_lo, v7, v16
	s_or_b32 s10, vcc_lo, s10
	s_waitcnt vmcnt(20)
	v_fmac_f32_e32 v8, v28, v30
	v_fmac_f32_e32 v15, v29, v30
	v_fma_f32 v8, -v29, v31, v8
	v_fmac_f32_e32 v15, v28, v31
	global_load_dwordx2 v[13:14], v[13:14], off
	global_load_dwordx2 v[28:29], v[64:65], off
	;; [unrolled: 1-line block ×4, first 2 shown]
	s_waitcnt vmcnt(22)
	v_fmac_f32_e32 v8, v32, v34
	v_fmac_f32_e32 v15, v33, v34
	v_fma_f32 v8, -v33, v35, v8
	v_fmac_f32_e32 v15, v32, v35
	s_waitcnt vmcnt(20)
	v_fmac_f32_e32 v8, v36, v38
	v_fmac_f32_e32 v15, v37, v38
	v_fma_f32 v8, -v37, v39, v8
	v_fmac_f32_e32 v15, v36, v39
	;; [unrolled: 5-line block ×12, first 2 shown]
	s_andn2_b32 exec_lo, exec_lo, s10
	s_cbranch_execnz .LBB218_6
; %bb.7:
	s_or_b32 exec_lo, exec_lo, s10
.LBB218_8:
	s_or_b32 exec_lo, exec_lo, s9
	v_mbcnt_lo_u32_b32 v7, -1, 0
	v_xor_b32_e32 v8, 4, v7
	v_xor_b32_e32 v10, 2, v7
	;; [unrolled: 1-line block ×3, first 2 shown]
	v_cmp_gt_i32_e32 vcc_lo, 32, v8
	v_cndmask_b32_e32 v8, v7, v8, vcc_lo
	v_cmp_gt_i32_e32 vcc_lo, 32, v10
	v_lshlrev_b32_e32 v8, 2, v8
	v_cndmask_b32_e32 v10, v7, v10, vcc_lo
	v_cmp_gt_i32_e32 vcc_lo, 32, v12
	ds_bpermute_b32 v9, v8, v17
	ds_bpermute_b32 v8, v8, v15
	v_lshlrev_b32_e32 v10, 2, v10
	v_cndmask_b32_e32 v7, v7, v12, vcc_lo
	v_cmp_eq_u32_e32 vcc_lo, 7, v0
	v_lshlrev_b32_e32 v12, 2, v7
	s_waitcnt lgkmcnt(1)
	v_add_f32_e32 v9, v17, v9
	s_waitcnt lgkmcnt(0)
	v_add_f32_e32 v8, v15, v8
	ds_bpermute_b32 v11, v10, v9
	ds_bpermute_b32 v10, v10, v8
	s_waitcnt lgkmcnt(1)
	v_add_f32_e32 v7, v9, v11
	s_waitcnt lgkmcnt(0)
	v_add_f32_e32 v9, v8, v10
	ds_bpermute_b32 v8, v12, v7
	ds_bpermute_b32 v10, v12, v9
	s_and_b32 exec_lo, exec_lo, vcc_lo
	s_cbranch_execz .LBB218_13
; %bb.9:
	s_waitcnt lgkmcnt(0)
	v_add_f32_e32 v0, v9, v10
	v_add_f32_e32 v9, v7, v8
	v_cmp_eq_f32_e32 vcc_lo, 0, v1
	v_cmp_eq_f32_e64 s0, 0, v2
	v_lshlrev_b64 v[5:6], 3, v[5:6]
	v_mul_f32_e64 v7, v0, -v4
	v_mul_f32_e32 v8, v3, v0
	s_and_b32 s0, vcc_lo, s0
	v_fmac_f32_e32 v7, v3, v9
	v_fmac_f32_e32 v8, v4, v9
	s_and_saveexec_b32 s1, s0
	s_xor_b32 s0, exec_lo, s1
	s_cbranch_execz .LBB218_11
; %bb.10:
	v_add_co_u32 v0, vcc_lo, s6, v5
	v_add_co_ci_u32_e64 v1, null, s7, v6, vcc_lo
                                        ; implicit-def: $vgpr5_vgpr6
	global_store_dwordx2 v[0:1], v[7:8], off
                                        ; implicit-def: $vgpr1_vgpr2
                                        ; implicit-def: $vgpr7
.LBB218_11:
	s_andn2_saveexec_b32 s0, s0
	s_cbranch_execz .LBB218_13
; %bb.12:
	v_add_co_u32 v3, vcc_lo, s6, v5
	v_add_co_ci_u32_e64 v4, null, s7, v6, vcc_lo
	global_load_dwordx2 v[5:6], v[3:4], off
	s_waitcnt vmcnt(0)
	v_fmac_f32_e32 v7, v1, v5
	v_fmac_f32_e32 v8, v2, v5
	v_fma_f32 v7, -v2, v6, v7
	v_fmac_f32_e32 v8, v1, v6
	global_store_dwordx2 v[3:4], v[7:8], off
.LBB218_13:
	s_endpgm
	.section	.rodata,"a",@progbits
	.p2align	6, 0x0
	.amdhsa_kernel _ZN9rocsparseL19gebsrmvn_1xn_kernelILj128ELj15ELj8E21rocsparse_complex_numIfEEEvi20rocsparse_direction_NS_24const_host_device_scalarIT2_EEPKiS8_PKS5_SA_S6_PS5_21rocsparse_index_base_b
		.amdhsa_group_segment_fixed_size 0
		.amdhsa_private_segment_fixed_size 0
		.amdhsa_kernarg_size 72
		.amdhsa_user_sgpr_count 6
		.amdhsa_user_sgpr_private_segment_buffer 1
		.amdhsa_user_sgpr_dispatch_ptr 0
		.amdhsa_user_sgpr_queue_ptr 0
		.amdhsa_user_sgpr_kernarg_segment_ptr 1
		.amdhsa_user_sgpr_dispatch_id 0
		.amdhsa_user_sgpr_flat_scratch_init 0
		.amdhsa_user_sgpr_private_segment_size 0
		.amdhsa_wavefront_size32 1
		.amdhsa_uses_dynamic_stack 0
		.amdhsa_system_sgpr_private_segment_wavefront_offset 0
		.amdhsa_system_sgpr_workgroup_id_x 1
		.amdhsa_system_sgpr_workgroup_id_y 0
		.amdhsa_system_sgpr_workgroup_id_z 0
		.amdhsa_system_sgpr_workgroup_info 0
		.amdhsa_system_vgpr_workitem_id 0
		.amdhsa_next_free_vgpr 68
		.amdhsa_next_free_sgpr 13
		.amdhsa_reserve_vcc 1
		.amdhsa_reserve_flat_scratch 0
		.amdhsa_float_round_mode_32 0
		.amdhsa_float_round_mode_16_64 0
		.amdhsa_float_denorm_mode_32 3
		.amdhsa_float_denorm_mode_16_64 3
		.amdhsa_dx10_clamp 1
		.amdhsa_ieee_mode 1
		.amdhsa_fp16_overflow 0
		.amdhsa_workgroup_processor_mode 1
		.amdhsa_memory_ordered 1
		.amdhsa_forward_progress 1
		.amdhsa_shared_vgpr_count 0
		.amdhsa_exception_fp_ieee_invalid_op 0
		.amdhsa_exception_fp_denorm_src 0
		.amdhsa_exception_fp_ieee_div_zero 0
		.amdhsa_exception_fp_ieee_overflow 0
		.amdhsa_exception_fp_ieee_underflow 0
		.amdhsa_exception_fp_ieee_inexact 0
		.amdhsa_exception_int_div_zero 0
	.end_amdhsa_kernel
	.section	.text._ZN9rocsparseL19gebsrmvn_1xn_kernelILj128ELj15ELj8E21rocsparse_complex_numIfEEEvi20rocsparse_direction_NS_24const_host_device_scalarIT2_EEPKiS8_PKS5_SA_S6_PS5_21rocsparse_index_base_b,"axG",@progbits,_ZN9rocsparseL19gebsrmvn_1xn_kernelILj128ELj15ELj8E21rocsparse_complex_numIfEEEvi20rocsparse_direction_NS_24const_host_device_scalarIT2_EEPKiS8_PKS5_SA_S6_PS5_21rocsparse_index_base_b,comdat
.Lfunc_end218:
	.size	_ZN9rocsparseL19gebsrmvn_1xn_kernelILj128ELj15ELj8E21rocsparse_complex_numIfEEEvi20rocsparse_direction_NS_24const_host_device_scalarIT2_EEPKiS8_PKS5_SA_S6_PS5_21rocsparse_index_base_b, .Lfunc_end218-_ZN9rocsparseL19gebsrmvn_1xn_kernelILj128ELj15ELj8E21rocsparse_complex_numIfEEEvi20rocsparse_direction_NS_24const_host_device_scalarIT2_EEPKiS8_PKS5_SA_S6_PS5_21rocsparse_index_base_b
                                        ; -- End function
	.set _ZN9rocsparseL19gebsrmvn_1xn_kernelILj128ELj15ELj8E21rocsparse_complex_numIfEEEvi20rocsparse_direction_NS_24const_host_device_scalarIT2_EEPKiS8_PKS5_SA_S6_PS5_21rocsparse_index_base_b.num_vgpr, 68
	.set _ZN9rocsparseL19gebsrmvn_1xn_kernelILj128ELj15ELj8E21rocsparse_complex_numIfEEEvi20rocsparse_direction_NS_24const_host_device_scalarIT2_EEPKiS8_PKS5_SA_S6_PS5_21rocsparse_index_base_b.num_agpr, 0
	.set _ZN9rocsparseL19gebsrmvn_1xn_kernelILj128ELj15ELj8E21rocsparse_complex_numIfEEEvi20rocsparse_direction_NS_24const_host_device_scalarIT2_EEPKiS8_PKS5_SA_S6_PS5_21rocsparse_index_base_b.numbered_sgpr, 13
	.set _ZN9rocsparseL19gebsrmvn_1xn_kernelILj128ELj15ELj8E21rocsparse_complex_numIfEEEvi20rocsparse_direction_NS_24const_host_device_scalarIT2_EEPKiS8_PKS5_SA_S6_PS5_21rocsparse_index_base_b.num_named_barrier, 0
	.set _ZN9rocsparseL19gebsrmvn_1xn_kernelILj128ELj15ELj8E21rocsparse_complex_numIfEEEvi20rocsparse_direction_NS_24const_host_device_scalarIT2_EEPKiS8_PKS5_SA_S6_PS5_21rocsparse_index_base_b.private_seg_size, 0
	.set _ZN9rocsparseL19gebsrmvn_1xn_kernelILj128ELj15ELj8E21rocsparse_complex_numIfEEEvi20rocsparse_direction_NS_24const_host_device_scalarIT2_EEPKiS8_PKS5_SA_S6_PS5_21rocsparse_index_base_b.uses_vcc, 1
	.set _ZN9rocsparseL19gebsrmvn_1xn_kernelILj128ELj15ELj8E21rocsparse_complex_numIfEEEvi20rocsparse_direction_NS_24const_host_device_scalarIT2_EEPKiS8_PKS5_SA_S6_PS5_21rocsparse_index_base_b.uses_flat_scratch, 0
	.set _ZN9rocsparseL19gebsrmvn_1xn_kernelILj128ELj15ELj8E21rocsparse_complex_numIfEEEvi20rocsparse_direction_NS_24const_host_device_scalarIT2_EEPKiS8_PKS5_SA_S6_PS5_21rocsparse_index_base_b.has_dyn_sized_stack, 0
	.set _ZN9rocsparseL19gebsrmvn_1xn_kernelILj128ELj15ELj8E21rocsparse_complex_numIfEEEvi20rocsparse_direction_NS_24const_host_device_scalarIT2_EEPKiS8_PKS5_SA_S6_PS5_21rocsparse_index_base_b.has_recursion, 0
	.set _ZN9rocsparseL19gebsrmvn_1xn_kernelILj128ELj15ELj8E21rocsparse_complex_numIfEEEvi20rocsparse_direction_NS_24const_host_device_scalarIT2_EEPKiS8_PKS5_SA_S6_PS5_21rocsparse_index_base_b.has_indirect_call, 0
	.section	.AMDGPU.csdata,"",@progbits
; Kernel info:
; codeLenInByte = 2196
; TotalNumSgprs: 15
; NumVgprs: 68
; ScratchSize: 0
; MemoryBound: 0
; FloatMode: 240
; IeeeMode: 1
; LDSByteSize: 0 bytes/workgroup (compile time only)
; SGPRBlocks: 0
; VGPRBlocks: 8
; NumSGPRsForWavesPerEU: 15
; NumVGPRsForWavesPerEU: 68
; Occupancy: 12
; WaveLimiterHint : 1
; COMPUTE_PGM_RSRC2:SCRATCH_EN: 0
; COMPUTE_PGM_RSRC2:USER_SGPR: 6
; COMPUTE_PGM_RSRC2:TRAP_HANDLER: 0
; COMPUTE_PGM_RSRC2:TGID_X_EN: 1
; COMPUTE_PGM_RSRC2:TGID_Y_EN: 0
; COMPUTE_PGM_RSRC2:TGID_Z_EN: 0
; COMPUTE_PGM_RSRC2:TIDIG_COMP_CNT: 0
	.section	.text._ZN9rocsparseL19gebsrmvn_1xn_kernelILj128ELj15ELj16E21rocsparse_complex_numIfEEEvi20rocsparse_direction_NS_24const_host_device_scalarIT2_EEPKiS8_PKS5_SA_S6_PS5_21rocsparse_index_base_b,"axG",@progbits,_ZN9rocsparseL19gebsrmvn_1xn_kernelILj128ELj15ELj16E21rocsparse_complex_numIfEEEvi20rocsparse_direction_NS_24const_host_device_scalarIT2_EEPKiS8_PKS5_SA_S6_PS5_21rocsparse_index_base_b,comdat
	.globl	_ZN9rocsparseL19gebsrmvn_1xn_kernelILj128ELj15ELj16E21rocsparse_complex_numIfEEEvi20rocsparse_direction_NS_24const_host_device_scalarIT2_EEPKiS8_PKS5_SA_S6_PS5_21rocsparse_index_base_b ; -- Begin function _ZN9rocsparseL19gebsrmvn_1xn_kernelILj128ELj15ELj16E21rocsparse_complex_numIfEEEvi20rocsparse_direction_NS_24const_host_device_scalarIT2_EEPKiS8_PKS5_SA_S6_PS5_21rocsparse_index_base_b
	.p2align	8
	.type	_ZN9rocsparseL19gebsrmvn_1xn_kernelILj128ELj15ELj16E21rocsparse_complex_numIfEEEvi20rocsparse_direction_NS_24const_host_device_scalarIT2_EEPKiS8_PKS5_SA_S6_PS5_21rocsparse_index_base_b,@function
_ZN9rocsparseL19gebsrmvn_1xn_kernelILj128ELj15ELj16E21rocsparse_complex_numIfEEEvi20rocsparse_direction_NS_24const_host_device_scalarIT2_EEPKiS8_PKS5_SA_S6_PS5_21rocsparse_index_base_b: ; @_ZN9rocsparseL19gebsrmvn_1xn_kernelILj128ELj15ELj16E21rocsparse_complex_numIfEEEvi20rocsparse_direction_NS_24const_host_device_scalarIT2_EEPKiS8_PKS5_SA_S6_PS5_21rocsparse_index_base_b
; %bb.0:
	s_clause 0x2
	s_load_dwordx2 s[8:9], s[4:5], 0x40
	s_load_dwordx2 s[0:1], s[4:5], 0x8
	;; [unrolled: 1-line block ×3, first 2 shown]
	s_add_u32 s7, s4, 8
	s_addc_u32 s10, s5, 0
	s_add_u32 s11, s4, 48
	s_addc_u32 s12, s5, 0
	s_waitcnt lgkmcnt(0)
	s_bitcmp1_b32 s9, 0
	s_cselect_b32 s0, s7, s0
	s_cselect_b32 s1, s10, s1
	v_mov_b32_e32 v1, s0
	v_mov_b32_e32 v2, s1
	s_cselect_b32 s0, s11, s2
	s_cselect_b32 s1, s12, s3
	flat_load_dwordx2 v[3:4], v[1:2]
	v_mov_b32_e32 v1, s0
	v_mov_b32_e32 v2, s1
	flat_load_dwordx2 v[1:2], v[1:2]
	s_waitcnt vmcnt(1) lgkmcnt(1)
	v_cmp_eq_f32_e32 vcc_lo, 0, v3
	v_cmp_eq_f32_e64 s0, 0, v4
	s_and_b32 s2, vcc_lo, s0
	s_mov_b32 s0, -1
	s_and_saveexec_b32 s1, s2
	s_cbranch_execz .LBB219_2
; %bb.1:
	s_waitcnt vmcnt(0) lgkmcnt(0)
	v_cmp_neq_f32_e32 vcc_lo, 1.0, v1
	v_cmp_neq_f32_e64 s0, 0, v2
	s_or_b32 s0, vcc_lo, s0
	s_orn2_b32 s0, s0, exec_lo
.LBB219_2:
	s_or_b32 exec_lo, exec_lo, s1
	s_and_saveexec_b32 s1, s0
	s_cbranch_execz .LBB219_13
; %bb.3:
	s_load_dword s0, s[4:5], 0x0
	v_lshrrev_b32_e32 v5, 4, v0
	v_lshl_or_b32 v5, s6, 3, v5
	s_waitcnt lgkmcnt(0)
	v_cmp_gt_i32_e32 vcc_lo, s0, v5
	s_and_b32 exec_lo, exec_lo, vcc_lo
	s_cbranch_execz .LBB219_13
; %bb.4:
	s_clause 0x1
	s_load_dwordx2 s[0:1], s[4:5], 0x10
	s_load_dwordx2 s[6:7], s[4:5], 0x38
	v_ashrrev_i32_e32 v6, 31, v5
	v_and_b32_e32 v0, 15, v0
	v_mov_b32_e32 v15, 0
	v_mov_b32_e32 v17, 0
	s_mov_b32 s9, exec_lo
	v_lshlrev_b64 v[7:8], 2, v[5:6]
	v_subrev_nc_u32_e32 v9, s8, v0
	s_waitcnt lgkmcnt(0)
	v_add_co_u32 v7, vcc_lo, s0, v7
	v_add_co_ci_u32_e64 v8, null, s1, v8, vcc_lo
	global_load_dwordx2 v[7:8], v[7:8], off
	s_waitcnt vmcnt(0)
	v_subrev_nc_u32_e32 v16, s8, v8
	v_add_nc_u32_e32 v7, v7, v9
	v_cmpx_lt_i32_e64 v7, v16
	s_cbranch_execz .LBB219_8
; %bb.5:
	s_clause 0x1
	s_load_dwordx4 s[0:3], s[4:5], 0x18
	s_load_dwordx2 s[4:5], s[4:5], 0x28
	v_mad_u64_u32 v[9:10], null, v7, 15, 14
	v_mov_b32_e32 v12, 0
	v_mov_b32_e32 v15, 0
	v_mov_b32_e32 v17, 0
	s_mov_b32 s10, 0
.LBB219_6:                              ; =>This Inner Loop Header: Depth=1
	v_ashrrev_i32_e32 v8, 31, v7
	v_add_nc_u32_e32 v11, -14, v9
	v_mov_b32_e32 v10, v12
	v_mov_b32_e32 v14, v12
	v_lshlrev_b64 v[20:21], 2, v[7:8]
	v_lshlrev_b64 v[18:19], 3, v[11:12]
	v_add_nc_u32_e32 v11, -13, v9
	v_lshlrev_b64 v[22:23], 3, v[9:10]
	v_add_nc_u32_e32 v7, 16, v7
	s_waitcnt lgkmcnt(0)
	v_add_co_u32 v20, vcc_lo, s0, v20
	v_add_co_ci_u32_e64 v21, null, s1, v21, vcc_lo
	v_lshlrev_b64 v[10:11], 3, v[11:12]
	v_add_co_u32 v18, vcc_lo, s2, v18
	global_load_dword v8, v[20:21], off
	v_add_co_ci_u32_e64 v19, null, s3, v19, vcc_lo
	v_add_co_u32 v22, vcc_lo, s2, v22
	v_add_co_ci_u32_e64 v23, null, s3, v23, vcc_lo
	v_add_co_u32 v10, vcc_lo, s2, v10
	v_add_co_ci_u32_e64 v11, null, s3, v11, vcc_lo
	s_clause 0x1
	global_load_dwordx2 v[18:19], v[18:19], off
	global_load_dwordx2 v[20:21], v[10:11], off
	s_waitcnt vmcnt(2)
	v_subrev_nc_u32_e32 v8, s8, v8
	v_mul_lo_u32 v13, v8, 15
	v_lshlrev_b64 v[24:25], 3, v[13:14]
	v_add_nc_u32_e32 v11, 1, v13
	v_lshlrev_b64 v[26:27], 3, v[11:12]
	v_add_co_u32 v24, vcc_lo, s4, v24
	v_add_co_ci_u32_e64 v25, null, s5, v25, vcc_lo
	v_add_nc_u32_e32 v11, -12, v9
	v_add_co_u32 v26, vcc_lo, s4, v26
	global_load_dwordx2 v[24:25], v[24:25], off
	v_add_co_ci_u32_e64 v27, null, s5, v27, vcc_lo
	v_lshlrev_b64 v[28:29], 3, v[11:12]
	v_add_nc_u32_e32 v11, 2, v13
	global_load_dwordx2 v[26:27], v[26:27], off
	v_lshlrev_b64 v[30:31], 3, v[11:12]
	v_add_nc_u32_e32 v11, -11, v9
	v_add_co_u32 v28, vcc_lo, s2, v28
	v_add_co_ci_u32_e64 v29, null, s3, v29, vcc_lo
	v_lshlrev_b64 v[32:33], 3, v[11:12]
	v_add_nc_u32_e32 v11, 3, v13
	v_add_co_u32 v30, vcc_lo, s4, v30
	v_add_co_ci_u32_e64 v31, null, s5, v31, vcc_lo
	v_lshlrev_b64 v[34:35], 3, v[11:12]
	v_add_nc_u32_e32 v11, -10, v9
	v_add_co_u32 v32, vcc_lo, s2, v32
	v_add_co_ci_u32_e64 v33, null, s3, v33, vcc_lo
	v_lshlrev_b64 v[36:37], 3, v[11:12]
	v_add_nc_u32_e32 v11, 4, v13
	v_add_co_u32 v34, vcc_lo, s4, v34
	v_add_co_ci_u32_e64 v35, null, s5, v35, vcc_lo
	;; [unrolled: 8-line block ×9, first 2 shown]
	s_waitcnt vmcnt(1)
	v_fmac_f32_e32 v17, v18, v24
	v_fmac_f32_e32 v15, v19, v24
	v_add_co_u32 v24, vcc_lo, s2, v64
	v_fma_f32 v8, -v19, v25, v17
	v_fmac_f32_e32 v15, v18, v25
	v_lshlrev_b64 v[17:18], 3, v[11:12]
	v_add_nc_u32_e32 v11, -2, v9
	v_add_co_ci_u32_e64 v25, null, s3, v65, vcc_lo
	s_waitcnt vmcnt(0)
	v_fmac_f32_e32 v15, v21, v26
	v_fmac_f32_e32 v8, v20, v26
	v_lshlrev_b64 v[64:65], 3, v[11:12]
	v_add_nc_u32_e32 v11, 12, v13
	v_add_co_u32 v17, vcc_lo, s4, v17
	v_fmac_f32_e32 v15, v20, v27
	v_add_co_ci_u32_e64 v18, null, s5, v18, vcc_lo
	v_lshlrev_b64 v[19:20], 3, v[11:12]
	v_add_co_u32 v26, vcc_lo, s2, v64
	v_fma_f32 v8, -v21, v27, v8
	v_add_co_ci_u32_e64 v27, null, s3, v65, vcc_lo
	v_add_co_u32 v19, vcc_lo, s4, v19
	v_add_co_ci_u32_e64 v20, null, s5, v20, vcc_lo
	global_load_dwordx2 v[28:29], v[28:29], off
	global_load_dwordx2 v[30:31], v[30:31], off
	;; [unrolled: 1-line block ×22, first 2 shown]
	v_add_nc_u32_e32 v11, -1, v9
	v_add_nc_u32_e32 v9, 0xf0, v9
	v_lshlrev_b64 v[64:65], 3, v[11:12]
	v_add_nc_u32_e32 v11, 13, v13
	v_lshlrev_b64 v[66:67], 3, v[11:12]
	v_add_nc_u32_e32 v11, 14, v13
	v_add_co_u32 v13, vcc_lo, s2, v64
	v_add_co_ci_u32_e64 v14, null, s3, v65, vcc_lo
	v_add_co_u32 v64, vcc_lo, s4, v66
	v_add_co_ci_u32_e64 v65, null, s5, v67, vcc_lo
	v_lshlrev_b64 v[10:11], 3, v[11:12]
	v_add_co_u32 v10, vcc_lo, s4, v10
	v_add_co_ci_u32_e64 v11, null, s5, v11, vcc_lo
	v_cmp_ge_i32_e32 vcc_lo, v7, v16
	s_or_b32 s10, vcc_lo, s10
	s_waitcnt vmcnt(20)
	v_fmac_f32_e32 v8, v28, v30
	v_fmac_f32_e32 v15, v29, v30
	v_fma_f32 v8, -v29, v31, v8
	v_fmac_f32_e32 v15, v28, v31
	global_load_dwordx2 v[13:14], v[13:14], off
	global_load_dwordx2 v[28:29], v[64:65], off
	;; [unrolled: 1-line block ×4, first 2 shown]
	s_waitcnt vmcnt(22)
	v_fmac_f32_e32 v8, v32, v34
	v_fmac_f32_e32 v15, v33, v34
	v_fma_f32 v8, -v33, v35, v8
	v_fmac_f32_e32 v15, v32, v35
	s_waitcnt vmcnt(20)
	v_fmac_f32_e32 v8, v36, v38
	v_fmac_f32_e32 v15, v37, v38
	v_fma_f32 v8, -v37, v39, v8
	v_fmac_f32_e32 v15, v36, v39
	;; [unrolled: 5-line block ×12, first 2 shown]
	s_andn2_b32 exec_lo, exec_lo, s10
	s_cbranch_execnz .LBB219_6
; %bb.7:
	s_or_b32 exec_lo, exec_lo, s10
.LBB219_8:
	s_or_b32 exec_lo, exec_lo, s9
	v_mbcnt_lo_u32_b32 v7, -1, 0
	v_xor_b32_e32 v8, 8, v7
	v_xor_b32_e32 v10, 4, v7
	;; [unrolled: 1-line block ×3, first 2 shown]
	v_cmp_gt_i32_e32 vcc_lo, 32, v8
	v_cndmask_b32_e32 v8, v7, v8, vcc_lo
	v_cmp_gt_i32_e32 vcc_lo, 32, v10
	v_lshlrev_b32_e32 v8, 2, v8
	v_cndmask_b32_e32 v10, v7, v10, vcc_lo
	v_cmp_gt_i32_e32 vcc_lo, 32, v12
	ds_bpermute_b32 v9, v8, v17
	ds_bpermute_b32 v8, v8, v15
	v_lshlrev_b32_e32 v10, 2, v10
	v_cndmask_b32_e32 v12, v7, v12, vcc_lo
	v_lshlrev_b32_e32 v12, 2, v12
	s_waitcnt lgkmcnt(1)
	v_add_f32_e32 v9, v17, v9
	s_waitcnt lgkmcnt(0)
	v_add_f32_e32 v8, v15, v8
	ds_bpermute_b32 v11, v10, v9
	ds_bpermute_b32 v10, v10, v8
	s_waitcnt lgkmcnt(1)
	v_add_f32_e32 v9, v9, v11
	s_waitcnt lgkmcnt(0)
	v_add_f32_e32 v8, v8, v10
	ds_bpermute_b32 v10, v12, v9
	ds_bpermute_b32 v11, v12, v8
	v_xor_b32_e32 v12, 1, v7
	v_cmp_gt_i32_e32 vcc_lo, 32, v12
	v_cndmask_b32_e32 v7, v7, v12, vcc_lo
	v_cmp_eq_u32_e32 vcc_lo, 15, v0
	v_lshlrev_b32_e32 v12, 2, v7
	s_waitcnt lgkmcnt(1)
	v_add_f32_e32 v7, v9, v10
	s_waitcnt lgkmcnt(0)
	v_add_f32_e32 v9, v8, v11
	ds_bpermute_b32 v8, v12, v7
	ds_bpermute_b32 v10, v12, v9
	s_and_b32 exec_lo, exec_lo, vcc_lo
	s_cbranch_execz .LBB219_13
; %bb.9:
	s_waitcnt lgkmcnt(0)
	v_add_f32_e32 v0, v9, v10
	v_add_f32_e32 v9, v7, v8
	v_cmp_eq_f32_e32 vcc_lo, 0, v1
	v_cmp_eq_f32_e64 s0, 0, v2
	v_lshlrev_b64 v[5:6], 3, v[5:6]
	v_mul_f32_e64 v7, v0, -v4
	v_mul_f32_e32 v8, v3, v0
	s_and_b32 s0, vcc_lo, s0
	v_fmac_f32_e32 v7, v3, v9
	v_fmac_f32_e32 v8, v4, v9
	s_and_saveexec_b32 s1, s0
	s_xor_b32 s0, exec_lo, s1
	s_cbranch_execz .LBB219_11
; %bb.10:
	v_add_co_u32 v0, vcc_lo, s6, v5
	v_add_co_ci_u32_e64 v1, null, s7, v6, vcc_lo
                                        ; implicit-def: $vgpr5_vgpr6
	global_store_dwordx2 v[0:1], v[7:8], off
                                        ; implicit-def: $vgpr1_vgpr2
                                        ; implicit-def: $vgpr7
.LBB219_11:
	s_andn2_saveexec_b32 s0, s0
	s_cbranch_execz .LBB219_13
; %bb.12:
	v_add_co_u32 v3, vcc_lo, s6, v5
	v_add_co_ci_u32_e64 v4, null, s7, v6, vcc_lo
	global_load_dwordx2 v[5:6], v[3:4], off
	s_waitcnt vmcnt(0)
	v_fmac_f32_e32 v7, v1, v5
	v_fmac_f32_e32 v8, v2, v5
	v_fma_f32 v7, -v2, v6, v7
	v_fmac_f32_e32 v8, v1, v6
	global_store_dwordx2 v[3:4], v[7:8], off
.LBB219_13:
	s_endpgm
	.section	.rodata,"a",@progbits
	.p2align	6, 0x0
	.amdhsa_kernel _ZN9rocsparseL19gebsrmvn_1xn_kernelILj128ELj15ELj16E21rocsparse_complex_numIfEEEvi20rocsparse_direction_NS_24const_host_device_scalarIT2_EEPKiS8_PKS5_SA_S6_PS5_21rocsparse_index_base_b
		.amdhsa_group_segment_fixed_size 0
		.amdhsa_private_segment_fixed_size 0
		.amdhsa_kernarg_size 72
		.amdhsa_user_sgpr_count 6
		.amdhsa_user_sgpr_private_segment_buffer 1
		.amdhsa_user_sgpr_dispatch_ptr 0
		.amdhsa_user_sgpr_queue_ptr 0
		.amdhsa_user_sgpr_kernarg_segment_ptr 1
		.amdhsa_user_sgpr_dispatch_id 0
		.amdhsa_user_sgpr_flat_scratch_init 0
		.amdhsa_user_sgpr_private_segment_size 0
		.amdhsa_wavefront_size32 1
		.amdhsa_uses_dynamic_stack 0
		.amdhsa_system_sgpr_private_segment_wavefront_offset 0
		.amdhsa_system_sgpr_workgroup_id_x 1
		.amdhsa_system_sgpr_workgroup_id_y 0
		.amdhsa_system_sgpr_workgroup_id_z 0
		.amdhsa_system_sgpr_workgroup_info 0
		.amdhsa_system_vgpr_workitem_id 0
		.amdhsa_next_free_vgpr 68
		.amdhsa_next_free_sgpr 13
		.amdhsa_reserve_vcc 1
		.amdhsa_reserve_flat_scratch 0
		.amdhsa_float_round_mode_32 0
		.amdhsa_float_round_mode_16_64 0
		.amdhsa_float_denorm_mode_32 3
		.amdhsa_float_denorm_mode_16_64 3
		.amdhsa_dx10_clamp 1
		.amdhsa_ieee_mode 1
		.amdhsa_fp16_overflow 0
		.amdhsa_workgroup_processor_mode 1
		.amdhsa_memory_ordered 1
		.amdhsa_forward_progress 1
		.amdhsa_shared_vgpr_count 0
		.amdhsa_exception_fp_ieee_invalid_op 0
		.amdhsa_exception_fp_denorm_src 0
		.amdhsa_exception_fp_ieee_div_zero 0
		.amdhsa_exception_fp_ieee_overflow 0
		.amdhsa_exception_fp_ieee_underflow 0
		.amdhsa_exception_fp_ieee_inexact 0
		.amdhsa_exception_int_div_zero 0
	.end_amdhsa_kernel
	.section	.text._ZN9rocsparseL19gebsrmvn_1xn_kernelILj128ELj15ELj16E21rocsparse_complex_numIfEEEvi20rocsparse_direction_NS_24const_host_device_scalarIT2_EEPKiS8_PKS5_SA_S6_PS5_21rocsparse_index_base_b,"axG",@progbits,_ZN9rocsparseL19gebsrmvn_1xn_kernelILj128ELj15ELj16E21rocsparse_complex_numIfEEEvi20rocsparse_direction_NS_24const_host_device_scalarIT2_EEPKiS8_PKS5_SA_S6_PS5_21rocsparse_index_base_b,comdat
.Lfunc_end219:
	.size	_ZN9rocsparseL19gebsrmvn_1xn_kernelILj128ELj15ELj16E21rocsparse_complex_numIfEEEvi20rocsparse_direction_NS_24const_host_device_scalarIT2_EEPKiS8_PKS5_SA_S6_PS5_21rocsparse_index_base_b, .Lfunc_end219-_ZN9rocsparseL19gebsrmvn_1xn_kernelILj128ELj15ELj16E21rocsparse_complex_numIfEEEvi20rocsparse_direction_NS_24const_host_device_scalarIT2_EEPKiS8_PKS5_SA_S6_PS5_21rocsparse_index_base_b
                                        ; -- End function
	.set _ZN9rocsparseL19gebsrmvn_1xn_kernelILj128ELj15ELj16E21rocsparse_complex_numIfEEEvi20rocsparse_direction_NS_24const_host_device_scalarIT2_EEPKiS8_PKS5_SA_S6_PS5_21rocsparse_index_base_b.num_vgpr, 68
	.set _ZN9rocsparseL19gebsrmvn_1xn_kernelILj128ELj15ELj16E21rocsparse_complex_numIfEEEvi20rocsparse_direction_NS_24const_host_device_scalarIT2_EEPKiS8_PKS5_SA_S6_PS5_21rocsparse_index_base_b.num_agpr, 0
	.set _ZN9rocsparseL19gebsrmvn_1xn_kernelILj128ELj15ELj16E21rocsparse_complex_numIfEEEvi20rocsparse_direction_NS_24const_host_device_scalarIT2_EEPKiS8_PKS5_SA_S6_PS5_21rocsparse_index_base_b.numbered_sgpr, 13
	.set _ZN9rocsparseL19gebsrmvn_1xn_kernelILj128ELj15ELj16E21rocsparse_complex_numIfEEEvi20rocsparse_direction_NS_24const_host_device_scalarIT2_EEPKiS8_PKS5_SA_S6_PS5_21rocsparse_index_base_b.num_named_barrier, 0
	.set _ZN9rocsparseL19gebsrmvn_1xn_kernelILj128ELj15ELj16E21rocsparse_complex_numIfEEEvi20rocsparse_direction_NS_24const_host_device_scalarIT2_EEPKiS8_PKS5_SA_S6_PS5_21rocsparse_index_base_b.private_seg_size, 0
	.set _ZN9rocsparseL19gebsrmvn_1xn_kernelILj128ELj15ELj16E21rocsparse_complex_numIfEEEvi20rocsparse_direction_NS_24const_host_device_scalarIT2_EEPKiS8_PKS5_SA_S6_PS5_21rocsparse_index_base_b.uses_vcc, 1
	.set _ZN9rocsparseL19gebsrmvn_1xn_kernelILj128ELj15ELj16E21rocsparse_complex_numIfEEEvi20rocsparse_direction_NS_24const_host_device_scalarIT2_EEPKiS8_PKS5_SA_S6_PS5_21rocsparse_index_base_b.uses_flat_scratch, 0
	.set _ZN9rocsparseL19gebsrmvn_1xn_kernelILj128ELj15ELj16E21rocsparse_complex_numIfEEEvi20rocsparse_direction_NS_24const_host_device_scalarIT2_EEPKiS8_PKS5_SA_S6_PS5_21rocsparse_index_base_b.has_dyn_sized_stack, 0
	.set _ZN9rocsparseL19gebsrmvn_1xn_kernelILj128ELj15ELj16E21rocsparse_complex_numIfEEEvi20rocsparse_direction_NS_24const_host_device_scalarIT2_EEPKiS8_PKS5_SA_S6_PS5_21rocsparse_index_base_b.has_recursion, 0
	.set _ZN9rocsparseL19gebsrmvn_1xn_kernelILj128ELj15ELj16E21rocsparse_complex_numIfEEEvi20rocsparse_direction_NS_24const_host_device_scalarIT2_EEPKiS8_PKS5_SA_S6_PS5_21rocsparse_index_base_b.has_indirect_call, 0
	.section	.AMDGPU.csdata,"",@progbits
; Kernel info:
; codeLenInByte = 2244
; TotalNumSgprs: 15
; NumVgprs: 68
; ScratchSize: 0
; MemoryBound: 0
; FloatMode: 240
; IeeeMode: 1
; LDSByteSize: 0 bytes/workgroup (compile time only)
; SGPRBlocks: 0
; VGPRBlocks: 8
; NumSGPRsForWavesPerEU: 15
; NumVGPRsForWavesPerEU: 68
; Occupancy: 12
; WaveLimiterHint : 1
; COMPUTE_PGM_RSRC2:SCRATCH_EN: 0
; COMPUTE_PGM_RSRC2:USER_SGPR: 6
; COMPUTE_PGM_RSRC2:TRAP_HANDLER: 0
; COMPUTE_PGM_RSRC2:TGID_X_EN: 1
; COMPUTE_PGM_RSRC2:TGID_Y_EN: 0
; COMPUTE_PGM_RSRC2:TGID_Z_EN: 0
; COMPUTE_PGM_RSRC2:TIDIG_COMP_CNT: 0
	.section	.text._ZN9rocsparseL19gebsrmvn_1xn_kernelILj128ELj15ELj32E21rocsparse_complex_numIfEEEvi20rocsparse_direction_NS_24const_host_device_scalarIT2_EEPKiS8_PKS5_SA_S6_PS5_21rocsparse_index_base_b,"axG",@progbits,_ZN9rocsparseL19gebsrmvn_1xn_kernelILj128ELj15ELj32E21rocsparse_complex_numIfEEEvi20rocsparse_direction_NS_24const_host_device_scalarIT2_EEPKiS8_PKS5_SA_S6_PS5_21rocsparse_index_base_b,comdat
	.globl	_ZN9rocsparseL19gebsrmvn_1xn_kernelILj128ELj15ELj32E21rocsparse_complex_numIfEEEvi20rocsparse_direction_NS_24const_host_device_scalarIT2_EEPKiS8_PKS5_SA_S6_PS5_21rocsparse_index_base_b ; -- Begin function _ZN9rocsparseL19gebsrmvn_1xn_kernelILj128ELj15ELj32E21rocsparse_complex_numIfEEEvi20rocsparse_direction_NS_24const_host_device_scalarIT2_EEPKiS8_PKS5_SA_S6_PS5_21rocsparse_index_base_b
	.p2align	8
	.type	_ZN9rocsparseL19gebsrmvn_1xn_kernelILj128ELj15ELj32E21rocsparse_complex_numIfEEEvi20rocsparse_direction_NS_24const_host_device_scalarIT2_EEPKiS8_PKS5_SA_S6_PS5_21rocsparse_index_base_b,@function
_ZN9rocsparseL19gebsrmvn_1xn_kernelILj128ELj15ELj32E21rocsparse_complex_numIfEEEvi20rocsparse_direction_NS_24const_host_device_scalarIT2_EEPKiS8_PKS5_SA_S6_PS5_21rocsparse_index_base_b: ; @_ZN9rocsparseL19gebsrmvn_1xn_kernelILj128ELj15ELj32E21rocsparse_complex_numIfEEEvi20rocsparse_direction_NS_24const_host_device_scalarIT2_EEPKiS8_PKS5_SA_S6_PS5_21rocsparse_index_base_b
; %bb.0:
	s_clause 0x2
	s_load_dwordx2 s[8:9], s[4:5], 0x40
	s_load_dwordx2 s[0:1], s[4:5], 0x8
	;; [unrolled: 1-line block ×3, first 2 shown]
	s_add_u32 s7, s4, 8
	s_addc_u32 s10, s5, 0
	s_add_u32 s11, s4, 48
	s_addc_u32 s12, s5, 0
	s_waitcnt lgkmcnt(0)
	s_bitcmp1_b32 s9, 0
	s_cselect_b32 s0, s7, s0
	s_cselect_b32 s1, s10, s1
	v_mov_b32_e32 v1, s0
	v_mov_b32_e32 v2, s1
	s_cselect_b32 s0, s11, s2
	s_cselect_b32 s1, s12, s3
	flat_load_dwordx2 v[3:4], v[1:2]
	v_mov_b32_e32 v1, s0
	v_mov_b32_e32 v2, s1
	flat_load_dwordx2 v[1:2], v[1:2]
	s_waitcnt vmcnt(1) lgkmcnt(1)
	v_cmp_eq_f32_e32 vcc_lo, 0, v3
	v_cmp_eq_f32_e64 s0, 0, v4
	s_and_b32 s2, vcc_lo, s0
	s_mov_b32 s0, -1
	s_and_saveexec_b32 s1, s2
	s_cbranch_execz .LBB220_2
; %bb.1:
	s_waitcnt vmcnt(0) lgkmcnt(0)
	v_cmp_neq_f32_e32 vcc_lo, 1.0, v1
	v_cmp_neq_f32_e64 s0, 0, v2
	s_or_b32 s0, vcc_lo, s0
	s_orn2_b32 s0, s0, exec_lo
.LBB220_2:
	s_or_b32 exec_lo, exec_lo, s1
	s_and_saveexec_b32 s1, s0
	s_cbranch_execz .LBB220_13
; %bb.3:
	s_load_dword s0, s[4:5], 0x0
	v_lshrrev_b32_e32 v5, 5, v0
	v_lshl_or_b32 v5, s6, 2, v5
	s_waitcnt lgkmcnt(0)
	v_cmp_gt_i32_e32 vcc_lo, s0, v5
	s_and_b32 exec_lo, exec_lo, vcc_lo
	s_cbranch_execz .LBB220_13
; %bb.4:
	s_clause 0x1
	s_load_dwordx2 s[0:1], s[4:5], 0x10
	s_load_dwordx2 s[6:7], s[4:5], 0x38
	v_ashrrev_i32_e32 v6, 31, v5
	v_and_b32_e32 v0, 31, v0
	v_mov_b32_e32 v15, 0
	v_mov_b32_e32 v17, 0
	s_mov_b32 s9, exec_lo
	v_lshlrev_b64 v[7:8], 2, v[5:6]
	v_subrev_nc_u32_e32 v9, s8, v0
	s_waitcnt lgkmcnt(0)
	v_add_co_u32 v7, vcc_lo, s0, v7
	v_add_co_ci_u32_e64 v8, null, s1, v8, vcc_lo
	global_load_dwordx2 v[7:8], v[7:8], off
	s_waitcnt vmcnt(0)
	v_subrev_nc_u32_e32 v16, s8, v8
	v_add_nc_u32_e32 v7, v7, v9
	v_cmpx_lt_i32_e64 v7, v16
	s_cbranch_execz .LBB220_8
; %bb.5:
	s_clause 0x1
	s_load_dwordx4 s[0:3], s[4:5], 0x18
	s_load_dwordx2 s[4:5], s[4:5], 0x28
	v_mad_u64_u32 v[9:10], null, v7, 15, 14
	v_mov_b32_e32 v12, 0
	v_mov_b32_e32 v15, 0
	;; [unrolled: 1-line block ×3, first 2 shown]
	s_mov_b32 s10, 0
.LBB220_6:                              ; =>This Inner Loop Header: Depth=1
	v_ashrrev_i32_e32 v8, 31, v7
	v_add_nc_u32_e32 v11, -14, v9
	v_mov_b32_e32 v10, v12
	v_mov_b32_e32 v14, v12
	v_lshlrev_b64 v[20:21], 2, v[7:8]
	v_lshlrev_b64 v[18:19], 3, v[11:12]
	v_add_nc_u32_e32 v11, -13, v9
	v_lshlrev_b64 v[22:23], 3, v[9:10]
	v_add_nc_u32_e32 v7, 32, v7
	s_waitcnt lgkmcnt(0)
	v_add_co_u32 v20, vcc_lo, s0, v20
	v_add_co_ci_u32_e64 v21, null, s1, v21, vcc_lo
	v_lshlrev_b64 v[10:11], 3, v[11:12]
	v_add_co_u32 v18, vcc_lo, s2, v18
	global_load_dword v8, v[20:21], off
	v_add_co_ci_u32_e64 v19, null, s3, v19, vcc_lo
	v_add_co_u32 v22, vcc_lo, s2, v22
	v_add_co_ci_u32_e64 v23, null, s3, v23, vcc_lo
	v_add_co_u32 v10, vcc_lo, s2, v10
	v_add_co_ci_u32_e64 v11, null, s3, v11, vcc_lo
	s_clause 0x1
	global_load_dwordx2 v[18:19], v[18:19], off
	global_load_dwordx2 v[20:21], v[10:11], off
	s_waitcnt vmcnt(2)
	v_subrev_nc_u32_e32 v8, s8, v8
	v_mul_lo_u32 v13, v8, 15
	v_lshlrev_b64 v[24:25], 3, v[13:14]
	v_add_nc_u32_e32 v11, 1, v13
	v_lshlrev_b64 v[26:27], 3, v[11:12]
	v_add_co_u32 v24, vcc_lo, s4, v24
	v_add_co_ci_u32_e64 v25, null, s5, v25, vcc_lo
	v_add_nc_u32_e32 v11, -12, v9
	v_add_co_u32 v26, vcc_lo, s4, v26
	global_load_dwordx2 v[24:25], v[24:25], off
	v_add_co_ci_u32_e64 v27, null, s5, v27, vcc_lo
	v_lshlrev_b64 v[28:29], 3, v[11:12]
	v_add_nc_u32_e32 v11, 2, v13
	global_load_dwordx2 v[26:27], v[26:27], off
	v_lshlrev_b64 v[30:31], 3, v[11:12]
	v_add_nc_u32_e32 v11, -11, v9
	v_add_co_u32 v28, vcc_lo, s2, v28
	v_add_co_ci_u32_e64 v29, null, s3, v29, vcc_lo
	v_lshlrev_b64 v[32:33], 3, v[11:12]
	v_add_nc_u32_e32 v11, 3, v13
	v_add_co_u32 v30, vcc_lo, s4, v30
	v_add_co_ci_u32_e64 v31, null, s5, v31, vcc_lo
	v_lshlrev_b64 v[34:35], 3, v[11:12]
	v_add_nc_u32_e32 v11, -10, v9
	v_add_co_u32 v32, vcc_lo, s2, v32
	v_add_co_ci_u32_e64 v33, null, s3, v33, vcc_lo
	v_lshlrev_b64 v[36:37], 3, v[11:12]
	v_add_nc_u32_e32 v11, 4, v13
	v_add_co_u32 v34, vcc_lo, s4, v34
	v_add_co_ci_u32_e64 v35, null, s5, v35, vcc_lo
	;; [unrolled: 8-line block ×9, first 2 shown]
	s_waitcnt vmcnt(1)
	v_fmac_f32_e32 v17, v18, v24
	v_fmac_f32_e32 v15, v19, v24
	v_add_co_u32 v24, vcc_lo, s2, v64
	v_fma_f32 v8, -v19, v25, v17
	v_fmac_f32_e32 v15, v18, v25
	v_lshlrev_b64 v[17:18], 3, v[11:12]
	v_add_nc_u32_e32 v11, -2, v9
	v_add_co_ci_u32_e64 v25, null, s3, v65, vcc_lo
	s_waitcnt vmcnt(0)
	v_fmac_f32_e32 v15, v21, v26
	v_fmac_f32_e32 v8, v20, v26
	v_lshlrev_b64 v[64:65], 3, v[11:12]
	v_add_nc_u32_e32 v11, 12, v13
	v_add_co_u32 v17, vcc_lo, s4, v17
	v_fmac_f32_e32 v15, v20, v27
	v_add_co_ci_u32_e64 v18, null, s5, v18, vcc_lo
	v_lshlrev_b64 v[19:20], 3, v[11:12]
	v_add_co_u32 v26, vcc_lo, s2, v64
	v_fma_f32 v8, -v21, v27, v8
	v_add_co_ci_u32_e64 v27, null, s3, v65, vcc_lo
	v_add_co_u32 v19, vcc_lo, s4, v19
	v_add_co_ci_u32_e64 v20, null, s5, v20, vcc_lo
	global_load_dwordx2 v[28:29], v[28:29], off
	global_load_dwordx2 v[30:31], v[30:31], off
	;; [unrolled: 1-line block ×22, first 2 shown]
	v_add_nc_u32_e32 v11, -1, v9
	v_add_nc_u32_e32 v9, 0x1e0, v9
	v_lshlrev_b64 v[64:65], 3, v[11:12]
	v_add_nc_u32_e32 v11, 13, v13
	v_lshlrev_b64 v[66:67], 3, v[11:12]
	v_add_nc_u32_e32 v11, 14, v13
	v_add_co_u32 v13, vcc_lo, s2, v64
	v_add_co_ci_u32_e64 v14, null, s3, v65, vcc_lo
	v_add_co_u32 v64, vcc_lo, s4, v66
	v_add_co_ci_u32_e64 v65, null, s5, v67, vcc_lo
	v_lshlrev_b64 v[10:11], 3, v[11:12]
	v_add_co_u32 v10, vcc_lo, s4, v10
	v_add_co_ci_u32_e64 v11, null, s5, v11, vcc_lo
	v_cmp_ge_i32_e32 vcc_lo, v7, v16
	s_or_b32 s10, vcc_lo, s10
	s_waitcnt vmcnt(20)
	v_fmac_f32_e32 v8, v28, v30
	v_fmac_f32_e32 v15, v29, v30
	v_fma_f32 v8, -v29, v31, v8
	v_fmac_f32_e32 v15, v28, v31
	global_load_dwordx2 v[13:14], v[13:14], off
	global_load_dwordx2 v[28:29], v[64:65], off
	;; [unrolled: 1-line block ×4, first 2 shown]
	s_waitcnt vmcnt(22)
	v_fmac_f32_e32 v8, v32, v34
	v_fmac_f32_e32 v15, v33, v34
	v_fma_f32 v8, -v33, v35, v8
	v_fmac_f32_e32 v15, v32, v35
	s_waitcnt vmcnt(20)
	v_fmac_f32_e32 v8, v36, v38
	v_fmac_f32_e32 v15, v37, v38
	v_fma_f32 v8, -v37, v39, v8
	v_fmac_f32_e32 v15, v36, v39
	;; [unrolled: 5-line block ×12, first 2 shown]
	s_andn2_b32 exec_lo, exec_lo, s10
	s_cbranch_execnz .LBB220_6
; %bb.7:
	s_or_b32 exec_lo, exec_lo, s10
.LBB220_8:
	s_or_b32 exec_lo, exec_lo, s9
	v_mbcnt_lo_u32_b32 v7, -1, 0
	v_xor_b32_e32 v8, 16, v7
	v_xor_b32_e32 v10, 8, v7
	;; [unrolled: 1-line block ×3, first 2 shown]
	v_cmp_gt_i32_e32 vcc_lo, 32, v8
	v_cndmask_b32_e32 v8, v7, v8, vcc_lo
	v_cmp_gt_i32_e32 vcc_lo, 32, v10
	v_lshlrev_b32_e32 v8, 2, v8
	v_cndmask_b32_e32 v10, v7, v10, vcc_lo
	v_cmp_gt_i32_e32 vcc_lo, 32, v12
	ds_bpermute_b32 v9, v8, v17
	ds_bpermute_b32 v8, v8, v15
	v_lshlrev_b32_e32 v10, 2, v10
	v_cndmask_b32_e32 v12, v7, v12, vcc_lo
	v_lshlrev_b32_e32 v12, 2, v12
	s_waitcnt lgkmcnt(1)
	v_add_f32_e32 v9, v17, v9
	s_waitcnt lgkmcnt(0)
	v_add_f32_e32 v8, v15, v8
	ds_bpermute_b32 v11, v10, v9
	ds_bpermute_b32 v10, v10, v8
	s_waitcnt lgkmcnt(1)
	v_add_f32_e32 v9, v9, v11
	s_waitcnt lgkmcnt(0)
	v_add_f32_e32 v8, v8, v10
	ds_bpermute_b32 v10, v12, v9
	ds_bpermute_b32 v11, v12, v8
	v_xor_b32_e32 v12, 2, v7
	v_cmp_gt_i32_e32 vcc_lo, 32, v12
	v_cndmask_b32_e32 v12, v7, v12, vcc_lo
	v_lshlrev_b32_e32 v12, 2, v12
	s_waitcnt lgkmcnt(1)
	v_add_f32_e32 v9, v9, v10
	s_waitcnt lgkmcnt(0)
	v_add_f32_e32 v8, v8, v11
	ds_bpermute_b32 v10, v12, v9
	ds_bpermute_b32 v11, v12, v8
	v_xor_b32_e32 v12, 1, v7
	v_cmp_gt_i32_e32 vcc_lo, 32, v12
	v_cndmask_b32_e32 v7, v7, v12, vcc_lo
	v_cmp_eq_u32_e32 vcc_lo, 31, v0
	v_lshlrev_b32_e32 v12, 2, v7
	s_waitcnt lgkmcnt(1)
	v_add_f32_e32 v7, v9, v10
	s_waitcnt lgkmcnt(0)
	v_add_f32_e32 v9, v8, v11
	ds_bpermute_b32 v8, v12, v7
	ds_bpermute_b32 v10, v12, v9
	s_and_b32 exec_lo, exec_lo, vcc_lo
	s_cbranch_execz .LBB220_13
; %bb.9:
	s_waitcnt lgkmcnt(0)
	v_add_f32_e32 v0, v9, v10
	v_add_f32_e32 v9, v7, v8
	v_cmp_eq_f32_e32 vcc_lo, 0, v1
	v_cmp_eq_f32_e64 s0, 0, v2
	v_lshlrev_b64 v[5:6], 3, v[5:6]
	v_mul_f32_e64 v7, v0, -v4
	v_mul_f32_e32 v8, v3, v0
	s_and_b32 s0, vcc_lo, s0
	v_fmac_f32_e32 v7, v3, v9
	v_fmac_f32_e32 v8, v4, v9
	s_and_saveexec_b32 s1, s0
	s_xor_b32 s0, exec_lo, s1
	s_cbranch_execz .LBB220_11
; %bb.10:
	v_add_co_u32 v0, vcc_lo, s6, v5
	v_add_co_ci_u32_e64 v1, null, s7, v6, vcc_lo
                                        ; implicit-def: $vgpr5_vgpr6
	global_store_dwordx2 v[0:1], v[7:8], off
                                        ; implicit-def: $vgpr1_vgpr2
                                        ; implicit-def: $vgpr7
.LBB220_11:
	s_andn2_saveexec_b32 s0, s0
	s_cbranch_execz .LBB220_13
; %bb.12:
	v_add_co_u32 v3, vcc_lo, s6, v5
	v_add_co_ci_u32_e64 v4, null, s7, v6, vcc_lo
	global_load_dwordx2 v[5:6], v[3:4], off
	s_waitcnt vmcnt(0)
	v_fmac_f32_e32 v7, v1, v5
	v_fmac_f32_e32 v8, v2, v5
	v_fma_f32 v7, -v2, v6, v7
	v_fmac_f32_e32 v8, v1, v6
	global_store_dwordx2 v[3:4], v[7:8], off
.LBB220_13:
	s_endpgm
	.section	.rodata,"a",@progbits
	.p2align	6, 0x0
	.amdhsa_kernel _ZN9rocsparseL19gebsrmvn_1xn_kernelILj128ELj15ELj32E21rocsparse_complex_numIfEEEvi20rocsparse_direction_NS_24const_host_device_scalarIT2_EEPKiS8_PKS5_SA_S6_PS5_21rocsparse_index_base_b
		.amdhsa_group_segment_fixed_size 0
		.amdhsa_private_segment_fixed_size 0
		.amdhsa_kernarg_size 72
		.amdhsa_user_sgpr_count 6
		.amdhsa_user_sgpr_private_segment_buffer 1
		.amdhsa_user_sgpr_dispatch_ptr 0
		.amdhsa_user_sgpr_queue_ptr 0
		.amdhsa_user_sgpr_kernarg_segment_ptr 1
		.amdhsa_user_sgpr_dispatch_id 0
		.amdhsa_user_sgpr_flat_scratch_init 0
		.amdhsa_user_sgpr_private_segment_size 0
		.amdhsa_wavefront_size32 1
		.amdhsa_uses_dynamic_stack 0
		.amdhsa_system_sgpr_private_segment_wavefront_offset 0
		.amdhsa_system_sgpr_workgroup_id_x 1
		.amdhsa_system_sgpr_workgroup_id_y 0
		.amdhsa_system_sgpr_workgroup_id_z 0
		.amdhsa_system_sgpr_workgroup_info 0
		.amdhsa_system_vgpr_workitem_id 0
		.amdhsa_next_free_vgpr 68
		.amdhsa_next_free_sgpr 13
		.amdhsa_reserve_vcc 1
		.amdhsa_reserve_flat_scratch 0
		.amdhsa_float_round_mode_32 0
		.amdhsa_float_round_mode_16_64 0
		.amdhsa_float_denorm_mode_32 3
		.amdhsa_float_denorm_mode_16_64 3
		.amdhsa_dx10_clamp 1
		.amdhsa_ieee_mode 1
		.amdhsa_fp16_overflow 0
		.amdhsa_workgroup_processor_mode 1
		.amdhsa_memory_ordered 1
		.amdhsa_forward_progress 1
		.amdhsa_shared_vgpr_count 0
		.amdhsa_exception_fp_ieee_invalid_op 0
		.amdhsa_exception_fp_denorm_src 0
		.amdhsa_exception_fp_ieee_div_zero 0
		.amdhsa_exception_fp_ieee_overflow 0
		.amdhsa_exception_fp_ieee_underflow 0
		.amdhsa_exception_fp_ieee_inexact 0
		.amdhsa_exception_int_div_zero 0
	.end_amdhsa_kernel
	.section	.text._ZN9rocsparseL19gebsrmvn_1xn_kernelILj128ELj15ELj32E21rocsparse_complex_numIfEEEvi20rocsparse_direction_NS_24const_host_device_scalarIT2_EEPKiS8_PKS5_SA_S6_PS5_21rocsparse_index_base_b,"axG",@progbits,_ZN9rocsparseL19gebsrmvn_1xn_kernelILj128ELj15ELj32E21rocsparse_complex_numIfEEEvi20rocsparse_direction_NS_24const_host_device_scalarIT2_EEPKiS8_PKS5_SA_S6_PS5_21rocsparse_index_base_b,comdat
.Lfunc_end220:
	.size	_ZN9rocsparseL19gebsrmvn_1xn_kernelILj128ELj15ELj32E21rocsparse_complex_numIfEEEvi20rocsparse_direction_NS_24const_host_device_scalarIT2_EEPKiS8_PKS5_SA_S6_PS5_21rocsparse_index_base_b, .Lfunc_end220-_ZN9rocsparseL19gebsrmvn_1xn_kernelILj128ELj15ELj32E21rocsparse_complex_numIfEEEvi20rocsparse_direction_NS_24const_host_device_scalarIT2_EEPKiS8_PKS5_SA_S6_PS5_21rocsparse_index_base_b
                                        ; -- End function
	.set _ZN9rocsparseL19gebsrmvn_1xn_kernelILj128ELj15ELj32E21rocsparse_complex_numIfEEEvi20rocsparse_direction_NS_24const_host_device_scalarIT2_EEPKiS8_PKS5_SA_S6_PS5_21rocsparse_index_base_b.num_vgpr, 68
	.set _ZN9rocsparseL19gebsrmvn_1xn_kernelILj128ELj15ELj32E21rocsparse_complex_numIfEEEvi20rocsparse_direction_NS_24const_host_device_scalarIT2_EEPKiS8_PKS5_SA_S6_PS5_21rocsparse_index_base_b.num_agpr, 0
	.set _ZN9rocsparseL19gebsrmvn_1xn_kernelILj128ELj15ELj32E21rocsparse_complex_numIfEEEvi20rocsparse_direction_NS_24const_host_device_scalarIT2_EEPKiS8_PKS5_SA_S6_PS5_21rocsparse_index_base_b.numbered_sgpr, 13
	.set _ZN9rocsparseL19gebsrmvn_1xn_kernelILj128ELj15ELj32E21rocsparse_complex_numIfEEEvi20rocsparse_direction_NS_24const_host_device_scalarIT2_EEPKiS8_PKS5_SA_S6_PS5_21rocsparse_index_base_b.num_named_barrier, 0
	.set _ZN9rocsparseL19gebsrmvn_1xn_kernelILj128ELj15ELj32E21rocsparse_complex_numIfEEEvi20rocsparse_direction_NS_24const_host_device_scalarIT2_EEPKiS8_PKS5_SA_S6_PS5_21rocsparse_index_base_b.private_seg_size, 0
	.set _ZN9rocsparseL19gebsrmvn_1xn_kernelILj128ELj15ELj32E21rocsparse_complex_numIfEEEvi20rocsparse_direction_NS_24const_host_device_scalarIT2_EEPKiS8_PKS5_SA_S6_PS5_21rocsparse_index_base_b.uses_vcc, 1
	.set _ZN9rocsparseL19gebsrmvn_1xn_kernelILj128ELj15ELj32E21rocsparse_complex_numIfEEEvi20rocsparse_direction_NS_24const_host_device_scalarIT2_EEPKiS8_PKS5_SA_S6_PS5_21rocsparse_index_base_b.uses_flat_scratch, 0
	.set _ZN9rocsparseL19gebsrmvn_1xn_kernelILj128ELj15ELj32E21rocsparse_complex_numIfEEEvi20rocsparse_direction_NS_24const_host_device_scalarIT2_EEPKiS8_PKS5_SA_S6_PS5_21rocsparse_index_base_b.has_dyn_sized_stack, 0
	.set _ZN9rocsparseL19gebsrmvn_1xn_kernelILj128ELj15ELj32E21rocsparse_complex_numIfEEEvi20rocsparse_direction_NS_24const_host_device_scalarIT2_EEPKiS8_PKS5_SA_S6_PS5_21rocsparse_index_base_b.has_recursion, 0
	.set _ZN9rocsparseL19gebsrmvn_1xn_kernelILj128ELj15ELj32E21rocsparse_complex_numIfEEEvi20rocsparse_direction_NS_24const_host_device_scalarIT2_EEPKiS8_PKS5_SA_S6_PS5_21rocsparse_index_base_b.has_indirect_call, 0
	.section	.AMDGPU.csdata,"",@progbits
; Kernel info:
; codeLenInByte = 2292
; TotalNumSgprs: 15
; NumVgprs: 68
; ScratchSize: 0
; MemoryBound: 0
; FloatMode: 240
; IeeeMode: 1
; LDSByteSize: 0 bytes/workgroup (compile time only)
; SGPRBlocks: 0
; VGPRBlocks: 8
; NumSGPRsForWavesPerEU: 15
; NumVGPRsForWavesPerEU: 68
; Occupancy: 12
; WaveLimiterHint : 1
; COMPUTE_PGM_RSRC2:SCRATCH_EN: 0
; COMPUTE_PGM_RSRC2:USER_SGPR: 6
; COMPUTE_PGM_RSRC2:TRAP_HANDLER: 0
; COMPUTE_PGM_RSRC2:TGID_X_EN: 1
; COMPUTE_PGM_RSRC2:TGID_Y_EN: 0
; COMPUTE_PGM_RSRC2:TGID_Z_EN: 0
; COMPUTE_PGM_RSRC2:TIDIG_COMP_CNT: 0
	.section	.text._ZN9rocsparseL19gebsrmvn_1xn_kernelILj128ELj15ELj64E21rocsparse_complex_numIfEEEvi20rocsparse_direction_NS_24const_host_device_scalarIT2_EEPKiS8_PKS5_SA_S6_PS5_21rocsparse_index_base_b,"axG",@progbits,_ZN9rocsparseL19gebsrmvn_1xn_kernelILj128ELj15ELj64E21rocsparse_complex_numIfEEEvi20rocsparse_direction_NS_24const_host_device_scalarIT2_EEPKiS8_PKS5_SA_S6_PS5_21rocsparse_index_base_b,comdat
	.globl	_ZN9rocsparseL19gebsrmvn_1xn_kernelILj128ELj15ELj64E21rocsparse_complex_numIfEEEvi20rocsparse_direction_NS_24const_host_device_scalarIT2_EEPKiS8_PKS5_SA_S6_PS5_21rocsparse_index_base_b ; -- Begin function _ZN9rocsparseL19gebsrmvn_1xn_kernelILj128ELj15ELj64E21rocsparse_complex_numIfEEEvi20rocsparse_direction_NS_24const_host_device_scalarIT2_EEPKiS8_PKS5_SA_S6_PS5_21rocsparse_index_base_b
	.p2align	8
	.type	_ZN9rocsparseL19gebsrmvn_1xn_kernelILj128ELj15ELj64E21rocsparse_complex_numIfEEEvi20rocsparse_direction_NS_24const_host_device_scalarIT2_EEPKiS8_PKS5_SA_S6_PS5_21rocsparse_index_base_b,@function
_ZN9rocsparseL19gebsrmvn_1xn_kernelILj128ELj15ELj64E21rocsparse_complex_numIfEEEvi20rocsparse_direction_NS_24const_host_device_scalarIT2_EEPKiS8_PKS5_SA_S6_PS5_21rocsparse_index_base_b: ; @_ZN9rocsparseL19gebsrmvn_1xn_kernelILj128ELj15ELj64E21rocsparse_complex_numIfEEEvi20rocsparse_direction_NS_24const_host_device_scalarIT2_EEPKiS8_PKS5_SA_S6_PS5_21rocsparse_index_base_b
; %bb.0:
	s_clause 0x2
	s_load_dwordx2 s[8:9], s[4:5], 0x40
	s_load_dwordx2 s[0:1], s[4:5], 0x8
	;; [unrolled: 1-line block ×3, first 2 shown]
	s_add_u32 s7, s4, 8
	s_addc_u32 s10, s5, 0
	s_add_u32 s11, s4, 48
	s_addc_u32 s12, s5, 0
	s_waitcnt lgkmcnt(0)
	s_bitcmp1_b32 s9, 0
	s_cselect_b32 s0, s7, s0
	s_cselect_b32 s1, s10, s1
	v_mov_b32_e32 v1, s0
	v_mov_b32_e32 v2, s1
	s_cselect_b32 s0, s11, s2
	s_cselect_b32 s1, s12, s3
	flat_load_dwordx2 v[3:4], v[1:2]
	v_mov_b32_e32 v1, s0
	v_mov_b32_e32 v2, s1
	flat_load_dwordx2 v[1:2], v[1:2]
	s_waitcnt vmcnt(1) lgkmcnt(1)
	v_cmp_eq_f32_e32 vcc_lo, 0, v3
	v_cmp_eq_f32_e64 s0, 0, v4
	s_and_b32 s2, vcc_lo, s0
	s_mov_b32 s0, -1
	s_and_saveexec_b32 s1, s2
	s_cbranch_execz .LBB221_2
; %bb.1:
	s_waitcnt vmcnt(0) lgkmcnt(0)
	v_cmp_neq_f32_e32 vcc_lo, 1.0, v1
	v_cmp_neq_f32_e64 s0, 0, v2
	s_or_b32 s0, vcc_lo, s0
	s_orn2_b32 s0, s0, exec_lo
.LBB221_2:
	s_or_b32 exec_lo, exec_lo, s1
	s_and_saveexec_b32 s1, s0
	s_cbranch_execz .LBB221_13
; %bb.3:
	s_load_dword s0, s[4:5], 0x0
	v_lshrrev_b32_e32 v5, 6, v0
	v_lshl_or_b32 v5, s6, 1, v5
	s_waitcnt lgkmcnt(0)
	v_cmp_gt_i32_e32 vcc_lo, s0, v5
	s_and_b32 exec_lo, exec_lo, vcc_lo
	s_cbranch_execz .LBB221_13
; %bb.4:
	s_clause 0x1
	s_load_dwordx2 s[0:1], s[4:5], 0x10
	s_load_dwordx2 s[6:7], s[4:5], 0x38
	v_ashrrev_i32_e32 v6, 31, v5
	v_and_b32_e32 v0, 63, v0
	v_mov_b32_e32 v15, 0
	v_mov_b32_e32 v17, 0
	s_mov_b32 s9, exec_lo
	v_lshlrev_b64 v[7:8], 2, v[5:6]
	v_subrev_nc_u32_e32 v9, s8, v0
	s_waitcnt lgkmcnt(0)
	v_add_co_u32 v7, vcc_lo, s0, v7
	v_add_co_ci_u32_e64 v8, null, s1, v8, vcc_lo
	global_load_dwordx2 v[7:8], v[7:8], off
	s_waitcnt vmcnt(0)
	v_subrev_nc_u32_e32 v16, s8, v8
	v_add_nc_u32_e32 v7, v7, v9
	v_cmpx_lt_i32_e64 v7, v16
	s_cbranch_execz .LBB221_8
; %bb.5:
	s_clause 0x1
	s_load_dwordx4 s[0:3], s[4:5], 0x18
	s_load_dwordx2 s[4:5], s[4:5], 0x28
	v_mad_u64_u32 v[9:10], null, v7, 15, 14
	v_mov_b32_e32 v12, 0
	v_mov_b32_e32 v15, 0
	;; [unrolled: 1-line block ×3, first 2 shown]
	s_mov_b32 s10, 0
.LBB221_6:                              ; =>This Inner Loop Header: Depth=1
	v_ashrrev_i32_e32 v8, 31, v7
	v_add_nc_u32_e32 v11, -14, v9
	v_mov_b32_e32 v10, v12
	v_mov_b32_e32 v14, v12
	v_lshlrev_b64 v[20:21], 2, v[7:8]
	v_lshlrev_b64 v[18:19], 3, v[11:12]
	v_add_nc_u32_e32 v11, -13, v9
	v_lshlrev_b64 v[22:23], 3, v[9:10]
	v_add_nc_u32_e32 v7, 64, v7
	s_waitcnt lgkmcnt(0)
	v_add_co_u32 v20, vcc_lo, s0, v20
	v_add_co_ci_u32_e64 v21, null, s1, v21, vcc_lo
	v_lshlrev_b64 v[10:11], 3, v[11:12]
	v_add_co_u32 v18, vcc_lo, s2, v18
	global_load_dword v8, v[20:21], off
	v_add_co_ci_u32_e64 v19, null, s3, v19, vcc_lo
	v_add_co_u32 v22, vcc_lo, s2, v22
	v_add_co_ci_u32_e64 v23, null, s3, v23, vcc_lo
	v_add_co_u32 v10, vcc_lo, s2, v10
	v_add_co_ci_u32_e64 v11, null, s3, v11, vcc_lo
	s_clause 0x1
	global_load_dwordx2 v[18:19], v[18:19], off
	global_load_dwordx2 v[20:21], v[10:11], off
	s_waitcnt vmcnt(2)
	v_subrev_nc_u32_e32 v8, s8, v8
	v_mul_lo_u32 v13, v8, 15
	v_lshlrev_b64 v[24:25], 3, v[13:14]
	v_add_nc_u32_e32 v11, 1, v13
	v_lshlrev_b64 v[26:27], 3, v[11:12]
	v_add_co_u32 v24, vcc_lo, s4, v24
	v_add_co_ci_u32_e64 v25, null, s5, v25, vcc_lo
	v_add_nc_u32_e32 v11, -12, v9
	v_add_co_u32 v26, vcc_lo, s4, v26
	global_load_dwordx2 v[24:25], v[24:25], off
	v_add_co_ci_u32_e64 v27, null, s5, v27, vcc_lo
	v_lshlrev_b64 v[28:29], 3, v[11:12]
	v_add_nc_u32_e32 v11, 2, v13
	global_load_dwordx2 v[26:27], v[26:27], off
	v_lshlrev_b64 v[30:31], 3, v[11:12]
	v_add_nc_u32_e32 v11, -11, v9
	v_add_co_u32 v28, vcc_lo, s2, v28
	v_add_co_ci_u32_e64 v29, null, s3, v29, vcc_lo
	v_lshlrev_b64 v[32:33], 3, v[11:12]
	v_add_nc_u32_e32 v11, 3, v13
	v_add_co_u32 v30, vcc_lo, s4, v30
	v_add_co_ci_u32_e64 v31, null, s5, v31, vcc_lo
	v_lshlrev_b64 v[34:35], 3, v[11:12]
	v_add_nc_u32_e32 v11, -10, v9
	v_add_co_u32 v32, vcc_lo, s2, v32
	v_add_co_ci_u32_e64 v33, null, s3, v33, vcc_lo
	v_lshlrev_b64 v[36:37], 3, v[11:12]
	v_add_nc_u32_e32 v11, 4, v13
	v_add_co_u32 v34, vcc_lo, s4, v34
	v_add_co_ci_u32_e64 v35, null, s5, v35, vcc_lo
	;; [unrolled: 8-line block ×9, first 2 shown]
	s_waitcnt vmcnt(1)
	v_fmac_f32_e32 v17, v18, v24
	v_fmac_f32_e32 v15, v19, v24
	v_add_co_u32 v24, vcc_lo, s2, v64
	v_fma_f32 v8, -v19, v25, v17
	v_fmac_f32_e32 v15, v18, v25
	v_lshlrev_b64 v[17:18], 3, v[11:12]
	v_add_nc_u32_e32 v11, -2, v9
	v_add_co_ci_u32_e64 v25, null, s3, v65, vcc_lo
	s_waitcnt vmcnt(0)
	v_fmac_f32_e32 v15, v21, v26
	v_fmac_f32_e32 v8, v20, v26
	v_lshlrev_b64 v[64:65], 3, v[11:12]
	v_add_nc_u32_e32 v11, 12, v13
	v_add_co_u32 v17, vcc_lo, s4, v17
	v_fmac_f32_e32 v15, v20, v27
	v_add_co_ci_u32_e64 v18, null, s5, v18, vcc_lo
	v_lshlrev_b64 v[19:20], 3, v[11:12]
	v_add_co_u32 v26, vcc_lo, s2, v64
	v_fma_f32 v8, -v21, v27, v8
	v_add_co_ci_u32_e64 v27, null, s3, v65, vcc_lo
	v_add_co_u32 v19, vcc_lo, s4, v19
	v_add_co_ci_u32_e64 v20, null, s5, v20, vcc_lo
	global_load_dwordx2 v[28:29], v[28:29], off
	global_load_dwordx2 v[30:31], v[30:31], off
	;; [unrolled: 1-line block ×22, first 2 shown]
	v_add_nc_u32_e32 v11, -1, v9
	v_add_nc_u32_e32 v9, 0x3c0, v9
	v_lshlrev_b64 v[64:65], 3, v[11:12]
	v_add_nc_u32_e32 v11, 13, v13
	v_lshlrev_b64 v[66:67], 3, v[11:12]
	v_add_nc_u32_e32 v11, 14, v13
	v_add_co_u32 v13, vcc_lo, s2, v64
	v_add_co_ci_u32_e64 v14, null, s3, v65, vcc_lo
	v_add_co_u32 v64, vcc_lo, s4, v66
	v_add_co_ci_u32_e64 v65, null, s5, v67, vcc_lo
	v_lshlrev_b64 v[10:11], 3, v[11:12]
	v_add_co_u32 v10, vcc_lo, s4, v10
	v_add_co_ci_u32_e64 v11, null, s5, v11, vcc_lo
	v_cmp_ge_i32_e32 vcc_lo, v7, v16
	s_or_b32 s10, vcc_lo, s10
	s_waitcnt vmcnt(20)
	v_fmac_f32_e32 v8, v28, v30
	v_fmac_f32_e32 v15, v29, v30
	v_fma_f32 v8, -v29, v31, v8
	v_fmac_f32_e32 v15, v28, v31
	global_load_dwordx2 v[13:14], v[13:14], off
	global_load_dwordx2 v[28:29], v[64:65], off
	;; [unrolled: 1-line block ×4, first 2 shown]
	s_waitcnt vmcnt(22)
	v_fmac_f32_e32 v8, v32, v34
	v_fmac_f32_e32 v15, v33, v34
	v_fma_f32 v8, -v33, v35, v8
	v_fmac_f32_e32 v15, v32, v35
	s_waitcnt vmcnt(20)
	v_fmac_f32_e32 v8, v36, v38
	v_fmac_f32_e32 v15, v37, v38
	v_fma_f32 v8, -v37, v39, v8
	v_fmac_f32_e32 v15, v36, v39
	;; [unrolled: 5-line block ×12, first 2 shown]
	s_andn2_b32 exec_lo, exec_lo, s10
	s_cbranch_execnz .LBB221_6
; %bb.7:
	s_or_b32 exec_lo, exec_lo, s10
.LBB221_8:
	s_or_b32 exec_lo, exec_lo, s9
	v_mbcnt_lo_u32_b32 v7, -1, 0
	v_or_b32_e32 v8, 32, v7
	v_xor_b32_e32 v10, 16, v7
	v_xor_b32_e32 v12, 8, v7
	v_cmp_gt_i32_e32 vcc_lo, 32, v8
	v_cndmask_b32_e32 v8, v7, v8, vcc_lo
	v_cmp_gt_i32_e32 vcc_lo, 32, v10
	v_lshlrev_b32_e32 v8, 2, v8
	v_cndmask_b32_e32 v10, v7, v10, vcc_lo
	v_cmp_gt_i32_e32 vcc_lo, 32, v12
	ds_bpermute_b32 v9, v8, v17
	ds_bpermute_b32 v8, v8, v15
	v_lshlrev_b32_e32 v10, 2, v10
	v_cndmask_b32_e32 v12, v7, v12, vcc_lo
	v_lshlrev_b32_e32 v12, 2, v12
	s_waitcnt lgkmcnt(1)
	v_add_f32_e32 v9, v17, v9
	s_waitcnt lgkmcnt(0)
	v_add_f32_e32 v8, v15, v8
	ds_bpermute_b32 v11, v10, v9
	ds_bpermute_b32 v10, v10, v8
	s_waitcnt lgkmcnt(1)
	v_add_f32_e32 v9, v9, v11
	s_waitcnt lgkmcnt(0)
	v_add_f32_e32 v8, v8, v10
	ds_bpermute_b32 v10, v12, v9
	ds_bpermute_b32 v11, v12, v8
	v_xor_b32_e32 v12, 4, v7
	v_cmp_gt_i32_e32 vcc_lo, 32, v12
	v_cndmask_b32_e32 v12, v7, v12, vcc_lo
	v_lshlrev_b32_e32 v12, 2, v12
	s_waitcnt lgkmcnt(1)
	v_add_f32_e32 v9, v9, v10
	s_waitcnt lgkmcnt(0)
	v_add_f32_e32 v8, v8, v11
	ds_bpermute_b32 v10, v12, v9
	ds_bpermute_b32 v11, v12, v8
	v_xor_b32_e32 v12, 2, v7
	v_cmp_gt_i32_e32 vcc_lo, 32, v12
	v_cndmask_b32_e32 v12, v7, v12, vcc_lo
	v_lshlrev_b32_e32 v12, 2, v12
	s_waitcnt lgkmcnt(1)
	v_add_f32_e32 v9, v9, v10
	s_waitcnt lgkmcnt(0)
	v_add_f32_e32 v8, v8, v11
	ds_bpermute_b32 v10, v12, v9
	ds_bpermute_b32 v11, v12, v8
	v_xor_b32_e32 v12, 1, v7
	v_cmp_gt_i32_e32 vcc_lo, 32, v12
	v_cndmask_b32_e32 v7, v7, v12, vcc_lo
	v_cmp_eq_u32_e32 vcc_lo, 63, v0
	v_lshlrev_b32_e32 v12, 2, v7
	s_waitcnt lgkmcnt(1)
	v_add_f32_e32 v7, v9, v10
	s_waitcnt lgkmcnt(0)
	v_add_f32_e32 v9, v8, v11
	ds_bpermute_b32 v8, v12, v7
	ds_bpermute_b32 v10, v12, v9
	s_and_b32 exec_lo, exec_lo, vcc_lo
	s_cbranch_execz .LBB221_13
; %bb.9:
	s_waitcnt lgkmcnt(0)
	v_add_f32_e32 v0, v9, v10
	v_add_f32_e32 v9, v7, v8
	v_cmp_eq_f32_e32 vcc_lo, 0, v1
	v_cmp_eq_f32_e64 s0, 0, v2
	v_lshlrev_b64 v[5:6], 3, v[5:6]
	v_mul_f32_e64 v7, v0, -v4
	v_mul_f32_e32 v8, v3, v0
	s_and_b32 s0, vcc_lo, s0
	v_fmac_f32_e32 v7, v3, v9
	v_fmac_f32_e32 v8, v4, v9
	s_and_saveexec_b32 s1, s0
	s_xor_b32 s0, exec_lo, s1
	s_cbranch_execz .LBB221_11
; %bb.10:
	v_add_co_u32 v0, vcc_lo, s6, v5
	v_add_co_ci_u32_e64 v1, null, s7, v6, vcc_lo
                                        ; implicit-def: $vgpr5_vgpr6
	global_store_dwordx2 v[0:1], v[7:8], off
                                        ; implicit-def: $vgpr1_vgpr2
                                        ; implicit-def: $vgpr7
.LBB221_11:
	s_andn2_saveexec_b32 s0, s0
	s_cbranch_execz .LBB221_13
; %bb.12:
	v_add_co_u32 v3, vcc_lo, s6, v5
	v_add_co_ci_u32_e64 v4, null, s7, v6, vcc_lo
	global_load_dwordx2 v[5:6], v[3:4], off
	s_waitcnt vmcnt(0)
	v_fmac_f32_e32 v7, v1, v5
	v_fmac_f32_e32 v8, v2, v5
	v_fma_f32 v7, -v2, v6, v7
	v_fmac_f32_e32 v8, v1, v6
	global_store_dwordx2 v[3:4], v[7:8], off
.LBB221_13:
	s_endpgm
	.section	.rodata,"a",@progbits
	.p2align	6, 0x0
	.amdhsa_kernel _ZN9rocsparseL19gebsrmvn_1xn_kernelILj128ELj15ELj64E21rocsparse_complex_numIfEEEvi20rocsparse_direction_NS_24const_host_device_scalarIT2_EEPKiS8_PKS5_SA_S6_PS5_21rocsparse_index_base_b
		.amdhsa_group_segment_fixed_size 0
		.amdhsa_private_segment_fixed_size 0
		.amdhsa_kernarg_size 72
		.amdhsa_user_sgpr_count 6
		.amdhsa_user_sgpr_private_segment_buffer 1
		.amdhsa_user_sgpr_dispatch_ptr 0
		.amdhsa_user_sgpr_queue_ptr 0
		.amdhsa_user_sgpr_kernarg_segment_ptr 1
		.amdhsa_user_sgpr_dispatch_id 0
		.amdhsa_user_sgpr_flat_scratch_init 0
		.amdhsa_user_sgpr_private_segment_size 0
		.amdhsa_wavefront_size32 1
		.amdhsa_uses_dynamic_stack 0
		.amdhsa_system_sgpr_private_segment_wavefront_offset 0
		.amdhsa_system_sgpr_workgroup_id_x 1
		.amdhsa_system_sgpr_workgroup_id_y 0
		.amdhsa_system_sgpr_workgroup_id_z 0
		.amdhsa_system_sgpr_workgroup_info 0
		.amdhsa_system_vgpr_workitem_id 0
		.amdhsa_next_free_vgpr 68
		.amdhsa_next_free_sgpr 13
		.amdhsa_reserve_vcc 1
		.amdhsa_reserve_flat_scratch 0
		.amdhsa_float_round_mode_32 0
		.amdhsa_float_round_mode_16_64 0
		.amdhsa_float_denorm_mode_32 3
		.amdhsa_float_denorm_mode_16_64 3
		.amdhsa_dx10_clamp 1
		.amdhsa_ieee_mode 1
		.amdhsa_fp16_overflow 0
		.amdhsa_workgroup_processor_mode 1
		.amdhsa_memory_ordered 1
		.amdhsa_forward_progress 1
		.amdhsa_shared_vgpr_count 0
		.amdhsa_exception_fp_ieee_invalid_op 0
		.amdhsa_exception_fp_denorm_src 0
		.amdhsa_exception_fp_ieee_div_zero 0
		.amdhsa_exception_fp_ieee_overflow 0
		.amdhsa_exception_fp_ieee_underflow 0
		.amdhsa_exception_fp_ieee_inexact 0
		.amdhsa_exception_int_div_zero 0
	.end_amdhsa_kernel
	.section	.text._ZN9rocsparseL19gebsrmvn_1xn_kernelILj128ELj15ELj64E21rocsparse_complex_numIfEEEvi20rocsparse_direction_NS_24const_host_device_scalarIT2_EEPKiS8_PKS5_SA_S6_PS5_21rocsparse_index_base_b,"axG",@progbits,_ZN9rocsparseL19gebsrmvn_1xn_kernelILj128ELj15ELj64E21rocsparse_complex_numIfEEEvi20rocsparse_direction_NS_24const_host_device_scalarIT2_EEPKiS8_PKS5_SA_S6_PS5_21rocsparse_index_base_b,comdat
.Lfunc_end221:
	.size	_ZN9rocsparseL19gebsrmvn_1xn_kernelILj128ELj15ELj64E21rocsparse_complex_numIfEEEvi20rocsparse_direction_NS_24const_host_device_scalarIT2_EEPKiS8_PKS5_SA_S6_PS5_21rocsparse_index_base_b, .Lfunc_end221-_ZN9rocsparseL19gebsrmvn_1xn_kernelILj128ELj15ELj64E21rocsparse_complex_numIfEEEvi20rocsparse_direction_NS_24const_host_device_scalarIT2_EEPKiS8_PKS5_SA_S6_PS5_21rocsparse_index_base_b
                                        ; -- End function
	.set _ZN9rocsparseL19gebsrmvn_1xn_kernelILj128ELj15ELj64E21rocsparse_complex_numIfEEEvi20rocsparse_direction_NS_24const_host_device_scalarIT2_EEPKiS8_PKS5_SA_S6_PS5_21rocsparse_index_base_b.num_vgpr, 68
	.set _ZN9rocsparseL19gebsrmvn_1xn_kernelILj128ELj15ELj64E21rocsparse_complex_numIfEEEvi20rocsparse_direction_NS_24const_host_device_scalarIT2_EEPKiS8_PKS5_SA_S6_PS5_21rocsparse_index_base_b.num_agpr, 0
	.set _ZN9rocsparseL19gebsrmvn_1xn_kernelILj128ELj15ELj64E21rocsparse_complex_numIfEEEvi20rocsparse_direction_NS_24const_host_device_scalarIT2_EEPKiS8_PKS5_SA_S6_PS5_21rocsparse_index_base_b.numbered_sgpr, 13
	.set _ZN9rocsparseL19gebsrmvn_1xn_kernelILj128ELj15ELj64E21rocsparse_complex_numIfEEEvi20rocsparse_direction_NS_24const_host_device_scalarIT2_EEPKiS8_PKS5_SA_S6_PS5_21rocsparse_index_base_b.num_named_barrier, 0
	.set _ZN9rocsparseL19gebsrmvn_1xn_kernelILj128ELj15ELj64E21rocsparse_complex_numIfEEEvi20rocsparse_direction_NS_24const_host_device_scalarIT2_EEPKiS8_PKS5_SA_S6_PS5_21rocsparse_index_base_b.private_seg_size, 0
	.set _ZN9rocsparseL19gebsrmvn_1xn_kernelILj128ELj15ELj64E21rocsparse_complex_numIfEEEvi20rocsparse_direction_NS_24const_host_device_scalarIT2_EEPKiS8_PKS5_SA_S6_PS5_21rocsparse_index_base_b.uses_vcc, 1
	.set _ZN9rocsparseL19gebsrmvn_1xn_kernelILj128ELj15ELj64E21rocsparse_complex_numIfEEEvi20rocsparse_direction_NS_24const_host_device_scalarIT2_EEPKiS8_PKS5_SA_S6_PS5_21rocsparse_index_base_b.uses_flat_scratch, 0
	.set _ZN9rocsparseL19gebsrmvn_1xn_kernelILj128ELj15ELj64E21rocsparse_complex_numIfEEEvi20rocsparse_direction_NS_24const_host_device_scalarIT2_EEPKiS8_PKS5_SA_S6_PS5_21rocsparse_index_base_b.has_dyn_sized_stack, 0
	.set _ZN9rocsparseL19gebsrmvn_1xn_kernelILj128ELj15ELj64E21rocsparse_complex_numIfEEEvi20rocsparse_direction_NS_24const_host_device_scalarIT2_EEPKiS8_PKS5_SA_S6_PS5_21rocsparse_index_base_b.has_recursion, 0
	.set _ZN9rocsparseL19gebsrmvn_1xn_kernelILj128ELj15ELj64E21rocsparse_complex_numIfEEEvi20rocsparse_direction_NS_24const_host_device_scalarIT2_EEPKiS8_PKS5_SA_S6_PS5_21rocsparse_index_base_b.has_indirect_call, 0
	.section	.AMDGPU.csdata,"",@progbits
; Kernel info:
; codeLenInByte = 2340
; TotalNumSgprs: 15
; NumVgprs: 68
; ScratchSize: 0
; MemoryBound: 0
; FloatMode: 240
; IeeeMode: 1
; LDSByteSize: 0 bytes/workgroup (compile time only)
; SGPRBlocks: 0
; VGPRBlocks: 8
; NumSGPRsForWavesPerEU: 15
; NumVGPRsForWavesPerEU: 68
; Occupancy: 12
; WaveLimiterHint : 1
; COMPUTE_PGM_RSRC2:SCRATCH_EN: 0
; COMPUTE_PGM_RSRC2:USER_SGPR: 6
; COMPUTE_PGM_RSRC2:TRAP_HANDLER: 0
; COMPUTE_PGM_RSRC2:TGID_X_EN: 1
; COMPUTE_PGM_RSRC2:TGID_Y_EN: 0
; COMPUTE_PGM_RSRC2:TGID_Z_EN: 0
; COMPUTE_PGM_RSRC2:TIDIG_COMP_CNT: 0
	.section	.text._ZN9rocsparseL19gebsrmvn_1xn_kernelILj128ELj16ELj4E21rocsparse_complex_numIfEEEvi20rocsparse_direction_NS_24const_host_device_scalarIT2_EEPKiS8_PKS5_SA_S6_PS5_21rocsparse_index_base_b,"axG",@progbits,_ZN9rocsparseL19gebsrmvn_1xn_kernelILj128ELj16ELj4E21rocsparse_complex_numIfEEEvi20rocsparse_direction_NS_24const_host_device_scalarIT2_EEPKiS8_PKS5_SA_S6_PS5_21rocsparse_index_base_b,comdat
	.globl	_ZN9rocsparseL19gebsrmvn_1xn_kernelILj128ELj16ELj4E21rocsparse_complex_numIfEEEvi20rocsparse_direction_NS_24const_host_device_scalarIT2_EEPKiS8_PKS5_SA_S6_PS5_21rocsparse_index_base_b ; -- Begin function _ZN9rocsparseL19gebsrmvn_1xn_kernelILj128ELj16ELj4E21rocsparse_complex_numIfEEEvi20rocsparse_direction_NS_24const_host_device_scalarIT2_EEPKiS8_PKS5_SA_S6_PS5_21rocsparse_index_base_b
	.p2align	8
	.type	_ZN9rocsparseL19gebsrmvn_1xn_kernelILj128ELj16ELj4E21rocsparse_complex_numIfEEEvi20rocsparse_direction_NS_24const_host_device_scalarIT2_EEPKiS8_PKS5_SA_S6_PS5_21rocsparse_index_base_b,@function
_ZN9rocsparseL19gebsrmvn_1xn_kernelILj128ELj16ELj4E21rocsparse_complex_numIfEEEvi20rocsparse_direction_NS_24const_host_device_scalarIT2_EEPKiS8_PKS5_SA_S6_PS5_21rocsparse_index_base_b: ; @_ZN9rocsparseL19gebsrmvn_1xn_kernelILj128ELj16ELj4E21rocsparse_complex_numIfEEEvi20rocsparse_direction_NS_24const_host_device_scalarIT2_EEPKiS8_PKS5_SA_S6_PS5_21rocsparse_index_base_b
; %bb.0:
	s_clause 0x2
	s_load_dwordx2 s[8:9], s[4:5], 0x40
	s_load_dwordx2 s[0:1], s[4:5], 0x8
	;; [unrolled: 1-line block ×3, first 2 shown]
	s_add_u32 s7, s4, 8
	s_addc_u32 s10, s5, 0
	s_add_u32 s11, s4, 48
	s_addc_u32 s12, s5, 0
	s_waitcnt lgkmcnt(0)
	s_bitcmp1_b32 s9, 0
	s_cselect_b32 s0, s7, s0
	s_cselect_b32 s1, s10, s1
	v_mov_b32_e32 v1, s0
	v_mov_b32_e32 v2, s1
	s_cselect_b32 s0, s11, s2
	s_cselect_b32 s1, s12, s3
	flat_load_dwordx2 v[3:4], v[1:2]
	v_mov_b32_e32 v1, s0
	v_mov_b32_e32 v2, s1
	flat_load_dwordx2 v[1:2], v[1:2]
	s_waitcnt vmcnt(1) lgkmcnt(1)
	v_cmp_eq_f32_e32 vcc_lo, 0, v3
	v_cmp_eq_f32_e64 s0, 0, v4
	s_and_b32 s2, vcc_lo, s0
	s_mov_b32 s0, -1
	s_and_saveexec_b32 s1, s2
	s_cbranch_execz .LBB222_2
; %bb.1:
	s_waitcnt vmcnt(0) lgkmcnt(0)
	v_cmp_neq_f32_e32 vcc_lo, 1.0, v1
	v_cmp_neq_f32_e64 s0, 0, v2
	s_or_b32 s0, vcc_lo, s0
	s_orn2_b32 s0, s0, exec_lo
.LBB222_2:
	s_or_b32 exec_lo, exec_lo, s1
	s_and_saveexec_b32 s1, s0
	s_cbranch_execz .LBB222_13
; %bb.3:
	s_load_dword s0, s[4:5], 0x0
	v_lshrrev_b32_e32 v5, 2, v0
	v_lshl_or_b32 v5, s6, 5, v5
	s_waitcnt lgkmcnt(0)
	v_cmp_gt_i32_e32 vcc_lo, s0, v5
	s_and_b32 exec_lo, exec_lo, vcc_lo
	s_cbranch_execz .LBB222_13
; %bb.4:
	s_clause 0x1
	s_load_dwordx2 s[0:1], s[4:5], 0x10
	s_load_dwordx2 s[6:7], s[4:5], 0x38
	v_ashrrev_i32_e32 v6, 31, v5
	v_and_b32_e32 v0, 3, v0
	v_mov_b32_e32 v11, 0
	v_mov_b32_e32 v13, 0
	s_mov_b32 s9, exec_lo
	v_lshlrev_b64 v[7:8], 2, v[5:6]
	v_subrev_nc_u32_e32 v9, s8, v0
	s_waitcnt lgkmcnt(0)
	v_add_co_u32 v7, vcc_lo, s0, v7
	v_add_co_ci_u32_e64 v8, null, s1, v8, vcc_lo
	global_load_dwordx2 v[7:8], v[7:8], off
	s_waitcnt vmcnt(0)
	v_subrev_nc_u32_e32 v12, s8, v8
	v_add_nc_u32_e32 v7, v7, v9
	v_cmpx_lt_i32_e64 v7, v12
	s_cbranch_execz .LBB222_8
; %bb.5:
	s_clause 0x1
	s_load_dwordx4 s[0:3], s[4:5], 0x18
	s_load_dwordx2 s[4:5], s[4:5], 0x28
	v_mov_b32_e32 v10, 0
	v_lshlrev_b32_e32 v9, 4, v7
	s_mov_b32 s10, 0
	v_mov_b32_e32 v11, v10
	v_mov_b32_e32 v13, v10
.LBB222_6:                              ; =>This Inner Loop Header: Depth=1
	v_ashrrev_i32_e32 v8, 31, v7
	v_mov_b32_e32 v23, v10
	v_lshlrev_b64 v[14:15], 2, v[7:8]
	v_add_nc_u32_e32 v7, 4, v7
	s_waitcnt lgkmcnt(0)
	v_add_co_u32 v14, vcc_lo, s0, v14
	v_add_co_ci_u32_e64 v15, null, s1, v15, vcc_lo
	global_load_dword v8, v[14:15], off
	v_lshlrev_b64 v[14:15], 3, v[9:10]
	v_add_nc_u32_e32 v9, 64, v9
	v_add_co_u32 v62, vcc_lo, s2, v14
	v_add_co_ci_u32_e64 v63, null, s3, v15, vcc_lo
	s_clause 0x1
	global_load_dwordx4 v[14:17], v[62:63], off offset:16
	global_load_dwordx4 v[18:21], v[62:63], off
	s_waitcnt vmcnt(2)
	v_subrev_nc_u32_e32 v8, s8, v8
	v_lshlrev_b32_e32 v22, 4, v8
	v_lshlrev_b64 v[22:23], 3, v[22:23]
	v_add_co_u32 v64, vcc_lo, s4, v22
	v_add_co_ci_u32_e64 v65, null, s5, v23, vcc_lo
	v_cmp_ge_i32_e32 vcc_lo, v7, v12
	s_clause 0x1
	global_load_dwordx4 v[22:25], v[64:65], off
	global_load_dwordx4 v[26:29], v[64:65], off offset:16
	global_load_dwordx4 v[30:33], v[62:63], off offset:32
	global_load_dwordx4 v[34:37], v[64:65], off offset:32
	global_load_dwordx4 v[38:41], v[62:63], off offset:48
	global_load_dwordx4 v[42:45], v[64:65], off offset:48
	global_load_dwordx4 v[46:49], v[62:63], off offset:64
	global_load_dwordx4 v[50:53], v[64:65], off offset:64
	global_load_dwordx4 v[54:57], v[62:63], off offset:80
	global_load_dwordx4 v[58:61], v[64:65], off offset:80
	s_or_b32 s10, vcc_lo, s10
	s_waitcnt vmcnt(9)
	v_fmac_f32_e32 v13, v18, v22
	v_fmac_f32_e32 v11, v19, v22
	v_fma_f32 v8, -v19, v23, v13
	v_fmac_f32_e32 v11, v18, v23
	v_fmac_f32_e32 v8, v20, v24
	v_fmac_f32_e32 v11, v21, v24
	v_fma_f32 v8, -v21, v25, v8
	v_fmac_f32_e32 v11, v20, v25
	global_load_dwordx4 v[18:21], v[62:63], off offset:96
	global_load_dwordx4 v[22:25], v[64:65], off offset:96
	s_waitcnt vmcnt(10)
	v_fmac_f32_e32 v8, v14, v26
	v_fmac_f32_e32 v11, v15, v26
	v_fma_f32 v8, -v15, v27, v8
	v_fmac_f32_e32 v11, v14, v27
	v_fmac_f32_e32 v8, v16, v28
	v_fmac_f32_e32 v11, v17, v28
	v_fma_f32 v8, -v17, v29, v8
	v_fmac_f32_e32 v11, v16, v29
	global_load_dwordx4 v[13:16], v[62:63], off offset:112
	global_load_dwordx4 v[26:29], v[64:65], off offset:112
	s_waitcnt vmcnt(10)
	v_fmac_f32_e32 v8, v30, v34
	v_fmac_f32_e32 v11, v31, v34
	v_fma_f32 v8, -v31, v35, v8
	v_fmac_f32_e32 v11, v30, v35
	v_fmac_f32_e32 v8, v32, v36
	v_fmac_f32_e32 v11, v33, v36
	v_fma_f32 v8, -v33, v37, v8
	v_fmac_f32_e32 v11, v32, v37
	s_waitcnt vmcnt(8)
	v_fmac_f32_e32 v8, v38, v42
	v_fmac_f32_e32 v11, v39, v42
	v_fma_f32 v8, -v39, v43, v8
	v_fmac_f32_e32 v11, v38, v43
	v_fmac_f32_e32 v8, v40, v44
	v_fmac_f32_e32 v11, v41, v44
	v_fma_f32 v8, -v41, v45, v8
	v_fmac_f32_e32 v11, v40, v45
	;; [unrolled: 9-line block ×6, first 2 shown]
	s_andn2_b32 exec_lo, exec_lo, s10
	s_cbranch_execnz .LBB222_6
; %bb.7:
	s_or_b32 exec_lo, exec_lo, s10
.LBB222_8:
	s_or_b32 exec_lo, exec_lo, s9
	v_mbcnt_lo_u32_b32 v7, -1, 0
	v_xor_b32_e32 v8, 2, v7
	v_xor_b32_e32 v10, 1, v7
	v_cmp_gt_i32_e32 vcc_lo, 32, v8
	v_cndmask_b32_e32 v8, v7, v8, vcc_lo
	v_cmp_gt_i32_e32 vcc_lo, 32, v10
	v_lshlrev_b32_e32 v8, 2, v8
	v_cndmask_b32_e32 v7, v7, v10, vcc_lo
	v_cmp_eq_u32_e32 vcc_lo, 3, v0
	ds_bpermute_b32 v9, v8, v13
	ds_bpermute_b32 v8, v8, v11
	v_lshlrev_b32_e32 v10, 2, v7
	s_waitcnt lgkmcnt(1)
	v_add_f32_e32 v7, v13, v9
	s_waitcnt lgkmcnt(0)
	v_add_f32_e32 v9, v11, v8
	ds_bpermute_b32 v8, v10, v7
	ds_bpermute_b32 v10, v10, v9
	s_and_b32 exec_lo, exec_lo, vcc_lo
	s_cbranch_execz .LBB222_13
; %bb.9:
	s_waitcnt lgkmcnt(0)
	v_add_f32_e32 v0, v9, v10
	v_add_f32_e32 v9, v7, v8
	v_cmp_eq_f32_e32 vcc_lo, 0, v1
	v_cmp_eq_f32_e64 s0, 0, v2
	v_lshlrev_b64 v[5:6], 3, v[5:6]
	v_mul_f32_e64 v7, v0, -v4
	v_mul_f32_e32 v8, v3, v0
	s_and_b32 s0, vcc_lo, s0
	v_fmac_f32_e32 v7, v3, v9
	v_fmac_f32_e32 v8, v4, v9
	s_and_saveexec_b32 s1, s0
	s_xor_b32 s0, exec_lo, s1
	s_cbranch_execz .LBB222_11
; %bb.10:
	v_add_co_u32 v0, vcc_lo, s6, v5
	v_add_co_ci_u32_e64 v1, null, s7, v6, vcc_lo
                                        ; implicit-def: $vgpr5_vgpr6
	global_store_dwordx2 v[0:1], v[7:8], off
                                        ; implicit-def: $vgpr1_vgpr2
                                        ; implicit-def: $vgpr7
.LBB222_11:
	s_andn2_saveexec_b32 s0, s0
	s_cbranch_execz .LBB222_13
; %bb.12:
	v_add_co_u32 v3, vcc_lo, s6, v5
	v_add_co_ci_u32_e64 v4, null, s7, v6, vcc_lo
	global_load_dwordx2 v[5:6], v[3:4], off
	s_waitcnt vmcnt(0)
	v_fmac_f32_e32 v7, v1, v5
	v_fmac_f32_e32 v8, v2, v5
	v_fma_f32 v7, -v2, v6, v7
	v_fmac_f32_e32 v8, v1, v6
	global_store_dwordx2 v[3:4], v[7:8], off
.LBB222_13:
	s_endpgm
	.section	.rodata,"a",@progbits
	.p2align	6, 0x0
	.amdhsa_kernel _ZN9rocsparseL19gebsrmvn_1xn_kernelILj128ELj16ELj4E21rocsparse_complex_numIfEEEvi20rocsparse_direction_NS_24const_host_device_scalarIT2_EEPKiS8_PKS5_SA_S6_PS5_21rocsparse_index_base_b
		.amdhsa_group_segment_fixed_size 0
		.amdhsa_private_segment_fixed_size 0
		.amdhsa_kernarg_size 72
		.amdhsa_user_sgpr_count 6
		.amdhsa_user_sgpr_private_segment_buffer 1
		.amdhsa_user_sgpr_dispatch_ptr 0
		.amdhsa_user_sgpr_queue_ptr 0
		.amdhsa_user_sgpr_kernarg_segment_ptr 1
		.amdhsa_user_sgpr_dispatch_id 0
		.amdhsa_user_sgpr_flat_scratch_init 0
		.amdhsa_user_sgpr_private_segment_size 0
		.amdhsa_wavefront_size32 1
		.amdhsa_uses_dynamic_stack 0
		.amdhsa_system_sgpr_private_segment_wavefront_offset 0
		.amdhsa_system_sgpr_workgroup_id_x 1
		.amdhsa_system_sgpr_workgroup_id_y 0
		.amdhsa_system_sgpr_workgroup_id_z 0
		.amdhsa_system_sgpr_workgroup_info 0
		.amdhsa_system_vgpr_workitem_id 0
		.amdhsa_next_free_vgpr 66
		.amdhsa_next_free_sgpr 13
		.amdhsa_reserve_vcc 1
		.amdhsa_reserve_flat_scratch 0
		.amdhsa_float_round_mode_32 0
		.amdhsa_float_round_mode_16_64 0
		.amdhsa_float_denorm_mode_32 3
		.amdhsa_float_denorm_mode_16_64 3
		.amdhsa_dx10_clamp 1
		.amdhsa_ieee_mode 1
		.amdhsa_fp16_overflow 0
		.amdhsa_workgroup_processor_mode 1
		.amdhsa_memory_ordered 1
		.amdhsa_forward_progress 1
		.amdhsa_shared_vgpr_count 0
		.amdhsa_exception_fp_ieee_invalid_op 0
		.amdhsa_exception_fp_denorm_src 0
		.amdhsa_exception_fp_ieee_div_zero 0
		.amdhsa_exception_fp_ieee_overflow 0
		.amdhsa_exception_fp_ieee_underflow 0
		.amdhsa_exception_fp_ieee_inexact 0
		.amdhsa_exception_int_div_zero 0
	.end_amdhsa_kernel
	.section	.text._ZN9rocsparseL19gebsrmvn_1xn_kernelILj128ELj16ELj4E21rocsparse_complex_numIfEEEvi20rocsparse_direction_NS_24const_host_device_scalarIT2_EEPKiS8_PKS5_SA_S6_PS5_21rocsparse_index_base_b,"axG",@progbits,_ZN9rocsparseL19gebsrmvn_1xn_kernelILj128ELj16ELj4E21rocsparse_complex_numIfEEEvi20rocsparse_direction_NS_24const_host_device_scalarIT2_EEPKiS8_PKS5_SA_S6_PS5_21rocsparse_index_base_b,comdat
.Lfunc_end222:
	.size	_ZN9rocsparseL19gebsrmvn_1xn_kernelILj128ELj16ELj4E21rocsparse_complex_numIfEEEvi20rocsparse_direction_NS_24const_host_device_scalarIT2_EEPKiS8_PKS5_SA_S6_PS5_21rocsparse_index_base_b, .Lfunc_end222-_ZN9rocsparseL19gebsrmvn_1xn_kernelILj128ELj16ELj4E21rocsparse_complex_numIfEEEvi20rocsparse_direction_NS_24const_host_device_scalarIT2_EEPKiS8_PKS5_SA_S6_PS5_21rocsparse_index_base_b
                                        ; -- End function
	.set _ZN9rocsparseL19gebsrmvn_1xn_kernelILj128ELj16ELj4E21rocsparse_complex_numIfEEEvi20rocsparse_direction_NS_24const_host_device_scalarIT2_EEPKiS8_PKS5_SA_S6_PS5_21rocsparse_index_base_b.num_vgpr, 66
	.set _ZN9rocsparseL19gebsrmvn_1xn_kernelILj128ELj16ELj4E21rocsparse_complex_numIfEEEvi20rocsparse_direction_NS_24const_host_device_scalarIT2_EEPKiS8_PKS5_SA_S6_PS5_21rocsparse_index_base_b.num_agpr, 0
	.set _ZN9rocsparseL19gebsrmvn_1xn_kernelILj128ELj16ELj4E21rocsparse_complex_numIfEEEvi20rocsparse_direction_NS_24const_host_device_scalarIT2_EEPKiS8_PKS5_SA_S6_PS5_21rocsparse_index_base_b.numbered_sgpr, 13
	.set _ZN9rocsparseL19gebsrmvn_1xn_kernelILj128ELj16ELj4E21rocsparse_complex_numIfEEEvi20rocsparse_direction_NS_24const_host_device_scalarIT2_EEPKiS8_PKS5_SA_S6_PS5_21rocsparse_index_base_b.num_named_barrier, 0
	.set _ZN9rocsparseL19gebsrmvn_1xn_kernelILj128ELj16ELj4E21rocsparse_complex_numIfEEEvi20rocsparse_direction_NS_24const_host_device_scalarIT2_EEPKiS8_PKS5_SA_S6_PS5_21rocsparse_index_base_b.private_seg_size, 0
	.set _ZN9rocsparseL19gebsrmvn_1xn_kernelILj128ELj16ELj4E21rocsparse_complex_numIfEEEvi20rocsparse_direction_NS_24const_host_device_scalarIT2_EEPKiS8_PKS5_SA_S6_PS5_21rocsparse_index_base_b.uses_vcc, 1
	.set _ZN9rocsparseL19gebsrmvn_1xn_kernelILj128ELj16ELj4E21rocsparse_complex_numIfEEEvi20rocsparse_direction_NS_24const_host_device_scalarIT2_EEPKiS8_PKS5_SA_S6_PS5_21rocsparse_index_base_b.uses_flat_scratch, 0
	.set _ZN9rocsparseL19gebsrmvn_1xn_kernelILj128ELj16ELj4E21rocsparse_complex_numIfEEEvi20rocsparse_direction_NS_24const_host_device_scalarIT2_EEPKiS8_PKS5_SA_S6_PS5_21rocsparse_index_base_b.has_dyn_sized_stack, 0
	.set _ZN9rocsparseL19gebsrmvn_1xn_kernelILj128ELj16ELj4E21rocsparse_complex_numIfEEEvi20rocsparse_direction_NS_24const_host_device_scalarIT2_EEPKiS8_PKS5_SA_S6_PS5_21rocsparse_index_base_b.has_recursion, 0
	.set _ZN9rocsparseL19gebsrmvn_1xn_kernelILj128ELj16ELj4E21rocsparse_complex_numIfEEEvi20rocsparse_direction_NS_24const_host_device_scalarIT2_EEPKiS8_PKS5_SA_S6_PS5_21rocsparse_index_base_b.has_indirect_call, 0
	.section	.AMDGPU.csdata,"",@progbits
; Kernel info:
; codeLenInByte = 1232
; TotalNumSgprs: 15
; NumVgprs: 66
; ScratchSize: 0
; MemoryBound: 0
; FloatMode: 240
; IeeeMode: 1
; LDSByteSize: 0 bytes/workgroup (compile time only)
; SGPRBlocks: 0
; VGPRBlocks: 8
; NumSGPRsForWavesPerEU: 15
; NumVGPRsForWavesPerEU: 66
; Occupancy: 12
; WaveLimiterHint : 1
; COMPUTE_PGM_RSRC2:SCRATCH_EN: 0
; COMPUTE_PGM_RSRC2:USER_SGPR: 6
; COMPUTE_PGM_RSRC2:TRAP_HANDLER: 0
; COMPUTE_PGM_RSRC2:TGID_X_EN: 1
; COMPUTE_PGM_RSRC2:TGID_Y_EN: 0
; COMPUTE_PGM_RSRC2:TGID_Z_EN: 0
; COMPUTE_PGM_RSRC2:TIDIG_COMP_CNT: 0
	.section	.text._ZN9rocsparseL19gebsrmvn_1xn_kernelILj128ELj16ELj8E21rocsparse_complex_numIfEEEvi20rocsparse_direction_NS_24const_host_device_scalarIT2_EEPKiS8_PKS5_SA_S6_PS5_21rocsparse_index_base_b,"axG",@progbits,_ZN9rocsparseL19gebsrmvn_1xn_kernelILj128ELj16ELj8E21rocsparse_complex_numIfEEEvi20rocsparse_direction_NS_24const_host_device_scalarIT2_EEPKiS8_PKS5_SA_S6_PS5_21rocsparse_index_base_b,comdat
	.globl	_ZN9rocsparseL19gebsrmvn_1xn_kernelILj128ELj16ELj8E21rocsparse_complex_numIfEEEvi20rocsparse_direction_NS_24const_host_device_scalarIT2_EEPKiS8_PKS5_SA_S6_PS5_21rocsparse_index_base_b ; -- Begin function _ZN9rocsparseL19gebsrmvn_1xn_kernelILj128ELj16ELj8E21rocsparse_complex_numIfEEEvi20rocsparse_direction_NS_24const_host_device_scalarIT2_EEPKiS8_PKS5_SA_S6_PS5_21rocsparse_index_base_b
	.p2align	8
	.type	_ZN9rocsparseL19gebsrmvn_1xn_kernelILj128ELj16ELj8E21rocsparse_complex_numIfEEEvi20rocsparse_direction_NS_24const_host_device_scalarIT2_EEPKiS8_PKS5_SA_S6_PS5_21rocsparse_index_base_b,@function
_ZN9rocsparseL19gebsrmvn_1xn_kernelILj128ELj16ELj8E21rocsparse_complex_numIfEEEvi20rocsparse_direction_NS_24const_host_device_scalarIT2_EEPKiS8_PKS5_SA_S6_PS5_21rocsparse_index_base_b: ; @_ZN9rocsparseL19gebsrmvn_1xn_kernelILj128ELj16ELj8E21rocsparse_complex_numIfEEEvi20rocsparse_direction_NS_24const_host_device_scalarIT2_EEPKiS8_PKS5_SA_S6_PS5_21rocsparse_index_base_b
; %bb.0:
	s_clause 0x2
	s_load_dwordx2 s[8:9], s[4:5], 0x40
	s_load_dwordx2 s[0:1], s[4:5], 0x8
	;; [unrolled: 1-line block ×3, first 2 shown]
	s_add_u32 s7, s4, 8
	s_addc_u32 s10, s5, 0
	s_add_u32 s11, s4, 48
	s_addc_u32 s12, s5, 0
	s_waitcnt lgkmcnt(0)
	s_bitcmp1_b32 s9, 0
	s_cselect_b32 s0, s7, s0
	s_cselect_b32 s1, s10, s1
	v_mov_b32_e32 v1, s0
	v_mov_b32_e32 v2, s1
	s_cselect_b32 s0, s11, s2
	s_cselect_b32 s1, s12, s3
	flat_load_dwordx2 v[3:4], v[1:2]
	v_mov_b32_e32 v1, s0
	v_mov_b32_e32 v2, s1
	flat_load_dwordx2 v[1:2], v[1:2]
	s_waitcnt vmcnt(1) lgkmcnt(1)
	v_cmp_eq_f32_e32 vcc_lo, 0, v3
	v_cmp_eq_f32_e64 s0, 0, v4
	s_and_b32 s2, vcc_lo, s0
	s_mov_b32 s0, -1
	s_and_saveexec_b32 s1, s2
	s_cbranch_execz .LBB223_2
; %bb.1:
	s_waitcnt vmcnt(0) lgkmcnt(0)
	v_cmp_neq_f32_e32 vcc_lo, 1.0, v1
	v_cmp_neq_f32_e64 s0, 0, v2
	s_or_b32 s0, vcc_lo, s0
	s_orn2_b32 s0, s0, exec_lo
.LBB223_2:
	s_or_b32 exec_lo, exec_lo, s1
	s_and_saveexec_b32 s1, s0
	s_cbranch_execz .LBB223_13
; %bb.3:
	s_load_dword s0, s[4:5], 0x0
	v_lshrrev_b32_e32 v5, 3, v0
	v_lshl_or_b32 v5, s6, 4, v5
	s_waitcnt lgkmcnt(0)
	v_cmp_gt_i32_e32 vcc_lo, s0, v5
	s_and_b32 exec_lo, exec_lo, vcc_lo
	s_cbranch_execz .LBB223_13
; %bb.4:
	s_clause 0x1
	s_load_dwordx2 s[0:1], s[4:5], 0x10
	s_load_dwordx2 s[6:7], s[4:5], 0x38
	v_ashrrev_i32_e32 v6, 31, v5
	v_and_b32_e32 v0, 7, v0
	v_mov_b32_e32 v11, 0
	v_mov_b32_e32 v13, 0
	s_mov_b32 s9, exec_lo
	v_lshlrev_b64 v[7:8], 2, v[5:6]
	v_subrev_nc_u32_e32 v9, s8, v0
	s_waitcnt lgkmcnt(0)
	v_add_co_u32 v7, vcc_lo, s0, v7
	v_add_co_ci_u32_e64 v8, null, s1, v8, vcc_lo
	global_load_dwordx2 v[7:8], v[7:8], off
	s_waitcnt vmcnt(0)
	v_subrev_nc_u32_e32 v12, s8, v8
	v_add_nc_u32_e32 v7, v7, v9
	v_cmpx_lt_i32_e64 v7, v12
	s_cbranch_execz .LBB223_8
; %bb.5:
	s_clause 0x1
	s_load_dwordx4 s[0:3], s[4:5], 0x18
	s_load_dwordx2 s[4:5], s[4:5], 0x28
	v_mov_b32_e32 v10, 0
	v_lshlrev_b32_e32 v9, 4, v7
	s_mov_b32 s10, 0
	v_mov_b32_e32 v11, v10
	v_mov_b32_e32 v13, v10
.LBB223_6:                              ; =>This Inner Loop Header: Depth=1
	v_ashrrev_i32_e32 v8, 31, v7
	v_mov_b32_e32 v23, v10
	v_lshlrev_b64 v[14:15], 2, v[7:8]
	v_add_nc_u32_e32 v7, 8, v7
	s_waitcnt lgkmcnt(0)
	v_add_co_u32 v14, vcc_lo, s0, v14
	v_add_co_ci_u32_e64 v15, null, s1, v15, vcc_lo
	global_load_dword v8, v[14:15], off
	v_lshlrev_b64 v[14:15], 3, v[9:10]
	v_add_nc_u32_e32 v9, 0x80, v9
	v_add_co_u32 v62, vcc_lo, s2, v14
	v_add_co_ci_u32_e64 v63, null, s3, v15, vcc_lo
	s_clause 0x1
	global_load_dwordx4 v[14:17], v[62:63], off offset:16
	global_load_dwordx4 v[18:21], v[62:63], off
	s_waitcnt vmcnt(2)
	v_subrev_nc_u32_e32 v8, s8, v8
	v_lshlrev_b32_e32 v22, 4, v8
	v_lshlrev_b64 v[22:23], 3, v[22:23]
	v_add_co_u32 v64, vcc_lo, s4, v22
	v_add_co_ci_u32_e64 v65, null, s5, v23, vcc_lo
	v_cmp_ge_i32_e32 vcc_lo, v7, v12
	s_clause 0x1
	global_load_dwordx4 v[22:25], v[64:65], off
	global_load_dwordx4 v[26:29], v[64:65], off offset:16
	global_load_dwordx4 v[30:33], v[62:63], off offset:32
	global_load_dwordx4 v[34:37], v[64:65], off offset:32
	global_load_dwordx4 v[38:41], v[62:63], off offset:48
	global_load_dwordx4 v[42:45], v[64:65], off offset:48
	global_load_dwordx4 v[46:49], v[62:63], off offset:64
	global_load_dwordx4 v[50:53], v[64:65], off offset:64
	global_load_dwordx4 v[54:57], v[62:63], off offset:80
	global_load_dwordx4 v[58:61], v[64:65], off offset:80
	s_or_b32 s10, vcc_lo, s10
	s_waitcnt vmcnt(9)
	v_fmac_f32_e32 v13, v18, v22
	v_fmac_f32_e32 v11, v19, v22
	v_fma_f32 v8, -v19, v23, v13
	v_fmac_f32_e32 v11, v18, v23
	v_fmac_f32_e32 v8, v20, v24
	;; [unrolled: 1-line block ×3, first 2 shown]
	v_fma_f32 v8, -v21, v25, v8
	v_fmac_f32_e32 v11, v20, v25
	global_load_dwordx4 v[18:21], v[62:63], off offset:96
	global_load_dwordx4 v[22:25], v[64:65], off offset:96
	s_waitcnt vmcnt(10)
	v_fmac_f32_e32 v8, v14, v26
	v_fmac_f32_e32 v11, v15, v26
	v_fma_f32 v8, -v15, v27, v8
	v_fmac_f32_e32 v11, v14, v27
	v_fmac_f32_e32 v8, v16, v28
	;; [unrolled: 1-line block ×3, first 2 shown]
	v_fma_f32 v8, -v17, v29, v8
	v_fmac_f32_e32 v11, v16, v29
	global_load_dwordx4 v[13:16], v[62:63], off offset:112
	global_load_dwordx4 v[26:29], v[64:65], off offset:112
	s_waitcnt vmcnt(10)
	v_fmac_f32_e32 v8, v30, v34
	v_fmac_f32_e32 v11, v31, v34
	v_fma_f32 v8, -v31, v35, v8
	v_fmac_f32_e32 v11, v30, v35
	v_fmac_f32_e32 v8, v32, v36
	v_fmac_f32_e32 v11, v33, v36
	v_fma_f32 v8, -v33, v37, v8
	v_fmac_f32_e32 v11, v32, v37
	s_waitcnt vmcnt(8)
	v_fmac_f32_e32 v8, v38, v42
	v_fmac_f32_e32 v11, v39, v42
	v_fma_f32 v8, -v39, v43, v8
	v_fmac_f32_e32 v11, v38, v43
	v_fmac_f32_e32 v8, v40, v44
	v_fmac_f32_e32 v11, v41, v44
	v_fma_f32 v8, -v41, v45, v8
	v_fmac_f32_e32 v11, v40, v45
	;; [unrolled: 9-line block ×6, first 2 shown]
	s_andn2_b32 exec_lo, exec_lo, s10
	s_cbranch_execnz .LBB223_6
; %bb.7:
	s_or_b32 exec_lo, exec_lo, s10
.LBB223_8:
	s_or_b32 exec_lo, exec_lo, s9
	v_mbcnt_lo_u32_b32 v7, -1, 0
	v_xor_b32_e32 v8, 4, v7
	v_xor_b32_e32 v10, 2, v7
	v_xor_b32_e32 v12, 1, v7
	v_cmp_gt_i32_e32 vcc_lo, 32, v8
	v_cndmask_b32_e32 v8, v7, v8, vcc_lo
	v_cmp_gt_i32_e32 vcc_lo, 32, v10
	v_lshlrev_b32_e32 v8, 2, v8
	v_cndmask_b32_e32 v10, v7, v10, vcc_lo
	v_cmp_gt_i32_e32 vcc_lo, 32, v12
	ds_bpermute_b32 v9, v8, v13
	ds_bpermute_b32 v8, v8, v11
	v_lshlrev_b32_e32 v10, 2, v10
	v_cndmask_b32_e32 v7, v7, v12, vcc_lo
	v_cmp_eq_u32_e32 vcc_lo, 7, v0
	v_lshlrev_b32_e32 v12, 2, v7
	s_waitcnt lgkmcnt(1)
	v_add_f32_e32 v9, v13, v9
	s_waitcnt lgkmcnt(0)
	v_add_f32_e32 v8, v11, v8
	ds_bpermute_b32 v11, v10, v9
	ds_bpermute_b32 v10, v10, v8
	s_waitcnt lgkmcnt(1)
	v_add_f32_e32 v7, v9, v11
	s_waitcnt lgkmcnt(0)
	v_add_f32_e32 v9, v8, v10
	ds_bpermute_b32 v8, v12, v7
	ds_bpermute_b32 v10, v12, v9
	s_and_b32 exec_lo, exec_lo, vcc_lo
	s_cbranch_execz .LBB223_13
; %bb.9:
	s_waitcnt lgkmcnt(0)
	v_add_f32_e32 v0, v9, v10
	v_add_f32_e32 v9, v7, v8
	v_cmp_eq_f32_e32 vcc_lo, 0, v1
	v_cmp_eq_f32_e64 s0, 0, v2
	v_lshlrev_b64 v[5:6], 3, v[5:6]
	v_mul_f32_e64 v7, v0, -v4
	v_mul_f32_e32 v8, v3, v0
	s_and_b32 s0, vcc_lo, s0
	v_fmac_f32_e32 v7, v3, v9
	v_fmac_f32_e32 v8, v4, v9
	s_and_saveexec_b32 s1, s0
	s_xor_b32 s0, exec_lo, s1
	s_cbranch_execz .LBB223_11
; %bb.10:
	v_add_co_u32 v0, vcc_lo, s6, v5
	v_add_co_ci_u32_e64 v1, null, s7, v6, vcc_lo
                                        ; implicit-def: $vgpr5_vgpr6
	global_store_dwordx2 v[0:1], v[7:8], off
                                        ; implicit-def: $vgpr1_vgpr2
                                        ; implicit-def: $vgpr7
.LBB223_11:
	s_andn2_saveexec_b32 s0, s0
	s_cbranch_execz .LBB223_13
; %bb.12:
	v_add_co_u32 v3, vcc_lo, s6, v5
	v_add_co_ci_u32_e64 v4, null, s7, v6, vcc_lo
	global_load_dwordx2 v[5:6], v[3:4], off
	s_waitcnt vmcnt(0)
	v_fmac_f32_e32 v7, v1, v5
	v_fmac_f32_e32 v8, v2, v5
	v_fma_f32 v7, -v2, v6, v7
	v_fmac_f32_e32 v8, v1, v6
	global_store_dwordx2 v[3:4], v[7:8], off
.LBB223_13:
	s_endpgm
	.section	.rodata,"a",@progbits
	.p2align	6, 0x0
	.amdhsa_kernel _ZN9rocsparseL19gebsrmvn_1xn_kernelILj128ELj16ELj8E21rocsparse_complex_numIfEEEvi20rocsparse_direction_NS_24const_host_device_scalarIT2_EEPKiS8_PKS5_SA_S6_PS5_21rocsparse_index_base_b
		.amdhsa_group_segment_fixed_size 0
		.amdhsa_private_segment_fixed_size 0
		.amdhsa_kernarg_size 72
		.amdhsa_user_sgpr_count 6
		.amdhsa_user_sgpr_private_segment_buffer 1
		.amdhsa_user_sgpr_dispatch_ptr 0
		.amdhsa_user_sgpr_queue_ptr 0
		.amdhsa_user_sgpr_kernarg_segment_ptr 1
		.amdhsa_user_sgpr_dispatch_id 0
		.amdhsa_user_sgpr_flat_scratch_init 0
		.amdhsa_user_sgpr_private_segment_size 0
		.amdhsa_wavefront_size32 1
		.amdhsa_uses_dynamic_stack 0
		.amdhsa_system_sgpr_private_segment_wavefront_offset 0
		.amdhsa_system_sgpr_workgroup_id_x 1
		.amdhsa_system_sgpr_workgroup_id_y 0
		.amdhsa_system_sgpr_workgroup_id_z 0
		.amdhsa_system_sgpr_workgroup_info 0
		.amdhsa_system_vgpr_workitem_id 0
		.amdhsa_next_free_vgpr 66
		.amdhsa_next_free_sgpr 13
		.amdhsa_reserve_vcc 1
		.amdhsa_reserve_flat_scratch 0
		.amdhsa_float_round_mode_32 0
		.amdhsa_float_round_mode_16_64 0
		.amdhsa_float_denorm_mode_32 3
		.amdhsa_float_denorm_mode_16_64 3
		.amdhsa_dx10_clamp 1
		.amdhsa_ieee_mode 1
		.amdhsa_fp16_overflow 0
		.amdhsa_workgroup_processor_mode 1
		.amdhsa_memory_ordered 1
		.amdhsa_forward_progress 1
		.amdhsa_shared_vgpr_count 0
		.amdhsa_exception_fp_ieee_invalid_op 0
		.amdhsa_exception_fp_denorm_src 0
		.amdhsa_exception_fp_ieee_div_zero 0
		.amdhsa_exception_fp_ieee_overflow 0
		.amdhsa_exception_fp_ieee_underflow 0
		.amdhsa_exception_fp_ieee_inexact 0
		.amdhsa_exception_int_div_zero 0
	.end_amdhsa_kernel
	.section	.text._ZN9rocsparseL19gebsrmvn_1xn_kernelILj128ELj16ELj8E21rocsparse_complex_numIfEEEvi20rocsparse_direction_NS_24const_host_device_scalarIT2_EEPKiS8_PKS5_SA_S6_PS5_21rocsparse_index_base_b,"axG",@progbits,_ZN9rocsparseL19gebsrmvn_1xn_kernelILj128ELj16ELj8E21rocsparse_complex_numIfEEEvi20rocsparse_direction_NS_24const_host_device_scalarIT2_EEPKiS8_PKS5_SA_S6_PS5_21rocsparse_index_base_b,comdat
.Lfunc_end223:
	.size	_ZN9rocsparseL19gebsrmvn_1xn_kernelILj128ELj16ELj8E21rocsparse_complex_numIfEEEvi20rocsparse_direction_NS_24const_host_device_scalarIT2_EEPKiS8_PKS5_SA_S6_PS5_21rocsparse_index_base_b, .Lfunc_end223-_ZN9rocsparseL19gebsrmvn_1xn_kernelILj128ELj16ELj8E21rocsparse_complex_numIfEEEvi20rocsparse_direction_NS_24const_host_device_scalarIT2_EEPKiS8_PKS5_SA_S6_PS5_21rocsparse_index_base_b
                                        ; -- End function
	.set _ZN9rocsparseL19gebsrmvn_1xn_kernelILj128ELj16ELj8E21rocsparse_complex_numIfEEEvi20rocsparse_direction_NS_24const_host_device_scalarIT2_EEPKiS8_PKS5_SA_S6_PS5_21rocsparse_index_base_b.num_vgpr, 66
	.set _ZN9rocsparseL19gebsrmvn_1xn_kernelILj128ELj16ELj8E21rocsparse_complex_numIfEEEvi20rocsparse_direction_NS_24const_host_device_scalarIT2_EEPKiS8_PKS5_SA_S6_PS5_21rocsparse_index_base_b.num_agpr, 0
	.set _ZN9rocsparseL19gebsrmvn_1xn_kernelILj128ELj16ELj8E21rocsparse_complex_numIfEEEvi20rocsparse_direction_NS_24const_host_device_scalarIT2_EEPKiS8_PKS5_SA_S6_PS5_21rocsparse_index_base_b.numbered_sgpr, 13
	.set _ZN9rocsparseL19gebsrmvn_1xn_kernelILj128ELj16ELj8E21rocsparse_complex_numIfEEEvi20rocsparse_direction_NS_24const_host_device_scalarIT2_EEPKiS8_PKS5_SA_S6_PS5_21rocsparse_index_base_b.num_named_barrier, 0
	.set _ZN9rocsparseL19gebsrmvn_1xn_kernelILj128ELj16ELj8E21rocsparse_complex_numIfEEEvi20rocsparse_direction_NS_24const_host_device_scalarIT2_EEPKiS8_PKS5_SA_S6_PS5_21rocsparse_index_base_b.private_seg_size, 0
	.set _ZN9rocsparseL19gebsrmvn_1xn_kernelILj128ELj16ELj8E21rocsparse_complex_numIfEEEvi20rocsparse_direction_NS_24const_host_device_scalarIT2_EEPKiS8_PKS5_SA_S6_PS5_21rocsparse_index_base_b.uses_vcc, 1
	.set _ZN9rocsparseL19gebsrmvn_1xn_kernelILj128ELj16ELj8E21rocsparse_complex_numIfEEEvi20rocsparse_direction_NS_24const_host_device_scalarIT2_EEPKiS8_PKS5_SA_S6_PS5_21rocsparse_index_base_b.uses_flat_scratch, 0
	.set _ZN9rocsparseL19gebsrmvn_1xn_kernelILj128ELj16ELj8E21rocsparse_complex_numIfEEEvi20rocsparse_direction_NS_24const_host_device_scalarIT2_EEPKiS8_PKS5_SA_S6_PS5_21rocsparse_index_base_b.has_dyn_sized_stack, 0
	.set _ZN9rocsparseL19gebsrmvn_1xn_kernelILj128ELj16ELj8E21rocsparse_complex_numIfEEEvi20rocsparse_direction_NS_24const_host_device_scalarIT2_EEPKiS8_PKS5_SA_S6_PS5_21rocsparse_index_base_b.has_recursion, 0
	.set _ZN9rocsparseL19gebsrmvn_1xn_kernelILj128ELj16ELj8E21rocsparse_complex_numIfEEEvi20rocsparse_direction_NS_24const_host_device_scalarIT2_EEPKiS8_PKS5_SA_S6_PS5_21rocsparse_index_base_b.has_indirect_call, 0
	.section	.AMDGPU.csdata,"",@progbits
; Kernel info:
; codeLenInByte = 1284
; TotalNumSgprs: 15
; NumVgprs: 66
; ScratchSize: 0
; MemoryBound: 0
; FloatMode: 240
; IeeeMode: 1
; LDSByteSize: 0 bytes/workgroup (compile time only)
; SGPRBlocks: 0
; VGPRBlocks: 8
; NumSGPRsForWavesPerEU: 15
; NumVGPRsForWavesPerEU: 66
; Occupancy: 12
; WaveLimiterHint : 1
; COMPUTE_PGM_RSRC2:SCRATCH_EN: 0
; COMPUTE_PGM_RSRC2:USER_SGPR: 6
; COMPUTE_PGM_RSRC2:TRAP_HANDLER: 0
; COMPUTE_PGM_RSRC2:TGID_X_EN: 1
; COMPUTE_PGM_RSRC2:TGID_Y_EN: 0
; COMPUTE_PGM_RSRC2:TGID_Z_EN: 0
; COMPUTE_PGM_RSRC2:TIDIG_COMP_CNT: 0
	.section	.text._ZN9rocsparseL19gebsrmvn_1xn_kernelILj128ELj16ELj16E21rocsparse_complex_numIfEEEvi20rocsparse_direction_NS_24const_host_device_scalarIT2_EEPKiS8_PKS5_SA_S6_PS5_21rocsparse_index_base_b,"axG",@progbits,_ZN9rocsparseL19gebsrmvn_1xn_kernelILj128ELj16ELj16E21rocsparse_complex_numIfEEEvi20rocsparse_direction_NS_24const_host_device_scalarIT2_EEPKiS8_PKS5_SA_S6_PS5_21rocsparse_index_base_b,comdat
	.globl	_ZN9rocsparseL19gebsrmvn_1xn_kernelILj128ELj16ELj16E21rocsparse_complex_numIfEEEvi20rocsparse_direction_NS_24const_host_device_scalarIT2_EEPKiS8_PKS5_SA_S6_PS5_21rocsparse_index_base_b ; -- Begin function _ZN9rocsparseL19gebsrmvn_1xn_kernelILj128ELj16ELj16E21rocsparse_complex_numIfEEEvi20rocsparse_direction_NS_24const_host_device_scalarIT2_EEPKiS8_PKS5_SA_S6_PS5_21rocsparse_index_base_b
	.p2align	8
	.type	_ZN9rocsparseL19gebsrmvn_1xn_kernelILj128ELj16ELj16E21rocsparse_complex_numIfEEEvi20rocsparse_direction_NS_24const_host_device_scalarIT2_EEPKiS8_PKS5_SA_S6_PS5_21rocsparse_index_base_b,@function
_ZN9rocsparseL19gebsrmvn_1xn_kernelILj128ELj16ELj16E21rocsparse_complex_numIfEEEvi20rocsparse_direction_NS_24const_host_device_scalarIT2_EEPKiS8_PKS5_SA_S6_PS5_21rocsparse_index_base_b: ; @_ZN9rocsparseL19gebsrmvn_1xn_kernelILj128ELj16ELj16E21rocsparse_complex_numIfEEEvi20rocsparse_direction_NS_24const_host_device_scalarIT2_EEPKiS8_PKS5_SA_S6_PS5_21rocsparse_index_base_b
; %bb.0:
	s_clause 0x2
	s_load_dwordx2 s[8:9], s[4:5], 0x40
	s_load_dwordx2 s[0:1], s[4:5], 0x8
	;; [unrolled: 1-line block ×3, first 2 shown]
	s_add_u32 s7, s4, 8
	s_addc_u32 s10, s5, 0
	s_add_u32 s11, s4, 48
	s_addc_u32 s12, s5, 0
	s_waitcnt lgkmcnt(0)
	s_bitcmp1_b32 s9, 0
	s_cselect_b32 s0, s7, s0
	s_cselect_b32 s1, s10, s1
	v_mov_b32_e32 v1, s0
	v_mov_b32_e32 v2, s1
	s_cselect_b32 s0, s11, s2
	s_cselect_b32 s1, s12, s3
	flat_load_dwordx2 v[3:4], v[1:2]
	v_mov_b32_e32 v1, s0
	v_mov_b32_e32 v2, s1
	flat_load_dwordx2 v[1:2], v[1:2]
	s_waitcnt vmcnt(1) lgkmcnt(1)
	v_cmp_eq_f32_e32 vcc_lo, 0, v3
	v_cmp_eq_f32_e64 s0, 0, v4
	s_and_b32 s2, vcc_lo, s0
	s_mov_b32 s0, -1
	s_and_saveexec_b32 s1, s2
	s_cbranch_execz .LBB224_2
; %bb.1:
	s_waitcnt vmcnt(0) lgkmcnt(0)
	v_cmp_neq_f32_e32 vcc_lo, 1.0, v1
	v_cmp_neq_f32_e64 s0, 0, v2
	s_or_b32 s0, vcc_lo, s0
	s_orn2_b32 s0, s0, exec_lo
.LBB224_2:
	s_or_b32 exec_lo, exec_lo, s1
	s_and_saveexec_b32 s1, s0
	s_cbranch_execz .LBB224_13
; %bb.3:
	s_load_dword s0, s[4:5], 0x0
	v_lshrrev_b32_e32 v5, 4, v0
	v_lshl_or_b32 v5, s6, 3, v5
	s_waitcnt lgkmcnt(0)
	v_cmp_gt_i32_e32 vcc_lo, s0, v5
	s_and_b32 exec_lo, exec_lo, vcc_lo
	s_cbranch_execz .LBB224_13
; %bb.4:
	s_clause 0x1
	s_load_dwordx2 s[0:1], s[4:5], 0x10
	s_load_dwordx2 s[6:7], s[4:5], 0x38
	v_ashrrev_i32_e32 v6, 31, v5
	v_and_b32_e32 v0, 15, v0
	v_mov_b32_e32 v11, 0
	v_mov_b32_e32 v13, 0
	s_mov_b32 s9, exec_lo
	v_lshlrev_b64 v[7:8], 2, v[5:6]
	v_subrev_nc_u32_e32 v9, s8, v0
	s_waitcnt lgkmcnt(0)
	v_add_co_u32 v7, vcc_lo, s0, v7
	v_add_co_ci_u32_e64 v8, null, s1, v8, vcc_lo
	global_load_dwordx2 v[7:8], v[7:8], off
	s_waitcnt vmcnt(0)
	v_subrev_nc_u32_e32 v12, s8, v8
	v_add_nc_u32_e32 v7, v7, v9
	v_cmpx_lt_i32_e64 v7, v12
	s_cbranch_execz .LBB224_8
; %bb.5:
	s_clause 0x1
	s_load_dwordx4 s[0:3], s[4:5], 0x18
	s_load_dwordx2 s[4:5], s[4:5], 0x28
	v_mov_b32_e32 v10, 0
	v_lshlrev_b32_e32 v9, 4, v7
	s_mov_b32 s10, 0
	v_mov_b32_e32 v11, v10
	v_mov_b32_e32 v13, v10
.LBB224_6:                              ; =>This Inner Loop Header: Depth=1
	v_ashrrev_i32_e32 v8, 31, v7
	v_mov_b32_e32 v23, v10
	v_lshlrev_b64 v[14:15], 2, v[7:8]
	v_add_nc_u32_e32 v7, 16, v7
	s_waitcnt lgkmcnt(0)
	v_add_co_u32 v14, vcc_lo, s0, v14
	v_add_co_ci_u32_e64 v15, null, s1, v15, vcc_lo
	global_load_dword v8, v[14:15], off
	v_lshlrev_b64 v[14:15], 3, v[9:10]
	v_add_nc_u32_e32 v9, 0x100, v9
	v_add_co_u32 v62, vcc_lo, s2, v14
	v_add_co_ci_u32_e64 v63, null, s3, v15, vcc_lo
	s_clause 0x1
	global_load_dwordx4 v[14:17], v[62:63], off offset:16
	global_load_dwordx4 v[18:21], v[62:63], off
	s_waitcnt vmcnt(2)
	v_subrev_nc_u32_e32 v8, s8, v8
	v_lshlrev_b32_e32 v22, 4, v8
	v_lshlrev_b64 v[22:23], 3, v[22:23]
	v_add_co_u32 v64, vcc_lo, s4, v22
	v_add_co_ci_u32_e64 v65, null, s5, v23, vcc_lo
	v_cmp_ge_i32_e32 vcc_lo, v7, v12
	s_clause 0x1
	global_load_dwordx4 v[22:25], v[64:65], off
	global_load_dwordx4 v[26:29], v[64:65], off offset:16
	global_load_dwordx4 v[30:33], v[62:63], off offset:32
	;; [unrolled: 1-line block ×9, first 2 shown]
	s_or_b32 s10, vcc_lo, s10
	s_waitcnt vmcnt(9)
	v_fmac_f32_e32 v13, v18, v22
	v_fmac_f32_e32 v11, v19, v22
	v_fma_f32 v8, -v19, v23, v13
	v_fmac_f32_e32 v11, v18, v23
	v_fmac_f32_e32 v8, v20, v24
	;; [unrolled: 1-line block ×3, first 2 shown]
	v_fma_f32 v8, -v21, v25, v8
	v_fmac_f32_e32 v11, v20, v25
	global_load_dwordx4 v[18:21], v[62:63], off offset:96
	global_load_dwordx4 v[22:25], v[64:65], off offset:96
	s_waitcnt vmcnt(10)
	v_fmac_f32_e32 v8, v14, v26
	v_fmac_f32_e32 v11, v15, v26
	v_fma_f32 v8, -v15, v27, v8
	v_fmac_f32_e32 v11, v14, v27
	v_fmac_f32_e32 v8, v16, v28
	;; [unrolled: 1-line block ×3, first 2 shown]
	v_fma_f32 v8, -v17, v29, v8
	v_fmac_f32_e32 v11, v16, v29
	global_load_dwordx4 v[13:16], v[62:63], off offset:112
	global_load_dwordx4 v[26:29], v[64:65], off offset:112
	s_waitcnt vmcnt(10)
	v_fmac_f32_e32 v8, v30, v34
	v_fmac_f32_e32 v11, v31, v34
	v_fma_f32 v8, -v31, v35, v8
	v_fmac_f32_e32 v11, v30, v35
	v_fmac_f32_e32 v8, v32, v36
	v_fmac_f32_e32 v11, v33, v36
	v_fma_f32 v8, -v33, v37, v8
	v_fmac_f32_e32 v11, v32, v37
	s_waitcnt vmcnt(8)
	v_fmac_f32_e32 v8, v38, v42
	v_fmac_f32_e32 v11, v39, v42
	v_fma_f32 v8, -v39, v43, v8
	v_fmac_f32_e32 v11, v38, v43
	v_fmac_f32_e32 v8, v40, v44
	v_fmac_f32_e32 v11, v41, v44
	v_fma_f32 v8, -v41, v45, v8
	v_fmac_f32_e32 v11, v40, v45
	;; [unrolled: 9-line block ×6, first 2 shown]
	s_andn2_b32 exec_lo, exec_lo, s10
	s_cbranch_execnz .LBB224_6
; %bb.7:
	s_or_b32 exec_lo, exec_lo, s10
.LBB224_8:
	s_or_b32 exec_lo, exec_lo, s9
	v_mbcnt_lo_u32_b32 v7, -1, 0
	v_xor_b32_e32 v8, 8, v7
	v_xor_b32_e32 v10, 4, v7
	;; [unrolled: 1-line block ×3, first 2 shown]
	v_cmp_gt_i32_e32 vcc_lo, 32, v8
	v_cndmask_b32_e32 v8, v7, v8, vcc_lo
	v_cmp_gt_i32_e32 vcc_lo, 32, v10
	v_lshlrev_b32_e32 v8, 2, v8
	v_cndmask_b32_e32 v10, v7, v10, vcc_lo
	v_cmp_gt_i32_e32 vcc_lo, 32, v12
	ds_bpermute_b32 v9, v8, v13
	ds_bpermute_b32 v8, v8, v11
	v_lshlrev_b32_e32 v10, 2, v10
	v_cndmask_b32_e32 v12, v7, v12, vcc_lo
	v_lshlrev_b32_e32 v12, 2, v12
	s_waitcnt lgkmcnt(1)
	v_add_f32_e32 v9, v13, v9
	s_waitcnt lgkmcnt(0)
	v_add_f32_e32 v8, v11, v8
	ds_bpermute_b32 v11, v10, v9
	ds_bpermute_b32 v10, v10, v8
	s_waitcnt lgkmcnt(1)
	v_add_f32_e32 v9, v9, v11
	s_waitcnt lgkmcnt(0)
	v_add_f32_e32 v8, v8, v10
	ds_bpermute_b32 v10, v12, v9
	ds_bpermute_b32 v11, v12, v8
	v_xor_b32_e32 v12, 1, v7
	v_cmp_gt_i32_e32 vcc_lo, 32, v12
	v_cndmask_b32_e32 v7, v7, v12, vcc_lo
	v_cmp_eq_u32_e32 vcc_lo, 15, v0
	v_lshlrev_b32_e32 v12, 2, v7
	s_waitcnt lgkmcnt(1)
	v_add_f32_e32 v7, v9, v10
	s_waitcnt lgkmcnt(0)
	v_add_f32_e32 v9, v8, v11
	ds_bpermute_b32 v8, v12, v7
	ds_bpermute_b32 v10, v12, v9
	s_and_b32 exec_lo, exec_lo, vcc_lo
	s_cbranch_execz .LBB224_13
; %bb.9:
	s_waitcnt lgkmcnt(0)
	v_add_f32_e32 v0, v9, v10
	v_add_f32_e32 v9, v7, v8
	v_cmp_eq_f32_e32 vcc_lo, 0, v1
	v_cmp_eq_f32_e64 s0, 0, v2
	v_lshlrev_b64 v[5:6], 3, v[5:6]
	v_mul_f32_e64 v7, v0, -v4
	v_mul_f32_e32 v8, v3, v0
	s_and_b32 s0, vcc_lo, s0
	v_fmac_f32_e32 v7, v3, v9
	v_fmac_f32_e32 v8, v4, v9
	s_and_saveexec_b32 s1, s0
	s_xor_b32 s0, exec_lo, s1
	s_cbranch_execz .LBB224_11
; %bb.10:
	v_add_co_u32 v0, vcc_lo, s6, v5
	v_add_co_ci_u32_e64 v1, null, s7, v6, vcc_lo
                                        ; implicit-def: $vgpr5_vgpr6
	global_store_dwordx2 v[0:1], v[7:8], off
                                        ; implicit-def: $vgpr1_vgpr2
                                        ; implicit-def: $vgpr7
.LBB224_11:
	s_andn2_saveexec_b32 s0, s0
	s_cbranch_execz .LBB224_13
; %bb.12:
	v_add_co_u32 v3, vcc_lo, s6, v5
	v_add_co_ci_u32_e64 v4, null, s7, v6, vcc_lo
	global_load_dwordx2 v[5:6], v[3:4], off
	s_waitcnt vmcnt(0)
	v_fmac_f32_e32 v7, v1, v5
	v_fmac_f32_e32 v8, v2, v5
	v_fma_f32 v7, -v2, v6, v7
	v_fmac_f32_e32 v8, v1, v6
	global_store_dwordx2 v[3:4], v[7:8], off
.LBB224_13:
	s_endpgm
	.section	.rodata,"a",@progbits
	.p2align	6, 0x0
	.amdhsa_kernel _ZN9rocsparseL19gebsrmvn_1xn_kernelILj128ELj16ELj16E21rocsparse_complex_numIfEEEvi20rocsparse_direction_NS_24const_host_device_scalarIT2_EEPKiS8_PKS5_SA_S6_PS5_21rocsparse_index_base_b
		.amdhsa_group_segment_fixed_size 0
		.amdhsa_private_segment_fixed_size 0
		.amdhsa_kernarg_size 72
		.amdhsa_user_sgpr_count 6
		.amdhsa_user_sgpr_private_segment_buffer 1
		.amdhsa_user_sgpr_dispatch_ptr 0
		.amdhsa_user_sgpr_queue_ptr 0
		.amdhsa_user_sgpr_kernarg_segment_ptr 1
		.amdhsa_user_sgpr_dispatch_id 0
		.amdhsa_user_sgpr_flat_scratch_init 0
		.amdhsa_user_sgpr_private_segment_size 0
		.amdhsa_wavefront_size32 1
		.amdhsa_uses_dynamic_stack 0
		.amdhsa_system_sgpr_private_segment_wavefront_offset 0
		.amdhsa_system_sgpr_workgroup_id_x 1
		.amdhsa_system_sgpr_workgroup_id_y 0
		.amdhsa_system_sgpr_workgroup_id_z 0
		.amdhsa_system_sgpr_workgroup_info 0
		.amdhsa_system_vgpr_workitem_id 0
		.amdhsa_next_free_vgpr 66
		.amdhsa_next_free_sgpr 13
		.amdhsa_reserve_vcc 1
		.amdhsa_reserve_flat_scratch 0
		.amdhsa_float_round_mode_32 0
		.amdhsa_float_round_mode_16_64 0
		.amdhsa_float_denorm_mode_32 3
		.amdhsa_float_denorm_mode_16_64 3
		.amdhsa_dx10_clamp 1
		.amdhsa_ieee_mode 1
		.amdhsa_fp16_overflow 0
		.amdhsa_workgroup_processor_mode 1
		.amdhsa_memory_ordered 1
		.amdhsa_forward_progress 1
		.amdhsa_shared_vgpr_count 0
		.amdhsa_exception_fp_ieee_invalid_op 0
		.amdhsa_exception_fp_denorm_src 0
		.amdhsa_exception_fp_ieee_div_zero 0
		.amdhsa_exception_fp_ieee_overflow 0
		.amdhsa_exception_fp_ieee_underflow 0
		.amdhsa_exception_fp_ieee_inexact 0
		.amdhsa_exception_int_div_zero 0
	.end_amdhsa_kernel
	.section	.text._ZN9rocsparseL19gebsrmvn_1xn_kernelILj128ELj16ELj16E21rocsparse_complex_numIfEEEvi20rocsparse_direction_NS_24const_host_device_scalarIT2_EEPKiS8_PKS5_SA_S6_PS5_21rocsparse_index_base_b,"axG",@progbits,_ZN9rocsparseL19gebsrmvn_1xn_kernelILj128ELj16ELj16E21rocsparse_complex_numIfEEEvi20rocsparse_direction_NS_24const_host_device_scalarIT2_EEPKiS8_PKS5_SA_S6_PS5_21rocsparse_index_base_b,comdat
.Lfunc_end224:
	.size	_ZN9rocsparseL19gebsrmvn_1xn_kernelILj128ELj16ELj16E21rocsparse_complex_numIfEEEvi20rocsparse_direction_NS_24const_host_device_scalarIT2_EEPKiS8_PKS5_SA_S6_PS5_21rocsparse_index_base_b, .Lfunc_end224-_ZN9rocsparseL19gebsrmvn_1xn_kernelILj128ELj16ELj16E21rocsparse_complex_numIfEEEvi20rocsparse_direction_NS_24const_host_device_scalarIT2_EEPKiS8_PKS5_SA_S6_PS5_21rocsparse_index_base_b
                                        ; -- End function
	.set _ZN9rocsparseL19gebsrmvn_1xn_kernelILj128ELj16ELj16E21rocsparse_complex_numIfEEEvi20rocsparse_direction_NS_24const_host_device_scalarIT2_EEPKiS8_PKS5_SA_S6_PS5_21rocsparse_index_base_b.num_vgpr, 66
	.set _ZN9rocsparseL19gebsrmvn_1xn_kernelILj128ELj16ELj16E21rocsparse_complex_numIfEEEvi20rocsparse_direction_NS_24const_host_device_scalarIT2_EEPKiS8_PKS5_SA_S6_PS5_21rocsparse_index_base_b.num_agpr, 0
	.set _ZN9rocsparseL19gebsrmvn_1xn_kernelILj128ELj16ELj16E21rocsparse_complex_numIfEEEvi20rocsparse_direction_NS_24const_host_device_scalarIT2_EEPKiS8_PKS5_SA_S6_PS5_21rocsparse_index_base_b.numbered_sgpr, 13
	.set _ZN9rocsparseL19gebsrmvn_1xn_kernelILj128ELj16ELj16E21rocsparse_complex_numIfEEEvi20rocsparse_direction_NS_24const_host_device_scalarIT2_EEPKiS8_PKS5_SA_S6_PS5_21rocsparse_index_base_b.num_named_barrier, 0
	.set _ZN9rocsparseL19gebsrmvn_1xn_kernelILj128ELj16ELj16E21rocsparse_complex_numIfEEEvi20rocsparse_direction_NS_24const_host_device_scalarIT2_EEPKiS8_PKS5_SA_S6_PS5_21rocsparse_index_base_b.private_seg_size, 0
	.set _ZN9rocsparseL19gebsrmvn_1xn_kernelILj128ELj16ELj16E21rocsparse_complex_numIfEEEvi20rocsparse_direction_NS_24const_host_device_scalarIT2_EEPKiS8_PKS5_SA_S6_PS5_21rocsparse_index_base_b.uses_vcc, 1
	.set _ZN9rocsparseL19gebsrmvn_1xn_kernelILj128ELj16ELj16E21rocsparse_complex_numIfEEEvi20rocsparse_direction_NS_24const_host_device_scalarIT2_EEPKiS8_PKS5_SA_S6_PS5_21rocsparse_index_base_b.uses_flat_scratch, 0
	.set _ZN9rocsparseL19gebsrmvn_1xn_kernelILj128ELj16ELj16E21rocsparse_complex_numIfEEEvi20rocsparse_direction_NS_24const_host_device_scalarIT2_EEPKiS8_PKS5_SA_S6_PS5_21rocsparse_index_base_b.has_dyn_sized_stack, 0
	.set _ZN9rocsparseL19gebsrmvn_1xn_kernelILj128ELj16ELj16E21rocsparse_complex_numIfEEEvi20rocsparse_direction_NS_24const_host_device_scalarIT2_EEPKiS8_PKS5_SA_S6_PS5_21rocsparse_index_base_b.has_recursion, 0
	.set _ZN9rocsparseL19gebsrmvn_1xn_kernelILj128ELj16ELj16E21rocsparse_complex_numIfEEEvi20rocsparse_direction_NS_24const_host_device_scalarIT2_EEPKiS8_PKS5_SA_S6_PS5_21rocsparse_index_base_b.has_indirect_call, 0
	.section	.AMDGPU.csdata,"",@progbits
; Kernel info:
; codeLenInByte = 1332
; TotalNumSgprs: 15
; NumVgprs: 66
; ScratchSize: 0
; MemoryBound: 0
; FloatMode: 240
; IeeeMode: 1
; LDSByteSize: 0 bytes/workgroup (compile time only)
; SGPRBlocks: 0
; VGPRBlocks: 8
; NumSGPRsForWavesPerEU: 15
; NumVGPRsForWavesPerEU: 66
; Occupancy: 12
; WaveLimiterHint : 1
; COMPUTE_PGM_RSRC2:SCRATCH_EN: 0
; COMPUTE_PGM_RSRC2:USER_SGPR: 6
; COMPUTE_PGM_RSRC2:TRAP_HANDLER: 0
; COMPUTE_PGM_RSRC2:TGID_X_EN: 1
; COMPUTE_PGM_RSRC2:TGID_Y_EN: 0
; COMPUTE_PGM_RSRC2:TGID_Z_EN: 0
; COMPUTE_PGM_RSRC2:TIDIG_COMP_CNT: 0
	.section	.text._ZN9rocsparseL19gebsrmvn_1xn_kernelILj128ELj16ELj32E21rocsparse_complex_numIfEEEvi20rocsparse_direction_NS_24const_host_device_scalarIT2_EEPKiS8_PKS5_SA_S6_PS5_21rocsparse_index_base_b,"axG",@progbits,_ZN9rocsparseL19gebsrmvn_1xn_kernelILj128ELj16ELj32E21rocsparse_complex_numIfEEEvi20rocsparse_direction_NS_24const_host_device_scalarIT2_EEPKiS8_PKS5_SA_S6_PS5_21rocsparse_index_base_b,comdat
	.globl	_ZN9rocsparseL19gebsrmvn_1xn_kernelILj128ELj16ELj32E21rocsparse_complex_numIfEEEvi20rocsparse_direction_NS_24const_host_device_scalarIT2_EEPKiS8_PKS5_SA_S6_PS5_21rocsparse_index_base_b ; -- Begin function _ZN9rocsparseL19gebsrmvn_1xn_kernelILj128ELj16ELj32E21rocsparse_complex_numIfEEEvi20rocsparse_direction_NS_24const_host_device_scalarIT2_EEPKiS8_PKS5_SA_S6_PS5_21rocsparse_index_base_b
	.p2align	8
	.type	_ZN9rocsparseL19gebsrmvn_1xn_kernelILj128ELj16ELj32E21rocsparse_complex_numIfEEEvi20rocsparse_direction_NS_24const_host_device_scalarIT2_EEPKiS8_PKS5_SA_S6_PS5_21rocsparse_index_base_b,@function
_ZN9rocsparseL19gebsrmvn_1xn_kernelILj128ELj16ELj32E21rocsparse_complex_numIfEEEvi20rocsparse_direction_NS_24const_host_device_scalarIT2_EEPKiS8_PKS5_SA_S6_PS5_21rocsparse_index_base_b: ; @_ZN9rocsparseL19gebsrmvn_1xn_kernelILj128ELj16ELj32E21rocsparse_complex_numIfEEEvi20rocsparse_direction_NS_24const_host_device_scalarIT2_EEPKiS8_PKS5_SA_S6_PS5_21rocsparse_index_base_b
; %bb.0:
	s_clause 0x2
	s_load_dwordx2 s[8:9], s[4:5], 0x40
	s_load_dwordx2 s[0:1], s[4:5], 0x8
	;; [unrolled: 1-line block ×3, first 2 shown]
	s_add_u32 s7, s4, 8
	s_addc_u32 s10, s5, 0
	s_add_u32 s11, s4, 48
	s_addc_u32 s12, s5, 0
	s_waitcnt lgkmcnt(0)
	s_bitcmp1_b32 s9, 0
	s_cselect_b32 s0, s7, s0
	s_cselect_b32 s1, s10, s1
	v_mov_b32_e32 v1, s0
	v_mov_b32_e32 v2, s1
	s_cselect_b32 s0, s11, s2
	s_cselect_b32 s1, s12, s3
	flat_load_dwordx2 v[3:4], v[1:2]
	v_mov_b32_e32 v1, s0
	v_mov_b32_e32 v2, s1
	flat_load_dwordx2 v[1:2], v[1:2]
	s_waitcnt vmcnt(1) lgkmcnt(1)
	v_cmp_eq_f32_e32 vcc_lo, 0, v3
	v_cmp_eq_f32_e64 s0, 0, v4
	s_and_b32 s2, vcc_lo, s0
	s_mov_b32 s0, -1
	s_and_saveexec_b32 s1, s2
	s_cbranch_execz .LBB225_2
; %bb.1:
	s_waitcnt vmcnt(0) lgkmcnt(0)
	v_cmp_neq_f32_e32 vcc_lo, 1.0, v1
	v_cmp_neq_f32_e64 s0, 0, v2
	s_or_b32 s0, vcc_lo, s0
	s_orn2_b32 s0, s0, exec_lo
.LBB225_2:
	s_or_b32 exec_lo, exec_lo, s1
	s_and_saveexec_b32 s1, s0
	s_cbranch_execz .LBB225_13
; %bb.3:
	s_load_dword s0, s[4:5], 0x0
	v_lshrrev_b32_e32 v5, 5, v0
	v_lshl_or_b32 v5, s6, 2, v5
	s_waitcnt lgkmcnt(0)
	v_cmp_gt_i32_e32 vcc_lo, s0, v5
	s_and_b32 exec_lo, exec_lo, vcc_lo
	s_cbranch_execz .LBB225_13
; %bb.4:
	s_clause 0x1
	s_load_dwordx2 s[0:1], s[4:5], 0x10
	s_load_dwordx2 s[6:7], s[4:5], 0x38
	v_ashrrev_i32_e32 v6, 31, v5
	v_and_b32_e32 v0, 31, v0
	v_mov_b32_e32 v11, 0
	v_mov_b32_e32 v13, 0
	s_mov_b32 s9, exec_lo
	v_lshlrev_b64 v[7:8], 2, v[5:6]
	v_subrev_nc_u32_e32 v9, s8, v0
	s_waitcnt lgkmcnt(0)
	v_add_co_u32 v7, vcc_lo, s0, v7
	v_add_co_ci_u32_e64 v8, null, s1, v8, vcc_lo
	global_load_dwordx2 v[7:8], v[7:8], off
	s_waitcnt vmcnt(0)
	v_subrev_nc_u32_e32 v12, s8, v8
	v_add_nc_u32_e32 v7, v7, v9
	v_cmpx_lt_i32_e64 v7, v12
	s_cbranch_execz .LBB225_8
; %bb.5:
	s_clause 0x1
	s_load_dwordx4 s[0:3], s[4:5], 0x18
	s_load_dwordx2 s[4:5], s[4:5], 0x28
	v_mov_b32_e32 v10, 0
	v_lshlrev_b32_e32 v9, 4, v7
	s_mov_b32 s10, 0
	v_mov_b32_e32 v11, v10
	v_mov_b32_e32 v13, v10
.LBB225_6:                              ; =>This Inner Loop Header: Depth=1
	v_ashrrev_i32_e32 v8, 31, v7
	v_mov_b32_e32 v23, v10
	v_lshlrev_b64 v[14:15], 2, v[7:8]
	v_add_nc_u32_e32 v7, 32, v7
	s_waitcnt lgkmcnt(0)
	v_add_co_u32 v14, vcc_lo, s0, v14
	v_add_co_ci_u32_e64 v15, null, s1, v15, vcc_lo
	global_load_dword v8, v[14:15], off
	v_lshlrev_b64 v[14:15], 3, v[9:10]
	v_add_nc_u32_e32 v9, 0x200, v9
	v_add_co_u32 v62, vcc_lo, s2, v14
	v_add_co_ci_u32_e64 v63, null, s3, v15, vcc_lo
	s_clause 0x1
	global_load_dwordx4 v[14:17], v[62:63], off offset:16
	global_load_dwordx4 v[18:21], v[62:63], off
	s_waitcnt vmcnt(2)
	v_subrev_nc_u32_e32 v8, s8, v8
	v_lshlrev_b32_e32 v22, 4, v8
	v_lshlrev_b64 v[22:23], 3, v[22:23]
	v_add_co_u32 v64, vcc_lo, s4, v22
	v_add_co_ci_u32_e64 v65, null, s5, v23, vcc_lo
	v_cmp_ge_i32_e32 vcc_lo, v7, v12
	s_clause 0x1
	global_load_dwordx4 v[22:25], v[64:65], off
	global_load_dwordx4 v[26:29], v[64:65], off offset:16
	global_load_dwordx4 v[30:33], v[62:63], off offset:32
	global_load_dwordx4 v[34:37], v[64:65], off offset:32
	global_load_dwordx4 v[38:41], v[62:63], off offset:48
	global_load_dwordx4 v[42:45], v[64:65], off offset:48
	global_load_dwordx4 v[46:49], v[62:63], off offset:64
	global_load_dwordx4 v[50:53], v[64:65], off offset:64
	global_load_dwordx4 v[54:57], v[62:63], off offset:80
	global_load_dwordx4 v[58:61], v[64:65], off offset:80
	s_or_b32 s10, vcc_lo, s10
	s_waitcnt vmcnt(9)
	v_fmac_f32_e32 v13, v18, v22
	v_fmac_f32_e32 v11, v19, v22
	v_fma_f32 v8, -v19, v23, v13
	v_fmac_f32_e32 v11, v18, v23
	v_fmac_f32_e32 v8, v20, v24
	v_fmac_f32_e32 v11, v21, v24
	v_fma_f32 v8, -v21, v25, v8
	v_fmac_f32_e32 v11, v20, v25
	global_load_dwordx4 v[18:21], v[62:63], off offset:96
	global_load_dwordx4 v[22:25], v[64:65], off offset:96
	s_waitcnt vmcnt(10)
	v_fmac_f32_e32 v8, v14, v26
	v_fmac_f32_e32 v11, v15, v26
	v_fma_f32 v8, -v15, v27, v8
	v_fmac_f32_e32 v11, v14, v27
	v_fmac_f32_e32 v8, v16, v28
	;; [unrolled: 1-line block ×3, first 2 shown]
	v_fma_f32 v8, -v17, v29, v8
	v_fmac_f32_e32 v11, v16, v29
	global_load_dwordx4 v[13:16], v[62:63], off offset:112
	global_load_dwordx4 v[26:29], v[64:65], off offset:112
	s_waitcnt vmcnt(10)
	v_fmac_f32_e32 v8, v30, v34
	v_fmac_f32_e32 v11, v31, v34
	v_fma_f32 v8, -v31, v35, v8
	v_fmac_f32_e32 v11, v30, v35
	v_fmac_f32_e32 v8, v32, v36
	v_fmac_f32_e32 v11, v33, v36
	v_fma_f32 v8, -v33, v37, v8
	v_fmac_f32_e32 v11, v32, v37
	s_waitcnt vmcnt(8)
	v_fmac_f32_e32 v8, v38, v42
	v_fmac_f32_e32 v11, v39, v42
	v_fma_f32 v8, -v39, v43, v8
	v_fmac_f32_e32 v11, v38, v43
	v_fmac_f32_e32 v8, v40, v44
	v_fmac_f32_e32 v11, v41, v44
	v_fma_f32 v8, -v41, v45, v8
	v_fmac_f32_e32 v11, v40, v45
	;; [unrolled: 9-line block ×6, first 2 shown]
	s_andn2_b32 exec_lo, exec_lo, s10
	s_cbranch_execnz .LBB225_6
; %bb.7:
	s_or_b32 exec_lo, exec_lo, s10
.LBB225_8:
	s_or_b32 exec_lo, exec_lo, s9
	v_mbcnt_lo_u32_b32 v7, -1, 0
	v_xor_b32_e32 v8, 16, v7
	v_xor_b32_e32 v10, 8, v7
	;; [unrolled: 1-line block ×3, first 2 shown]
	v_cmp_gt_i32_e32 vcc_lo, 32, v8
	v_cndmask_b32_e32 v8, v7, v8, vcc_lo
	v_cmp_gt_i32_e32 vcc_lo, 32, v10
	v_lshlrev_b32_e32 v8, 2, v8
	v_cndmask_b32_e32 v10, v7, v10, vcc_lo
	v_cmp_gt_i32_e32 vcc_lo, 32, v12
	ds_bpermute_b32 v9, v8, v13
	ds_bpermute_b32 v8, v8, v11
	v_lshlrev_b32_e32 v10, 2, v10
	v_cndmask_b32_e32 v12, v7, v12, vcc_lo
	v_lshlrev_b32_e32 v12, 2, v12
	s_waitcnt lgkmcnt(1)
	v_add_f32_e32 v9, v13, v9
	s_waitcnt lgkmcnt(0)
	v_add_f32_e32 v8, v11, v8
	ds_bpermute_b32 v11, v10, v9
	ds_bpermute_b32 v10, v10, v8
	s_waitcnt lgkmcnt(1)
	v_add_f32_e32 v9, v9, v11
	s_waitcnt lgkmcnt(0)
	v_add_f32_e32 v8, v8, v10
	ds_bpermute_b32 v10, v12, v9
	ds_bpermute_b32 v11, v12, v8
	v_xor_b32_e32 v12, 2, v7
	v_cmp_gt_i32_e32 vcc_lo, 32, v12
	v_cndmask_b32_e32 v12, v7, v12, vcc_lo
	v_lshlrev_b32_e32 v12, 2, v12
	s_waitcnt lgkmcnt(1)
	v_add_f32_e32 v9, v9, v10
	s_waitcnt lgkmcnt(0)
	v_add_f32_e32 v8, v8, v11
	ds_bpermute_b32 v10, v12, v9
	ds_bpermute_b32 v11, v12, v8
	v_xor_b32_e32 v12, 1, v7
	v_cmp_gt_i32_e32 vcc_lo, 32, v12
	v_cndmask_b32_e32 v7, v7, v12, vcc_lo
	v_cmp_eq_u32_e32 vcc_lo, 31, v0
	v_lshlrev_b32_e32 v12, 2, v7
	s_waitcnt lgkmcnt(1)
	v_add_f32_e32 v7, v9, v10
	s_waitcnt lgkmcnt(0)
	v_add_f32_e32 v9, v8, v11
	ds_bpermute_b32 v8, v12, v7
	ds_bpermute_b32 v10, v12, v9
	s_and_b32 exec_lo, exec_lo, vcc_lo
	s_cbranch_execz .LBB225_13
; %bb.9:
	s_waitcnt lgkmcnt(0)
	v_add_f32_e32 v0, v9, v10
	v_add_f32_e32 v9, v7, v8
	v_cmp_eq_f32_e32 vcc_lo, 0, v1
	v_cmp_eq_f32_e64 s0, 0, v2
	v_lshlrev_b64 v[5:6], 3, v[5:6]
	v_mul_f32_e64 v7, v0, -v4
	v_mul_f32_e32 v8, v3, v0
	s_and_b32 s0, vcc_lo, s0
	v_fmac_f32_e32 v7, v3, v9
	v_fmac_f32_e32 v8, v4, v9
	s_and_saveexec_b32 s1, s0
	s_xor_b32 s0, exec_lo, s1
	s_cbranch_execz .LBB225_11
; %bb.10:
	v_add_co_u32 v0, vcc_lo, s6, v5
	v_add_co_ci_u32_e64 v1, null, s7, v6, vcc_lo
                                        ; implicit-def: $vgpr5_vgpr6
	global_store_dwordx2 v[0:1], v[7:8], off
                                        ; implicit-def: $vgpr1_vgpr2
                                        ; implicit-def: $vgpr7
.LBB225_11:
	s_andn2_saveexec_b32 s0, s0
	s_cbranch_execz .LBB225_13
; %bb.12:
	v_add_co_u32 v3, vcc_lo, s6, v5
	v_add_co_ci_u32_e64 v4, null, s7, v6, vcc_lo
	global_load_dwordx2 v[5:6], v[3:4], off
	s_waitcnt vmcnt(0)
	v_fmac_f32_e32 v7, v1, v5
	v_fmac_f32_e32 v8, v2, v5
	v_fma_f32 v7, -v2, v6, v7
	v_fmac_f32_e32 v8, v1, v6
	global_store_dwordx2 v[3:4], v[7:8], off
.LBB225_13:
	s_endpgm
	.section	.rodata,"a",@progbits
	.p2align	6, 0x0
	.amdhsa_kernel _ZN9rocsparseL19gebsrmvn_1xn_kernelILj128ELj16ELj32E21rocsparse_complex_numIfEEEvi20rocsparse_direction_NS_24const_host_device_scalarIT2_EEPKiS8_PKS5_SA_S6_PS5_21rocsparse_index_base_b
		.amdhsa_group_segment_fixed_size 0
		.amdhsa_private_segment_fixed_size 0
		.amdhsa_kernarg_size 72
		.amdhsa_user_sgpr_count 6
		.amdhsa_user_sgpr_private_segment_buffer 1
		.amdhsa_user_sgpr_dispatch_ptr 0
		.amdhsa_user_sgpr_queue_ptr 0
		.amdhsa_user_sgpr_kernarg_segment_ptr 1
		.amdhsa_user_sgpr_dispatch_id 0
		.amdhsa_user_sgpr_flat_scratch_init 0
		.amdhsa_user_sgpr_private_segment_size 0
		.amdhsa_wavefront_size32 1
		.amdhsa_uses_dynamic_stack 0
		.amdhsa_system_sgpr_private_segment_wavefront_offset 0
		.amdhsa_system_sgpr_workgroup_id_x 1
		.amdhsa_system_sgpr_workgroup_id_y 0
		.amdhsa_system_sgpr_workgroup_id_z 0
		.amdhsa_system_sgpr_workgroup_info 0
		.amdhsa_system_vgpr_workitem_id 0
		.amdhsa_next_free_vgpr 66
		.amdhsa_next_free_sgpr 13
		.amdhsa_reserve_vcc 1
		.amdhsa_reserve_flat_scratch 0
		.amdhsa_float_round_mode_32 0
		.amdhsa_float_round_mode_16_64 0
		.amdhsa_float_denorm_mode_32 3
		.amdhsa_float_denorm_mode_16_64 3
		.amdhsa_dx10_clamp 1
		.amdhsa_ieee_mode 1
		.amdhsa_fp16_overflow 0
		.amdhsa_workgroup_processor_mode 1
		.amdhsa_memory_ordered 1
		.amdhsa_forward_progress 1
		.amdhsa_shared_vgpr_count 0
		.amdhsa_exception_fp_ieee_invalid_op 0
		.amdhsa_exception_fp_denorm_src 0
		.amdhsa_exception_fp_ieee_div_zero 0
		.amdhsa_exception_fp_ieee_overflow 0
		.amdhsa_exception_fp_ieee_underflow 0
		.amdhsa_exception_fp_ieee_inexact 0
		.amdhsa_exception_int_div_zero 0
	.end_amdhsa_kernel
	.section	.text._ZN9rocsparseL19gebsrmvn_1xn_kernelILj128ELj16ELj32E21rocsparse_complex_numIfEEEvi20rocsparse_direction_NS_24const_host_device_scalarIT2_EEPKiS8_PKS5_SA_S6_PS5_21rocsparse_index_base_b,"axG",@progbits,_ZN9rocsparseL19gebsrmvn_1xn_kernelILj128ELj16ELj32E21rocsparse_complex_numIfEEEvi20rocsparse_direction_NS_24const_host_device_scalarIT2_EEPKiS8_PKS5_SA_S6_PS5_21rocsparse_index_base_b,comdat
.Lfunc_end225:
	.size	_ZN9rocsparseL19gebsrmvn_1xn_kernelILj128ELj16ELj32E21rocsparse_complex_numIfEEEvi20rocsparse_direction_NS_24const_host_device_scalarIT2_EEPKiS8_PKS5_SA_S6_PS5_21rocsparse_index_base_b, .Lfunc_end225-_ZN9rocsparseL19gebsrmvn_1xn_kernelILj128ELj16ELj32E21rocsparse_complex_numIfEEEvi20rocsparse_direction_NS_24const_host_device_scalarIT2_EEPKiS8_PKS5_SA_S6_PS5_21rocsparse_index_base_b
                                        ; -- End function
	.set _ZN9rocsparseL19gebsrmvn_1xn_kernelILj128ELj16ELj32E21rocsparse_complex_numIfEEEvi20rocsparse_direction_NS_24const_host_device_scalarIT2_EEPKiS8_PKS5_SA_S6_PS5_21rocsparse_index_base_b.num_vgpr, 66
	.set _ZN9rocsparseL19gebsrmvn_1xn_kernelILj128ELj16ELj32E21rocsparse_complex_numIfEEEvi20rocsparse_direction_NS_24const_host_device_scalarIT2_EEPKiS8_PKS5_SA_S6_PS5_21rocsparse_index_base_b.num_agpr, 0
	.set _ZN9rocsparseL19gebsrmvn_1xn_kernelILj128ELj16ELj32E21rocsparse_complex_numIfEEEvi20rocsparse_direction_NS_24const_host_device_scalarIT2_EEPKiS8_PKS5_SA_S6_PS5_21rocsparse_index_base_b.numbered_sgpr, 13
	.set _ZN9rocsparseL19gebsrmvn_1xn_kernelILj128ELj16ELj32E21rocsparse_complex_numIfEEEvi20rocsparse_direction_NS_24const_host_device_scalarIT2_EEPKiS8_PKS5_SA_S6_PS5_21rocsparse_index_base_b.num_named_barrier, 0
	.set _ZN9rocsparseL19gebsrmvn_1xn_kernelILj128ELj16ELj32E21rocsparse_complex_numIfEEEvi20rocsparse_direction_NS_24const_host_device_scalarIT2_EEPKiS8_PKS5_SA_S6_PS5_21rocsparse_index_base_b.private_seg_size, 0
	.set _ZN9rocsparseL19gebsrmvn_1xn_kernelILj128ELj16ELj32E21rocsparse_complex_numIfEEEvi20rocsparse_direction_NS_24const_host_device_scalarIT2_EEPKiS8_PKS5_SA_S6_PS5_21rocsparse_index_base_b.uses_vcc, 1
	.set _ZN9rocsparseL19gebsrmvn_1xn_kernelILj128ELj16ELj32E21rocsparse_complex_numIfEEEvi20rocsparse_direction_NS_24const_host_device_scalarIT2_EEPKiS8_PKS5_SA_S6_PS5_21rocsparse_index_base_b.uses_flat_scratch, 0
	.set _ZN9rocsparseL19gebsrmvn_1xn_kernelILj128ELj16ELj32E21rocsparse_complex_numIfEEEvi20rocsparse_direction_NS_24const_host_device_scalarIT2_EEPKiS8_PKS5_SA_S6_PS5_21rocsparse_index_base_b.has_dyn_sized_stack, 0
	.set _ZN9rocsparseL19gebsrmvn_1xn_kernelILj128ELj16ELj32E21rocsparse_complex_numIfEEEvi20rocsparse_direction_NS_24const_host_device_scalarIT2_EEPKiS8_PKS5_SA_S6_PS5_21rocsparse_index_base_b.has_recursion, 0
	.set _ZN9rocsparseL19gebsrmvn_1xn_kernelILj128ELj16ELj32E21rocsparse_complex_numIfEEEvi20rocsparse_direction_NS_24const_host_device_scalarIT2_EEPKiS8_PKS5_SA_S6_PS5_21rocsparse_index_base_b.has_indirect_call, 0
	.section	.AMDGPU.csdata,"",@progbits
; Kernel info:
; codeLenInByte = 1380
; TotalNumSgprs: 15
; NumVgprs: 66
; ScratchSize: 0
; MemoryBound: 0
; FloatMode: 240
; IeeeMode: 1
; LDSByteSize: 0 bytes/workgroup (compile time only)
; SGPRBlocks: 0
; VGPRBlocks: 8
; NumSGPRsForWavesPerEU: 15
; NumVGPRsForWavesPerEU: 66
; Occupancy: 12
; WaveLimiterHint : 1
; COMPUTE_PGM_RSRC2:SCRATCH_EN: 0
; COMPUTE_PGM_RSRC2:USER_SGPR: 6
; COMPUTE_PGM_RSRC2:TRAP_HANDLER: 0
; COMPUTE_PGM_RSRC2:TGID_X_EN: 1
; COMPUTE_PGM_RSRC2:TGID_Y_EN: 0
; COMPUTE_PGM_RSRC2:TGID_Z_EN: 0
; COMPUTE_PGM_RSRC2:TIDIG_COMP_CNT: 0
	.section	.text._ZN9rocsparseL19gebsrmvn_1xn_kernelILj128ELj16ELj64E21rocsparse_complex_numIfEEEvi20rocsparse_direction_NS_24const_host_device_scalarIT2_EEPKiS8_PKS5_SA_S6_PS5_21rocsparse_index_base_b,"axG",@progbits,_ZN9rocsparseL19gebsrmvn_1xn_kernelILj128ELj16ELj64E21rocsparse_complex_numIfEEEvi20rocsparse_direction_NS_24const_host_device_scalarIT2_EEPKiS8_PKS5_SA_S6_PS5_21rocsparse_index_base_b,comdat
	.globl	_ZN9rocsparseL19gebsrmvn_1xn_kernelILj128ELj16ELj64E21rocsparse_complex_numIfEEEvi20rocsparse_direction_NS_24const_host_device_scalarIT2_EEPKiS8_PKS5_SA_S6_PS5_21rocsparse_index_base_b ; -- Begin function _ZN9rocsparseL19gebsrmvn_1xn_kernelILj128ELj16ELj64E21rocsparse_complex_numIfEEEvi20rocsparse_direction_NS_24const_host_device_scalarIT2_EEPKiS8_PKS5_SA_S6_PS5_21rocsparse_index_base_b
	.p2align	8
	.type	_ZN9rocsparseL19gebsrmvn_1xn_kernelILj128ELj16ELj64E21rocsparse_complex_numIfEEEvi20rocsparse_direction_NS_24const_host_device_scalarIT2_EEPKiS8_PKS5_SA_S6_PS5_21rocsparse_index_base_b,@function
_ZN9rocsparseL19gebsrmvn_1xn_kernelILj128ELj16ELj64E21rocsparse_complex_numIfEEEvi20rocsparse_direction_NS_24const_host_device_scalarIT2_EEPKiS8_PKS5_SA_S6_PS5_21rocsparse_index_base_b: ; @_ZN9rocsparseL19gebsrmvn_1xn_kernelILj128ELj16ELj64E21rocsparse_complex_numIfEEEvi20rocsparse_direction_NS_24const_host_device_scalarIT2_EEPKiS8_PKS5_SA_S6_PS5_21rocsparse_index_base_b
; %bb.0:
	s_clause 0x2
	s_load_dwordx2 s[8:9], s[4:5], 0x40
	s_load_dwordx2 s[0:1], s[4:5], 0x8
	;; [unrolled: 1-line block ×3, first 2 shown]
	s_add_u32 s7, s4, 8
	s_addc_u32 s10, s5, 0
	s_add_u32 s11, s4, 48
	s_addc_u32 s12, s5, 0
	s_waitcnt lgkmcnt(0)
	s_bitcmp1_b32 s9, 0
	s_cselect_b32 s0, s7, s0
	s_cselect_b32 s1, s10, s1
	v_mov_b32_e32 v1, s0
	v_mov_b32_e32 v2, s1
	s_cselect_b32 s0, s11, s2
	s_cselect_b32 s1, s12, s3
	flat_load_dwordx2 v[3:4], v[1:2]
	v_mov_b32_e32 v1, s0
	v_mov_b32_e32 v2, s1
	flat_load_dwordx2 v[1:2], v[1:2]
	s_waitcnt vmcnt(1) lgkmcnt(1)
	v_cmp_eq_f32_e32 vcc_lo, 0, v3
	v_cmp_eq_f32_e64 s0, 0, v4
	s_and_b32 s2, vcc_lo, s0
	s_mov_b32 s0, -1
	s_and_saveexec_b32 s1, s2
	s_cbranch_execz .LBB226_2
; %bb.1:
	s_waitcnt vmcnt(0) lgkmcnt(0)
	v_cmp_neq_f32_e32 vcc_lo, 1.0, v1
	v_cmp_neq_f32_e64 s0, 0, v2
	s_or_b32 s0, vcc_lo, s0
	s_orn2_b32 s0, s0, exec_lo
.LBB226_2:
	s_or_b32 exec_lo, exec_lo, s1
	s_and_saveexec_b32 s1, s0
	s_cbranch_execz .LBB226_13
; %bb.3:
	s_load_dword s0, s[4:5], 0x0
	v_lshrrev_b32_e32 v5, 6, v0
	v_lshl_or_b32 v5, s6, 1, v5
	s_waitcnt lgkmcnt(0)
	v_cmp_gt_i32_e32 vcc_lo, s0, v5
	s_and_b32 exec_lo, exec_lo, vcc_lo
	s_cbranch_execz .LBB226_13
; %bb.4:
	s_clause 0x1
	s_load_dwordx2 s[0:1], s[4:5], 0x10
	s_load_dwordx2 s[6:7], s[4:5], 0x38
	v_ashrrev_i32_e32 v6, 31, v5
	v_and_b32_e32 v0, 63, v0
	v_mov_b32_e32 v11, 0
	v_mov_b32_e32 v13, 0
	s_mov_b32 s9, exec_lo
	v_lshlrev_b64 v[7:8], 2, v[5:6]
	v_subrev_nc_u32_e32 v9, s8, v0
	s_waitcnt lgkmcnt(0)
	v_add_co_u32 v7, vcc_lo, s0, v7
	v_add_co_ci_u32_e64 v8, null, s1, v8, vcc_lo
	global_load_dwordx2 v[7:8], v[7:8], off
	s_waitcnt vmcnt(0)
	v_subrev_nc_u32_e32 v12, s8, v8
	v_add_nc_u32_e32 v7, v7, v9
	v_cmpx_lt_i32_e64 v7, v12
	s_cbranch_execz .LBB226_8
; %bb.5:
	s_clause 0x1
	s_load_dwordx4 s[0:3], s[4:5], 0x18
	s_load_dwordx2 s[4:5], s[4:5], 0x28
	v_mov_b32_e32 v10, 0
	v_lshlrev_b32_e32 v9, 4, v7
	s_mov_b32 s10, 0
	v_mov_b32_e32 v11, v10
	v_mov_b32_e32 v13, v10
.LBB226_6:                              ; =>This Inner Loop Header: Depth=1
	v_ashrrev_i32_e32 v8, 31, v7
	v_mov_b32_e32 v23, v10
	v_lshlrev_b64 v[14:15], 2, v[7:8]
	v_add_nc_u32_e32 v7, 64, v7
	s_waitcnt lgkmcnt(0)
	v_add_co_u32 v14, vcc_lo, s0, v14
	v_add_co_ci_u32_e64 v15, null, s1, v15, vcc_lo
	global_load_dword v8, v[14:15], off
	v_lshlrev_b64 v[14:15], 3, v[9:10]
	v_add_nc_u32_e32 v9, 0x400, v9
	v_add_co_u32 v62, vcc_lo, s2, v14
	v_add_co_ci_u32_e64 v63, null, s3, v15, vcc_lo
	s_clause 0x1
	global_load_dwordx4 v[14:17], v[62:63], off offset:16
	global_load_dwordx4 v[18:21], v[62:63], off
	s_waitcnt vmcnt(2)
	v_subrev_nc_u32_e32 v8, s8, v8
	v_lshlrev_b32_e32 v22, 4, v8
	v_lshlrev_b64 v[22:23], 3, v[22:23]
	v_add_co_u32 v64, vcc_lo, s4, v22
	v_add_co_ci_u32_e64 v65, null, s5, v23, vcc_lo
	v_cmp_ge_i32_e32 vcc_lo, v7, v12
	s_clause 0x1
	global_load_dwordx4 v[22:25], v[64:65], off
	global_load_dwordx4 v[26:29], v[64:65], off offset:16
	global_load_dwordx4 v[30:33], v[62:63], off offset:32
	;; [unrolled: 1-line block ×9, first 2 shown]
	s_or_b32 s10, vcc_lo, s10
	s_waitcnt vmcnt(9)
	v_fmac_f32_e32 v13, v18, v22
	v_fmac_f32_e32 v11, v19, v22
	v_fma_f32 v8, -v19, v23, v13
	v_fmac_f32_e32 v11, v18, v23
	v_fmac_f32_e32 v8, v20, v24
	;; [unrolled: 1-line block ×3, first 2 shown]
	v_fma_f32 v8, -v21, v25, v8
	v_fmac_f32_e32 v11, v20, v25
	global_load_dwordx4 v[18:21], v[62:63], off offset:96
	global_load_dwordx4 v[22:25], v[64:65], off offset:96
	s_waitcnt vmcnt(10)
	v_fmac_f32_e32 v8, v14, v26
	v_fmac_f32_e32 v11, v15, v26
	v_fma_f32 v8, -v15, v27, v8
	v_fmac_f32_e32 v11, v14, v27
	v_fmac_f32_e32 v8, v16, v28
	;; [unrolled: 1-line block ×3, first 2 shown]
	v_fma_f32 v8, -v17, v29, v8
	v_fmac_f32_e32 v11, v16, v29
	global_load_dwordx4 v[13:16], v[62:63], off offset:112
	global_load_dwordx4 v[26:29], v[64:65], off offset:112
	s_waitcnt vmcnt(10)
	v_fmac_f32_e32 v8, v30, v34
	v_fmac_f32_e32 v11, v31, v34
	v_fma_f32 v8, -v31, v35, v8
	v_fmac_f32_e32 v11, v30, v35
	v_fmac_f32_e32 v8, v32, v36
	v_fmac_f32_e32 v11, v33, v36
	v_fma_f32 v8, -v33, v37, v8
	v_fmac_f32_e32 v11, v32, v37
	s_waitcnt vmcnt(8)
	v_fmac_f32_e32 v8, v38, v42
	v_fmac_f32_e32 v11, v39, v42
	v_fma_f32 v8, -v39, v43, v8
	v_fmac_f32_e32 v11, v38, v43
	v_fmac_f32_e32 v8, v40, v44
	v_fmac_f32_e32 v11, v41, v44
	v_fma_f32 v8, -v41, v45, v8
	v_fmac_f32_e32 v11, v40, v45
	;; [unrolled: 9-line block ×6, first 2 shown]
	s_andn2_b32 exec_lo, exec_lo, s10
	s_cbranch_execnz .LBB226_6
; %bb.7:
	s_or_b32 exec_lo, exec_lo, s10
.LBB226_8:
	s_or_b32 exec_lo, exec_lo, s9
	v_mbcnt_lo_u32_b32 v7, -1, 0
	v_or_b32_e32 v8, 32, v7
	v_xor_b32_e32 v10, 16, v7
	v_xor_b32_e32 v12, 8, v7
	v_cmp_gt_i32_e32 vcc_lo, 32, v8
	v_cndmask_b32_e32 v8, v7, v8, vcc_lo
	v_cmp_gt_i32_e32 vcc_lo, 32, v10
	v_lshlrev_b32_e32 v8, 2, v8
	v_cndmask_b32_e32 v10, v7, v10, vcc_lo
	v_cmp_gt_i32_e32 vcc_lo, 32, v12
	ds_bpermute_b32 v9, v8, v13
	ds_bpermute_b32 v8, v8, v11
	v_lshlrev_b32_e32 v10, 2, v10
	v_cndmask_b32_e32 v12, v7, v12, vcc_lo
	v_lshlrev_b32_e32 v12, 2, v12
	s_waitcnt lgkmcnt(1)
	v_add_f32_e32 v9, v13, v9
	s_waitcnt lgkmcnt(0)
	v_add_f32_e32 v8, v11, v8
	ds_bpermute_b32 v11, v10, v9
	ds_bpermute_b32 v10, v10, v8
	s_waitcnt lgkmcnt(1)
	v_add_f32_e32 v9, v9, v11
	s_waitcnt lgkmcnt(0)
	v_add_f32_e32 v8, v8, v10
	ds_bpermute_b32 v10, v12, v9
	ds_bpermute_b32 v11, v12, v8
	v_xor_b32_e32 v12, 4, v7
	v_cmp_gt_i32_e32 vcc_lo, 32, v12
	v_cndmask_b32_e32 v12, v7, v12, vcc_lo
	v_lshlrev_b32_e32 v12, 2, v12
	s_waitcnt lgkmcnt(1)
	v_add_f32_e32 v9, v9, v10
	s_waitcnt lgkmcnt(0)
	v_add_f32_e32 v8, v8, v11
	ds_bpermute_b32 v10, v12, v9
	ds_bpermute_b32 v11, v12, v8
	v_xor_b32_e32 v12, 2, v7
	v_cmp_gt_i32_e32 vcc_lo, 32, v12
	v_cndmask_b32_e32 v12, v7, v12, vcc_lo
	v_lshlrev_b32_e32 v12, 2, v12
	s_waitcnt lgkmcnt(1)
	v_add_f32_e32 v9, v9, v10
	s_waitcnt lgkmcnt(0)
	v_add_f32_e32 v8, v8, v11
	ds_bpermute_b32 v10, v12, v9
	ds_bpermute_b32 v11, v12, v8
	v_xor_b32_e32 v12, 1, v7
	v_cmp_gt_i32_e32 vcc_lo, 32, v12
	v_cndmask_b32_e32 v7, v7, v12, vcc_lo
	v_cmp_eq_u32_e32 vcc_lo, 63, v0
	v_lshlrev_b32_e32 v12, 2, v7
	s_waitcnt lgkmcnt(1)
	v_add_f32_e32 v7, v9, v10
	s_waitcnt lgkmcnt(0)
	v_add_f32_e32 v9, v8, v11
	ds_bpermute_b32 v8, v12, v7
	ds_bpermute_b32 v10, v12, v9
	s_and_b32 exec_lo, exec_lo, vcc_lo
	s_cbranch_execz .LBB226_13
; %bb.9:
	s_waitcnt lgkmcnt(0)
	v_add_f32_e32 v0, v9, v10
	v_add_f32_e32 v9, v7, v8
	v_cmp_eq_f32_e32 vcc_lo, 0, v1
	v_cmp_eq_f32_e64 s0, 0, v2
	v_lshlrev_b64 v[5:6], 3, v[5:6]
	v_mul_f32_e64 v7, v0, -v4
	v_mul_f32_e32 v8, v3, v0
	s_and_b32 s0, vcc_lo, s0
	v_fmac_f32_e32 v7, v3, v9
	v_fmac_f32_e32 v8, v4, v9
	s_and_saveexec_b32 s1, s0
	s_xor_b32 s0, exec_lo, s1
	s_cbranch_execz .LBB226_11
; %bb.10:
	v_add_co_u32 v0, vcc_lo, s6, v5
	v_add_co_ci_u32_e64 v1, null, s7, v6, vcc_lo
                                        ; implicit-def: $vgpr5_vgpr6
	global_store_dwordx2 v[0:1], v[7:8], off
                                        ; implicit-def: $vgpr1_vgpr2
                                        ; implicit-def: $vgpr7
.LBB226_11:
	s_andn2_saveexec_b32 s0, s0
	s_cbranch_execz .LBB226_13
; %bb.12:
	v_add_co_u32 v3, vcc_lo, s6, v5
	v_add_co_ci_u32_e64 v4, null, s7, v6, vcc_lo
	global_load_dwordx2 v[5:6], v[3:4], off
	s_waitcnt vmcnt(0)
	v_fmac_f32_e32 v7, v1, v5
	v_fmac_f32_e32 v8, v2, v5
	v_fma_f32 v7, -v2, v6, v7
	v_fmac_f32_e32 v8, v1, v6
	global_store_dwordx2 v[3:4], v[7:8], off
.LBB226_13:
	s_endpgm
	.section	.rodata,"a",@progbits
	.p2align	6, 0x0
	.amdhsa_kernel _ZN9rocsparseL19gebsrmvn_1xn_kernelILj128ELj16ELj64E21rocsparse_complex_numIfEEEvi20rocsparse_direction_NS_24const_host_device_scalarIT2_EEPKiS8_PKS5_SA_S6_PS5_21rocsparse_index_base_b
		.amdhsa_group_segment_fixed_size 0
		.amdhsa_private_segment_fixed_size 0
		.amdhsa_kernarg_size 72
		.amdhsa_user_sgpr_count 6
		.amdhsa_user_sgpr_private_segment_buffer 1
		.amdhsa_user_sgpr_dispatch_ptr 0
		.amdhsa_user_sgpr_queue_ptr 0
		.amdhsa_user_sgpr_kernarg_segment_ptr 1
		.amdhsa_user_sgpr_dispatch_id 0
		.amdhsa_user_sgpr_flat_scratch_init 0
		.amdhsa_user_sgpr_private_segment_size 0
		.amdhsa_wavefront_size32 1
		.amdhsa_uses_dynamic_stack 0
		.amdhsa_system_sgpr_private_segment_wavefront_offset 0
		.amdhsa_system_sgpr_workgroup_id_x 1
		.amdhsa_system_sgpr_workgroup_id_y 0
		.amdhsa_system_sgpr_workgroup_id_z 0
		.amdhsa_system_sgpr_workgroup_info 0
		.amdhsa_system_vgpr_workitem_id 0
		.amdhsa_next_free_vgpr 66
		.amdhsa_next_free_sgpr 13
		.amdhsa_reserve_vcc 1
		.amdhsa_reserve_flat_scratch 0
		.amdhsa_float_round_mode_32 0
		.amdhsa_float_round_mode_16_64 0
		.amdhsa_float_denorm_mode_32 3
		.amdhsa_float_denorm_mode_16_64 3
		.amdhsa_dx10_clamp 1
		.amdhsa_ieee_mode 1
		.amdhsa_fp16_overflow 0
		.amdhsa_workgroup_processor_mode 1
		.amdhsa_memory_ordered 1
		.amdhsa_forward_progress 1
		.amdhsa_shared_vgpr_count 0
		.amdhsa_exception_fp_ieee_invalid_op 0
		.amdhsa_exception_fp_denorm_src 0
		.amdhsa_exception_fp_ieee_div_zero 0
		.amdhsa_exception_fp_ieee_overflow 0
		.amdhsa_exception_fp_ieee_underflow 0
		.amdhsa_exception_fp_ieee_inexact 0
		.amdhsa_exception_int_div_zero 0
	.end_amdhsa_kernel
	.section	.text._ZN9rocsparseL19gebsrmvn_1xn_kernelILj128ELj16ELj64E21rocsparse_complex_numIfEEEvi20rocsparse_direction_NS_24const_host_device_scalarIT2_EEPKiS8_PKS5_SA_S6_PS5_21rocsparse_index_base_b,"axG",@progbits,_ZN9rocsparseL19gebsrmvn_1xn_kernelILj128ELj16ELj64E21rocsparse_complex_numIfEEEvi20rocsparse_direction_NS_24const_host_device_scalarIT2_EEPKiS8_PKS5_SA_S6_PS5_21rocsparse_index_base_b,comdat
.Lfunc_end226:
	.size	_ZN9rocsparseL19gebsrmvn_1xn_kernelILj128ELj16ELj64E21rocsparse_complex_numIfEEEvi20rocsparse_direction_NS_24const_host_device_scalarIT2_EEPKiS8_PKS5_SA_S6_PS5_21rocsparse_index_base_b, .Lfunc_end226-_ZN9rocsparseL19gebsrmvn_1xn_kernelILj128ELj16ELj64E21rocsparse_complex_numIfEEEvi20rocsparse_direction_NS_24const_host_device_scalarIT2_EEPKiS8_PKS5_SA_S6_PS5_21rocsparse_index_base_b
                                        ; -- End function
	.set _ZN9rocsparseL19gebsrmvn_1xn_kernelILj128ELj16ELj64E21rocsparse_complex_numIfEEEvi20rocsparse_direction_NS_24const_host_device_scalarIT2_EEPKiS8_PKS5_SA_S6_PS5_21rocsparse_index_base_b.num_vgpr, 66
	.set _ZN9rocsparseL19gebsrmvn_1xn_kernelILj128ELj16ELj64E21rocsparse_complex_numIfEEEvi20rocsparse_direction_NS_24const_host_device_scalarIT2_EEPKiS8_PKS5_SA_S6_PS5_21rocsparse_index_base_b.num_agpr, 0
	.set _ZN9rocsparseL19gebsrmvn_1xn_kernelILj128ELj16ELj64E21rocsparse_complex_numIfEEEvi20rocsparse_direction_NS_24const_host_device_scalarIT2_EEPKiS8_PKS5_SA_S6_PS5_21rocsparse_index_base_b.numbered_sgpr, 13
	.set _ZN9rocsparseL19gebsrmvn_1xn_kernelILj128ELj16ELj64E21rocsparse_complex_numIfEEEvi20rocsparse_direction_NS_24const_host_device_scalarIT2_EEPKiS8_PKS5_SA_S6_PS5_21rocsparse_index_base_b.num_named_barrier, 0
	.set _ZN9rocsparseL19gebsrmvn_1xn_kernelILj128ELj16ELj64E21rocsparse_complex_numIfEEEvi20rocsparse_direction_NS_24const_host_device_scalarIT2_EEPKiS8_PKS5_SA_S6_PS5_21rocsparse_index_base_b.private_seg_size, 0
	.set _ZN9rocsparseL19gebsrmvn_1xn_kernelILj128ELj16ELj64E21rocsparse_complex_numIfEEEvi20rocsparse_direction_NS_24const_host_device_scalarIT2_EEPKiS8_PKS5_SA_S6_PS5_21rocsparse_index_base_b.uses_vcc, 1
	.set _ZN9rocsparseL19gebsrmvn_1xn_kernelILj128ELj16ELj64E21rocsparse_complex_numIfEEEvi20rocsparse_direction_NS_24const_host_device_scalarIT2_EEPKiS8_PKS5_SA_S6_PS5_21rocsparse_index_base_b.uses_flat_scratch, 0
	.set _ZN9rocsparseL19gebsrmvn_1xn_kernelILj128ELj16ELj64E21rocsparse_complex_numIfEEEvi20rocsparse_direction_NS_24const_host_device_scalarIT2_EEPKiS8_PKS5_SA_S6_PS5_21rocsparse_index_base_b.has_dyn_sized_stack, 0
	.set _ZN9rocsparseL19gebsrmvn_1xn_kernelILj128ELj16ELj64E21rocsparse_complex_numIfEEEvi20rocsparse_direction_NS_24const_host_device_scalarIT2_EEPKiS8_PKS5_SA_S6_PS5_21rocsparse_index_base_b.has_recursion, 0
	.set _ZN9rocsparseL19gebsrmvn_1xn_kernelILj128ELj16ELj64E21rocsparse_complex_numIfEEEvi20rocsparse_direction_NS_24const_host_device_scalarIT2_EEPKiS8_PKS5_SA_S6_PS5_21rocsparse_index_base_b.has_indirect_call, 0
	.section	.AMDGPU.csdata,"",@progbits
; Kernel info:
; codeLenInByte = 1428
; TotalNumSgprs: 15
; NumVgprs: 66
; ScratchSize: 0
; MemoryBound: 0
; FloatMode: 240
; IeeeMode: 1
; LDSByteSize: 0 bytes/workgroup (compile time only)
; SGPRBlocks: 0
; VGPRBlocks: 8
; NumSGPRsForWavesPerEU: 15
; NumVGPRsForWavesPerEU: 66
; Occupancy: 12
; WaveLimiterHint : 1
; COMPUTE_PGM_RSRC2:SCRATCH_EN: 0
; COMPUTE_PGM_RSRC2:USER_SGPR: 6
; COMPUTE_PGM_RSRC2:TRAP_HANDLER: 0
; COMPUTE_PGM_RSRC2:TGID_X_EN: 1
; COMPUTE_PGM_RSRC2:TGID_Y_EN: 0
; COMPUTE_PGM_RSRC2:TGID_Z_EN: 0
; COMPUTE_PGM_RSRC2:TIDIG_COMP_CNT: 0
	.section	.text._ZN9rocsparseL23gebsrmvn_general_kernelILj32ELj32E21rocsparse_complex_numIfEEEvi20rocsparse_direction_NS_24const_host_device_scalarIT1_EEPKiS8_PKS5_iiSA_S6_PS5_21rocsparse_index_base_b,"axG",@progbits,_ZN9rocsparseL23gebsrmvn_general_kernelILj32ELj32E21rocsparse_complex_numIfEEEvi20rocsparse_direction_NS_24const_host_device_scalarIT1_EEPKiS8_PKS5_iiSA_S6_PS5_21rocsparse_index_base_b,comdat
	.globl	_ZN9rocsparseL23gebsrmvn_general_kernelILj32ELj32E21rocsparse_complex_numIfEEEvi20rocsparse_direction_NS_24const_host_device_scalarIT1_EEPKiS8_PKS5_iiSA_S6_PS5_21rocsparse_index_base_b ; -- Begin function _ZN9rocsparseL23gebsrmvn_general_kernelILj32ELj32E21rocsparse_complex_numIfEEEvi20rocsparse_direction_NS_24const_host_device_scalarIT1_EEPKiS8_PKS5_iiSA_S6_PS5_21rocsparse_index_base_b
	.p2align	8
	.type	_ZN9rocsparseL23gebsrmvn_general_kernelILj32ELj32E21rocsparse_complex_numIfEEEvi20rocsparse_direction_NS_24const_host_device_scalarIT1_EEPKiS8_PKS5_iiSA_S6_PS5_21rocsparse_index_base_b,@function
_ZN9rocsparseL23gebsrmvn_general_kernelILj32ELj32E21rocsparse_complex_numIfEEEvi20rocsparse_direction_NS_24const_host_device_scalarIT1_EEPKiS8_PKS5_iiSA_S6_PS5_21rocsparse_index_base_b: ; @_ZN9rocsparseL23gebsrmvn_general_kernelILj32ELj32E21rocsparse_complex_numIfEEEvi20rocsparse_direction_NS_24const_host_device_scalarIT1_EEPKiS8_PKS5_iiSA_S6_PS5_21rocsparse_index_base_b
; %bb.0:
	s_clause 0x2
	s_load_dwordx2 s[12:13], s[4:5], 0x48
	s_load_dwordx2 s[0:1], s[4:5], 0x8
	;; [unrolled: 1-line block ×3, first 2 shown]
	s_add_u32 s7, s4, 8
	s_addc_u32 s8, s5, 0
	s_add_u32 s9, s4, 56
	s_addc_u32 s10, s5, 0
	s_waitcnt lgkmcnt(0)
	s_bitcmp1_b32 s13, 0
	s_cselect_b32 s0, s7, s0
	s_cselect_b32 s1, s8, s1
	v_mov_b32_e32 v1, s0
	v_mov_b32_e32 v2, s1
	s_cselect_b32 s0, s9, s2
	s_cselect_b32 s1, s10, s3
	v_mov_b32_e32 v3, s0
	v_mov_b32_e32 v4, s1
	flat_load_dwordx2 v[1:2], v[1:2]
	flat_load_dwordx2 v[3:4], v[3:4]
	s_waitcnt vmcnt(1) lgkmcnt(1)
	v_cmp_eq_f32_e32 vcc_lo, 0, v1
	v_cmp_eq_f32_e64 s0, 0, v2
	s_and_b32 s2, vcc_lo, s0
	s_mov_b32 s0, -1
	s_and_saveexec_b32 s1, s2
	s_cbranch_execz .LBB227_2
; %bb.1:
	s_waitcnt vmcnt(0) lgkmcnt(0)
	v_cmp_neq_f32_e32 vcc_lo, 1.0, v3
	v_cmp_neq_f32_e64 s0, 0, v4
	s_or_b32 s0, vcc_lo, s0
	s_orn2_b32 s0, s0, exec_lo
.LBB227_2:
	s_or_b32 exec_lo, exec_lo, s1
	s_and_saveexec_b32 s1, s0
	s_cbranch_execz .LBB227_22
; %bb.3:
	s_load_dwordx2 s[14:15], s[4:5], 0x28
	s_mov_b32 s13, 0
	s_waitcnt lgkmcnt(0)
	s_cmp_gt_i32 s14, 0
	s_cselect_b32 s0, -1, 0
	s_and_b32 exec_lo, exec_lo, s0
	s_cbranch_execz .LBB227_22
; %bb.4:
	s_clause 0x3
	s_load_dwordx4 s[8:11], s[4:5], 0x10
	s_load_dwordx2 s[16:17], s[4:5], 0x20
	s_load_dwordx2 s[18:19], s[4:5], 0x30
	;; [unrolled: 1-line block ×3, first 2 shown]
	v_mbcnt_lo_u32_b32 v6, -1, 0
	s_ashr_i32 s7, s6, 31
	s_load_dword s22, s[4:5], 0x4
	s_lshl_b64 s[4:5], s[6:7], 2
	s_waitcnt vmcnt(0)
	v_cmp_eq_f32_e32 vcc_lo, 0, v3
	v_xor_b32_e32 v7, 16, v6
	v_xor_b32_e32 v8, 8, v6
	;; [unrolled: 1-line block ×5, first 2 shown]
	v_cmp_gt_i32_e64 s3, 32, v7
	v_cmp_eq_f32_e64 s2, 0, v4
	v_mov_b32_e32 v5, 0
	v_cmp_gt_i32_e64 s0, s15, v0
	v_cmp_eq_u32_e64 s1, 31, v0
	v_cndmask_b32_e64 v7, v6, v7, s3
	s_waitcnt lgkmcnt(0)
	s_add_u32 s4, s8, s4
	s_addc_u32 s5, s9, s5
	v_cmp_gt_i32_e64 s3, 32, v8
	s_load_dwordx2 s[8:9], s[4:5], 0x0
	s_mul_i32 s6, s14, s6
	v_cndmask_b32_e64 v8, v6, v8, s3
	v_cmp_gt_i32_e64 s3, 32, v9
	v_cndmask_b32_e64 v9, v6, v9, s3
	v_cmp_gt_i32_e64 s3, 32, v10
	v_lshlrev_b32_e32 v12, 2, v9
	v_cndmask_b32_e64 v13, v6, v10, s3
	v_cmp_gt_i32_e64 s3, 32, v11
	v_lshlrev_b32_e32 v10, 2, v7
	s_waitcnt lgkmcnt(0)
	s_sub_i32 s4, s8, s12
	s_sub_i32 s5, s9, s12
	v_cndmask_b32_e64 v6, v6, v11, s3
	s_mul_i32 s3, s14, s4
	s_cmp_lt_i32 s8, s9
	s_mul_i32 s3, s15, s3
	v_lshlrev_b32_e32 v11, 2, v8
	v_lshlrev_b32_e32 v13, 2, v13
	;; [unrolled: 1-line block ×3, first 2 shown]
	v_mov_b32_e32 v15, s3
	s_cselect_b32 s7, -1, 0
	s_cmp_lg_u32 s22, 0
	s_mul_i32 s22, s15, s14
	s_cselect_b32 s8, -1, 0
	s_and_b32 s9, vcc_lo, s2
	s_branch .LBB227_6
.LBB227_5:                              ;   in Loop: Header=BB227_6 Depth=1
	s_or_b32 exec_lo, exec_lo, s2
	v_add_nc_u32_e32 v5, 1, v5
	v_add_nc_u32_e32 v15, s15, v15
	v_cmp_le_i32_e32 vcc_lo, s14, v5
	s_or_b32 s13, vcc_lo, s13
	s_andn2_b32 exec_lo, exec_lo, s13
	s_cbranch_execz .LBB227_22
.LBB227_6:                              ; =>This Loop Header: Depth=1
                                        ;     Child Loop BB227_10 Depth 2
                                        ;       Child Loop BB227_13 Depth 3
	v_mov_b32_e32 v8, 0
	s_waitcnt lgkmcnt(0)
	v_mov_b32_e32 v9, 0
	s_andn2_b32 vcc_lo, exec_lo, s7
	s_cbranch_vccnz .LBB227_17
; %bb.7:                                ;   in Loop: Header=BB227_6 Depth=1
	v_mov_b32_e32 v8, 0
	v_mov_b32_e32 v16, v15
	;; [unrolled: 1-line block ×3, first 2 shown]
	s_mov_b32 s2, s4
	s_branch .LBB227_10
.LBB227_8:                              ;   in Loop: Header=BB227_10 Depth=2
	s_inst_prefetch 0x2
	s_or_b32 exec_lo, exec_lo, s24
.LBB227_9:                              ;   in Loop: Header=BB227_10 Depth=2
	s_or_b32 exec_lo, exec_lo, s23
	v_add_nc_u32_e32 v16, s22, v16
	s_add_i32 s2, s2, 1
	s_cmp_ge_i32 s2, s5
	s_cbranch_scc1 .LBB227_17
.LBB227_10:                             ;   Parent Loop BB227_6 Depth=1
                                        ; =>  This Loop Header: Depth=2
                                        ;       Child Loop BB227_13 Depth 3
	s_and_saveexec_b32 s23, s0
	s_cbranch_execz .LBB227_9
; %bb.11:                               ;   in Loop: Header=BB227_10 Depth=2
	s_ashr_i32 s3, s2, 31
	v_mov_b32_e32 v17, v0
	s_lshl_b64 s[24:25], s[2:3], 2
	s_add_u32 s24, s10, s24
	s_addc_u32 s25, s11, s25
	s_load_dword s3, s[24:25], 0x0
	s_mov_b32 s24, 0
	s_waitcnt lgkmcnt(0)
	s_sub_i32 s25, s3, s12
	s_mul_i32 s3, s2, s15
	s_mul_i32 s25, s25, s15
	s_inst_prefetch 0x1
	s_branch .LBB227_13
	.p2align	6
.LBB227_12:                             ;   in Loop: Header=BB227_13 Depth=3
	v_add_nc_u32_e32 v18, s25, v17
	v_ashrrev_i32_e32 v7, 31, v6
	v_add_nc_u32_e32 v17, 32, v17
	v_ashrrev_i32_e32 v19, 31, v18
	v_lshlrev_b64 v[6:7], 3, v[6:7]
	v_lshlrev_b64 v[18:19], 3, v[18:19]
	v_add_co_u32 v6, vcc_lo, s16, v6
	v_add_co_ci_u32_e64 v7, null, s17, v7, vcc_lo
	v_add_co_u32 v18, vcc_lo, s18, v18
	v_add_co_ci_u32_e64 v19, null, s19, v19, vcc_lo
	v_cmp_le_i32_e32 vcc_lo, s15, v17
	global_load_dwordx2 v[6:7], v[6:7], off
	global_load_dwordx2 v[18:19], v[18:19], off
	s_or_b32 s24, vcc_lo, s24
	s_waitcnt vmcnt(0)
	v_fmac_f32_e32 v9, v6, v18
	v_fmac_f32_e32 v8, v7, v18
	v_fma_f32 v9, -v7, v19, v9
	v_fmac_f32_e32 v8, v6, v19
	s_andn2_b32 exec_lo, exec_lo, s24
	s_cbranch_execz .LBB227_8
.LBB227_13:                             ;   Parent Loop BB227_6 Depth=1
                                        ;     Parent Loop BB227_10 Depth=2
                                        ; =>    This Inner Loop Header: Depth=3
	s_and_b32 vcc_lo, exec_lo, s8
	s_cbranch_vccz .LBB227_15
; %bb.14:                               ;   in Loop: Header=BB227_13 Depth=3
	v_add_nc_u32_e32 v6, s3, v17
	v_mad_u64_u32 v[6:7], null, v6, s14, v[5:6]
	s_cbranch_execnz .LBB227_12
	s_branch .LBB227_16
.LBB227_15:                             ;   in Loop: Header=BB227_13 Depth=3
                                        ; implicit-def: $vgpr6
.LBB227_16:                             ;   in Loop: Header=BB227_13 Depth=3
	v_add_nc_u32_e32 v6, v16, v17
	s_branch .LBB227_12
.LBB227_17:                             ;   in Loop: Header=BB227_6 Depth=1
	ds_bpermute_b32 v6, v10, v9
	ds_bpermute_b32 v7, v10, v8
	s_waitcnt lgkmcnt(1)
	v_add_f32_e32 v6, v9, v6
	s_waitcnt lgkmcnt(0)
	v_add_f32_e32 v7, v8, v7
	ds_bpermute_b32 v8, v11, v6
	ds_bpermute_b32 v9, v11, v7
	s_waitcnt lgkmcnt(1)
	v_add_f32_e32 v6, v6, v8
	s_waitcnt lgkmcnt(0)
	v_add_f32_e32 v7, v7, v9
	;; [unrolled: 6-line block ×4, first 2 shown]
	ds_bpermute_b32 v7, v14, v6
	ds_bpermute_b32 v9, v14, v8
	s_and_saveexec_b32 s2, s1
	s_cbranch_execz .LBB227_5
; %bb.18:                               ;   in Loop: Header=BB227_6 Depth=1
	s_waitcnt lgkmcnt(0)
	v_add_f32_e32 v8, v8, v9
	v_add_f32_e32 v9, v6, v7
	v_mul_f32_e64 v6, v8, -v2
	v_mul_f32_e32 v7, v1, v8
	v_add_nc_u32_e32 v8, s6, v5
	v_fmac_f32_e32 v6, v1, v9
	v_fmac_f32_e32 v7, v2, v9
	v_ashrrev_i32_e32 v9, 31, v8
	s_and_saveexec_b32 s3, s9
	s_xor_b32 s3, exec_lo, s3
	s_cbranch_execz .LBB227_20
; %bb.19:                               ;   in Loop: Header=BB227_6 Depth=1
	v_lshlrev_b64 v[8:9], 3, v[8:9]
	v_add_co_u32 v8, vcc_lo, s20, v8
	v_add_co_ci_u32_e64 v9, null, s21, v9, vcc_lo
	global_store_dwordx2 v[8:9], v[6:7], off
                                        ; implicit-def: $vgpr8
                                        ; implicit-def: $vgpr6
.LBB227_20:                             ;   in Loop: Header=BB227_6 Depth=1
	s_andn2_saveexec_b32 s3, s3
	s_cbranch_execz .LBB227_5
; %bb.21:                               ;   in Loop: Header=BB227_6 Depth=1
	v_lshlrev_b64 v[8:9], 3, v[8:9]
	v_add_co_u32 v8, vcc_lo, s20, v8
	v_add_co_ci_u32_e64 v9, null, s21, v9, vcc_lo
	global_load_dwordx2 v[16:17], v[8:9], off
	s_waitcnt vmcnt(0)
	v_fmac_f32_e32 v6, v3, v16
	v_fmac_f32_e32 v7, v4, v16
	v_fma_f32 v6, -v4, v17, v6
	v_fmac_f32_e32 v7, v3, v17
	global_store_dwordx2 v[8:9], v[6:7], off
	s_branch .LBB227_5
.LBB227_22:
	s_endpgm
	.section	.rodata,"a",@progbits
	.p2align	6, 0x0
	.amdhsa_kernel _ZN9rocsparseL23gebsrmvn_general_kernelILj32ELj32E21rocsparse_complex_numIfEEEvi20rocsparse_direction_NS_24const_host_device_scalarIT1_EEPKiS8_PKS5_iiSA_S6_PS5_21rocsparse_index_base_b
		.amdhsa_group_segment_fixed_size 0
		.amdhsa_private_segment_fixed_size 0
		.amdhsa_kernarg_size 80
		.amdhsa_user_sgpr_count 6
		.amdhsa_user_sgpr_private_segment_buffer 1
		.amdhsa_user_sgpr_dispatch_ptr 0
		.amdhsa_user_sgpr_queue_ptr 0
		.amdhsa_user_sgpr_kernarg_segment_ptr 1
		.amdhsa_user_sgpr_dispatch_id 0
		.amdhsa_user_sgpr_flat_scratch_init 0
		.amdhsa_user_sgpr_private_segment_size 0
		.amdhsa_wavefront_size32 1
		.amdhsa_uses_dynamic_stack 0
		.amdhsa_system_sgpr_private_segment_wavefront_offset 0
		.amdhsa_system_sgpr_workgroup_id_x 1
		.amdhsa_system_sgpr_workgroup_id_y 0
		.amdhsa_system_sgpr_workgroup_id_z 0
		.amdhsa_system_sgpr_workgroup_info 0
		.amdhsa_system_vgpr_workitem_id 0
		.amdhsa_next_free_vgpr 20
		.amdhsa_next_free_sgpr 26
		.amdhsa_reserve_vcc 1
		.amdhsa_reserve_flat_scratch 0
		.amdhsa_float_round_mode_32 0
		.amdhsa_float_round_mode_16_64 0
		.amdhsa_float_denorm_mode_32 3
		.amdhsa_float_denorm_mode_16_64 3
		.amdhsa_dx10_clamp 1
		.amdhsa_ieee_mode 1
		.amdhsa_fp16_overflow 0
		.amdhsa_workgroup_processor_mode 1
		.amdhsa_memory_ordered 1
		.amdhsa_forward_progress 1
		.amdhsa_shared_vgpr_count 0
		.amdhsa_exception_fp_ieee_invalid_op 0
		.amdhsa_exception_fp_denorm_src 0
		.amdhsa_exception_fp_ieee_div_zero 0
		.amdhsa_exception_fp_ieee_overflow 0
		.amdhsa_exception_fp_ieee_underflow 0
		.amdhsa_exception_fp_ieee_inexact 0
		.amdhsa_exception_int_div_zero 0
	.end_amdhsa_kernel
	.section	.text._ZN9rocsparseL23gebsrmvn_general_kernelILj32ELj32E21rocsparse_complex_numIfEEEvi20rocsparse_direction_NS_24const_host_device_scalarIT1_EEPKiS8_PKS5_iiSA_S6_PS5_21rocsparse_index_base_b,"axG",@progbits,_ZN9rocsparseL23gebsrmvn_general_kernelILj32ELj32E21rocsparse_complex_numIfEEEvi20rocsparse_direction_NS_24const_host_device_scalarIT1_EEPKiS8_PKS5_iiSA_S6_PS5_21rocsparse_index_base_b,comdat
.Lfunc_end227:
	.size	_ZN9rocsparseL23gebsrmvn_general_kernelILj32ELj32E21rocsparse_complex_numIfEEEvi20rocsparse_direction_NS_24const_host_device_scalarIT1_EEPKiS8_PKS5_iiSA_S6_PS5_21rocsparse_index_base_b, .Lfunc_end227-_ZN9rocsparseL23gebsrmvn_general_kernelILj32ELj32E21rocsparse_complex_numIfEEEvi20rocsparse_direction_NS_24const_host_device_scalarIT1_EEPKiS8_PKS5_iiSA_S6_PS5_21rocsparse_index_base_b
                                        ; -- End function
	.set _ZN9rocsparseL23gebsrmvn_general_kernelILj32ELj32E21rocsparse_complex_numIfEEEvi20rocsparse_direction_NS_24const_host_device_scalarIT1_EEPKiS8_PKS5_iiSA_S6_PS5_21rocsparse_index_base_b.num_vgpr, 20
	.set _ZN9rocsparseL23gebsrmvn_general_kernelILj32ELj32E21rocsparse_complex_numIfEEEvi20rocsparse_direction_NS_24const_host_device_scalarIT1_EEPKiS8_PKS5_iiSA_S6_PS5_21rocsparse_index_base_b.num_agpr, 0
	.set _ZN9rocsparseL23gebsrmvn_general_kernelILj32ELj32E21rocsparse_complex_numIfEEEvi20rocsparse_direction_NS_24const_host_device_scalarIT1_EEPKiS8_PKS5_iiSA_S6_PS5_21rocsparse_index_base_b.numbered_sgpr, 26
	.set _ZN9rocsparseL23gebsrmvn_general_kernelILj32ELj32E21rocsparse_complex_numIfEEEvi20rocsparse_direction_NS_24const_host_device_scalarIT1_EEPKiS8_PKS5_iiSA_S6_PS5_21rocsparse_index_base_b.num_named_barrier, 0
	.set _ZN9rocsparseL23gebsrmvn_general_kernelILj32ELj32E21rocsparse_complex_numIfEEEvi20rocsparse_direction_NS_24const_host_device_scalarIT1_EEPKiS8_PKS5_iiSA_S6_PS5_21rocsparse_index_base_b.private_seg_size, 0
	.set _ZN9rocsparseL23gebsrmvn_general_kernelILj32ELj32E21rocsparse_complex_numIfEEEvi20rocsparse_direction_NS_24const_host_device_scalarIT1_EEPKiS8_PKS5_iiSA_S6_PS5_21rocsparse_index_base_b.uses_vcc, 1
	.set _ZN9rocsparseL23gebsrmvn_general_kernelILj32ELj32E21rocsparse_complex_numIfEEEvi20rocsparse_direction_NS_24const_host_device_scalarIT1_EEPKiS8_PKS5_iiSA_S6_PS5_21rocsparse_index_base_b.uses_flat_scratch, 0
	.set _ZN9rocsparseL23gebsrmvn_general_kernelILj32ELj32E21rocsparse_complex_numIfEEEvi20rocsparse_direction_NS_24const_host_device_scalarIT1_EEPKiS8_PKS5_iiSA_S6_PS5_21rocsparse_index_base_b.has_dyn_sized_stack, 0
	.set _ZN9rocsparseL23gebsrmvn_general_kernelILj32ELj32E21rocsparse_complex_numIfEEEvi20rocsparse_direction_NS_24const_host_device_scalarIT1_EEPKiS8_PKS5_iiSA_S6_PS5_21rocsparse_index_base_b.has_recursion, 0
	.set _ZN9rocsparseL23gebsrmvn_general_kernelILj32ELj32E21rocsparse_complex_numIfEEEvi20rocsparse_direction_NS_24const_host_device_scalarIT1_EEPKiS8_PKS5_iiSA_S6_PS5_21rocsparse_index_base_b.has_indirect_call, 0
	.section	.AMDGPU.csdata,"",@progbits
; Kernel info:
; codeLenInByte = 1176
; TotalNumSgprs: 28
; NumVgprs: 20
; ScratchSize: 0
; MemoryBound: 0
; FloatMode: 240
; IeeeMode: 1
; LDSByteSize: 0 bytes/workgroup (compile time only)
; SGPRBlocks: 0
; VGPRBlocks: 2
; NumSGPRsForWavesPerEU: 28
; NumVGPRsForWavesPerEU: 20
; Occupancy: 16
; WaveLimiterHint : 1
; COMPUTE_PGM_RSRC2:SCRATCH_EN: 0
; COMPUTE_PGM_RSRC2:USER_SGPR: 6
; COMPUTE_PGM_RSRC2:TRAP_HANDLER: 0
; COMPUTE_PGM_RSRC2:TGID_X_EN: 1
; COMPUTE_PGM_RSRC2:TGID_Y_EN: 0
; COMPUTE_PGM_RSRC2:TGID_Z_EN: 0
; COMPUTE_PGM_RSRC2:TIDIG_COMP_CNT: 0
	.section	.text._ZN9rocsparseL19gebsrmvn_1xn_kernelILj128ELj2ELj4E21rocsparse_complex_numIdEEEvi20rocsparse_direction_NS_24const_host_device_scalarIT2_EEPKiS8_PKS5_SA_S6_PS5_21rocsparse_index_base_b,"axG",@progbits,_ZN9rocsparseL19gebsrmvn_1xn_kernelILj128ELj2ELj4E21rocsparse_complex_numIdEEEvi20rocsparse_direction_NS_24const_host_device_scalarIT2_EEPKiS8_PKS5_SA_S6_PS5_21rocsparse_index_base_b,comdat
	.globl	_ZN9rocsparseL19gebsrmvn_1xn_kernelILj128ELj2ELj4E21rocsparse_complex_numIdEEEvi20rocsparse_direction_NS_24const_host_device_scalarIT2_EEPKiS8_PKS5_SA_S6_PS5_21rocsparse_index_base_b ; -- Begin function _ZN9rocsparseL19gebsrmvn_1xn_kernelILj128ELj2ELj4E21rocsparse_complex_numIdEEEvi20rocsparse_direction_NS_24const_host_device_scalarIT2_EEPKiS8_PKS5_SA_S6_PS5_21rocsparse_index_base_b
	.p2align	8
	.type	_ZN9rocsparseL19gebsrmvn_1xn_kernelILj128ELj2ELj4E21rocsparse_complex_numIdEEEvi20rocsparse_direction_NS_24const_host_device_scalarIT2_EEPKiS8_PKS5_SA_S6_PS5_21rocsparse_index_base_b,@function
_ZN9rocsparseL19gebsrmvn_1xn_kernelILj128ELj2ELj4E21rocsparse_complex_numIdEEEvi20rocsparse_direction_NS_24const_host_device_scalarIT2_EEPKiS8_PKS5_SA_S6_PS5_21rocsparse_index_base_b: ; @_ZN9rocsparseL19gebsrmvn_1xn_kernelILj128ELj2ELj4E21rocsparse_complex_numIdEEEvi20rocsparse_direction_NS_24const_host_device_scalarIT2_EEPKiS8_PKS5_SA_S6_PS5_21rocsparse_index_base_b
; %bb.0:
	s_clause 0x1
	s_load_dwordx2 s[8:9], s[4:5], 0x50
	s_load_dwordx2 s[0:1], s[4:5], 0x8
	s_add_u32 s7, s4, 8
	s_addc_u32 s10, s5, 0
	s_add_u32 s11, s4, 56
	s_addc_u32 s12, s5, 0
	s_load_dwordx2 s[2:3], s[4:5], 0x38
	s_waitcnt lgkmcnt(0)
	s_bitcmp1_b32 s9, 0
	s_cselect_b32 s0, s7, s0
	s_cselect_b32 s1, s10, s1
	v_mov_b32_e32 v1, s0
	v_mov_b32_e32 v2, s1
	s_cselect_b32 s0, s11, s2
	s_cselect_b32 s1, s12, s3
	flat_load_dwordx4 v[5:8], v[1:2]
	v_mov_b32_e32 v1, s0
	v_mov_b32_e32 v2, s1
	flat_load_dwordx4 v[1:4], v[1:2]
	s_waitcnt vmcnt(1) lgkmcnt(1)
	v_cmp_eq_f64_e32 vcc_lo, 0, v[5:6]
	v_cmp_eq_f64_e64 s0, 0, v[7:8]
	s_and_b32 s2, vcc_lo, s0
	s_mov_b32 s0, -1
	s_and_saveexec_b32 s1, s2
	s_cbranch_execz .LBB228_2
; %bb.1:
	s_waitcnt vmcnt(0) lgkmcnt(0)
	v_cmp_neq_f64_e32 vcc_lo, 1.0, v[1:2]
	v_cmp_neq_f64_e64 s0, 0, v[3:4]
	s_or_b32 s0, vcc_lo, s0
	s_orn2_b32 s0, s0, exec_lo
.LBB228_2:
	s_or_b32 exec_lo, exec_lo, s1
	s_and_saveexec_b32 s1, s0
	s_cbranch_execz .LBB228_13
; %bb.3:
	s_load_dword s0, s[4:5], 0x0
	v_lshrrev_b32_e32 v9, 2, v0
	v_lshl_or_b32 v9, s6, 5, v9
	s_waitcnt lgkmcnt(0)
	v_cmp_gt_i32_e32 vcc_lo, s0, v9
	s_and_b32 exec_lo, exec_lo, vcc_lo
	s_cbranch_execz .LBB228_13
; %bb.4:
	s_clause 0x1
	s_load_dwordx2 s[0:1], s[4:5], 0x18
	s_load_dwordx2 s[6:7], s[4:5], 0x48
	v_ashrrev_i32_e32 v10, 31, v9
	v_and_b32_e32 v0, 3, v0
	s_mov_b32 s9, exec_lo
	v_lshlrev_b64 v[11:12], 2, v[9:10]
	v_subrev_nc_u32_e32 v13, s8, v0
	s_waitcnt lgkmcnt(0)
	v_add_co_u32 v11, vcc_lo, s0, v11
	v_add_co_ci_u32_e64 v12, null, s1, v12, vcc_lo
	global_load_dwordx2 v[11:12], v[11:12], off
	s_waitcnt vmcnt(0)
	v_subrev_nc_u32_e32 v19, s8, v12
	v_add_nc_u32_e32 v15, v11, v13
	v_mov_b32_e32 v11, 0
	v_mov_b32_e32 v13, 0
	;; [unrolled: 1-line block ×4, first 2 shown]
	v_cmpx_lt_i32_e64 v15, v19
	s_cbranch_execz .LBB228_8
; %bb.5:
	s_clause 0x1
	s_load_dwordx4 s[0:3], s[4:5], 0x20
	s_load_dwordx2 s[4:5], s[4:5], 0x30
	v_mov_b32_e32 v11, 0
	v_mov_b32_e32 v13, 0
	v_lshlrev_b32_e32 v17, 1, v15
	v_mov_b32_e32 v12, 0
	v_mov_b32_e32 v14, 0
	;; [unrolled: 1-line block ×3, first 2 shown]
	s_mov_b32 s10, 0
.LBB228_6:                              ; =>This Inner Loop Header: Depth=1
	v_ashrrev_i32_e32 v16, 31, v15
	v_mov_b32_e32 v23, v18
	v_lshlrev_b64 v[20:21], 2, v[15:16]
	v_add_nc_u32_e32 v15, 4, v15
	s_waitcnt lgkmcnt(0)
	v_add_co_u32 v20, vcc_lo, s0, v20
	v_add_co_ci_u32_e64 v21, null, s1, v21, vcc_lo
	global_load_dword v16, v[20:21], off
	v_lshlrev_b64 v[20:21], 4, v[17:18]
	v_add_nc_u32_e32 v17, 8, v17
	v_add_co_u32 v24, vcc_lo, s2, v20
	v_add_co_ci_u32_e64 v25, null, s3, v21, vcc_lo
	s_waitcnt vmcnt(0)
	v_subrev_nc_u32_e32 v16, s8, v16
	v_lshlrev_b32_e32 v22, 1, v16
	v_lshlrev_b64 v[22:23], 4, v[22:23]
	v_add_co_u32 v32, vcc_lo, s4, v22
	v_add_co_ci_u32_e64 v33, null, s5, v23, vcc_lo
	v_cmp_ge_i32_e32 vcc_lo, v15, v19
	s_clause 0x1
	global_load_dwordx4 v[20:23], v[24:25], off offset:16
	global_load_dwordx4 v[24:27], v[24:25], off
	s_clause 0x1
	global_load_dwordx4 v[28:31], v[32:33], off
	global_load_dwordx4 v[32:35], v[32:33], off offset:16
	s_or_b32 s10, vcc_lo, s10
	s_waitcnt vmcnt(1)
	v_fma_f64 v[13:14], v[24:25], v[28:29], v[13:14]
	v_fma_f64 v[11:12], v[26:27], v[28:29], v[11:12]
	v_fma_f64 v[13:14], -v[26:27], v[30:31], v[13:14]
	v_fma_f64 v[11:12], v[24:25], v[30:31], v[11:12]
	s_waitcnt vmcnt(0)
	v_fma_f64 v[13:14], v[20:21], v[32:33], v[13:14]
	v_fma_f64 v[11:12], v[22:23], v[32:33], v[11:12]
	v_fma_f64 v[13:14], -v[22:23], v[34:35], v[13:14]
	v_fma_f64 v[11:12], v[20:21], v[34:35], v[11:12]
	s_andn2_b32 exec_lo, exec_lo, s10
	s_cbranch_execnz .LBB228_6
; %bb.7:
	s_or_b32 exec_lo, exec_lo, s10
.LBB228_8:
	s_or_b32 exec_lo, exec_lo, s9
	v_mbcnt_lo_u32_b32 v19, -1, 0
	v_xor_b32_e32 v15, 2, v19
	v_cmp_gt_i32_e32 vcc_lo, 32, v15
	v_cndmask_b32_e32 v15, v19, v15, vcc_lo
	v_lshlrev_b32_e32 v18, 2, v15
	ds_bpermute_b32 v15, v18, v13
	ds_bpermute_b32 v16, v18, v14
	;; [unrolled: 1-line block ×4, first 2 shown]
	s_waitcnt lgkmcnt(2)
	v_add_f64 v[13:14], v[13:14], v[15:16]
	v_xor_b32_e32 v15, 1, v19
	s_waitcnt lgkmcnt(0)
	v_add_f64 v[11:12], v[11:12], v[17:18]
	v_cmp_gt_i32_e32 vcc_lo, 32, v15
	v_cndmask_b32_e32 v15, v19, v15, vcc_lo
	v_cmp_eq_u32_e32 vcc_lo, 3, v0
	v_lshlrev_b32_e32 v18, 2, v15
	ds_bpermute_b32 v15, v18, v13
	ds_bpermute_b32 v16, v18, v14
	;; [unrolled: 1-line block ×4, first 2 shown]
	s_and_b32 exec_lo, exec_lo, vcc_lo
	s_cbranch_execz .LBB228_13
; %bb.9:
	s_waitcnt lgkmcnt(0)
	v_add_f64 v[11:12], v[11:12], v[17:18]
	v_add_f64 v[13:14], v[13:14], v[15:16]
	v_cmp_eq_f64_e32 vcc_lo, 0, v[1:2]
	v_cmp_eq_f64_e64 s0, 0, v[3:4]
	v_lshlrev_b64 v[9:10], 4, v[9:10]
	v_mul_f64 v[15:16], v[11:12], -v[7:8]
	v_mul_f64 v[11:12], v[5:6], v[11:12]
	s_and_b32 s0, vcc_lo, s0
	v_fma_f64 v[5:6], v[5:6], v[13:14], v[15:16]
	v_fma_f64 v[7:8], v[7:8], v[13:14], v[11:12]
	s_and_saveexec_b32 s1, s0
	s_xor_b32 s0, exec_lo, s1
	s_cbranch_execz .LBB228_11
; %bb.10:
	v_add_co_u32 v0, vcc_lo, s6, v9
	v_add_co_ci_u32_e64 v1, null, s7, v10, vcc_lo
                                        ; implicit-def: $vgpr9_vgpr10
	global_store_dwordx4 v[0:1], v[5:8], off
                                        ; implicit-def: $vgpr1_vgpr2
                                        ; implicit-def: $vgpr5_vgpr6
.LBB228_11:
	s_andn2_saveexec_b32 s0, s0
	s_cbranch_execz .LBB228_13
; %bb.12:
	v_add_co_u32 v13, vcc_lo, s6, v9
	v_add_co_ci_u32_e64 v14, null, s7, v10, vcc_lo
	global_load_dwordx4 v[9:12], v[13:14], off
	s_waitcnt vmcnt(0)
	v_fma_f64 v[5:6], v[1:2], v[9:10], v[5:6]
	v_fma_f64 v[7:8], v[3:4], v[9:10], v[7:8]
	v_fma_f64 v[3:4], -v[3:4], v[11:12], v[5:6]
	v_fma_f64 v[5:6], v[1:2], v[11:12], v[7:8]
	global_store_dwordx4 v[13:14], v[3:6], off
.LBB228_13:
	s_endpgm
	.section	.rodata,"a",@progbits
	.p2align	6, 0x0
	.amdhsa_kernel _ZN9rocsparseL19gebsrmvn_1xn_kernelILj128ELj2ELj4E21rocsparse_complex_numIdEEEvi20rocsparse_direction_NS_24const_host_device_scalarIT2_EEPKiS8_PKS5_SA_S6_PS5_21rocsparse_index_base_b
		.amdhsa_group_segment_fixed_size 0
		.amdhsa_private_segment_fixed_size 0
		.amdhsa_kernarg_size 88
		.amdhsa_user_sgpr_count 6
		.amdhsa_user_sgpr_private_segment_buffer 1
		.amdhsa_user_sgpr_dispatch_ptr 0
		.amdhsa_user_sgpr_queue_ptr 0
		.amdhsa_user_sgpr_kernarg_segment_ptr 1
		.amdhsa_user_sgpr_dispatch_id 0
		.amdhsa_user_sgpr_flat_scratch_init 0
		.amdhsa_user_sgpr_private_segment_size 0
		.amdhsa_wavefront_size32 1
		.amdhsa_uses_dynamic_stack 0
		.amdhsa_system_sgpr_private_segment_wavefront_offset 0
		.amdhsa_system_sgpr_workgroup_id_x 1
		.amdhsa_system_sgpr_workgroup_id_y 0
		.amdhsa_system_sgpr_workgroup_id_z 0
		.amdhsa_system_sgpr_workgroup_info 0
		.amdhsa_system_vgpr_workitem_id 0
		.amdhsa_next_free_vgpr 36
		.amdhsa_next_free_sgpr 13
		.amdhsa_reserve_vcc 1
		.amdhsa_reserve_flat_scratch 0
		.amdhsa_float_round_mode_32 0
		.amdhsa_float_round_mode_16_64 0
		.amdhsa_float_denorm_mode_32 3
		.amdhsa_float_denorm_mode_16_64 3
		.amdhsa_dx10_clamp 1
		.amdhsa_ieee_mode 1
		.amdhsa_fp16_overflow 0
		.amdhsa_workgroup_processor_mode 1
		.amdhsa_memory_ordered 1
		.amdhsa_forward_progress 1
		.amdhsa_shared_vgpr_count 0
		.amdhsa_exception_fp_ieee_invalid_op 0
		.amdhsa_exception_fp_denorm_src 0
		.amdhsa_exception_fp_ieee_div_zero 0
		.amdhsa_exception_fp_ieee_overflow 0
		.amdhsa_exception_fp_ieee_underflow 0
		.amdhsa_exception_fp_ieee_inexact 0
		.amdhsa_exception_int_div_zero 0
	.end_amdhsa_kernel
	.section	.text._ZN9rocsparseL19gebsrmvn_1xn_kernelILj128ELj2ELj4E21rocsparse_complex_numIdEEEvi20rocsparse_direction_NS_24const_host_device_scalarIT2_EEPKiS8_PKS5_SA_S6_PS5_21rocsparse_index_base_b,"axG",@progbits,_ZN9rocsparseL19gebsrmvn_1xn_kernelILj128ELj2ELj4E21rocsparse_complex_numIdEEEvi20rocsparse_direction_NS_24const_host_device_scalarIT2_EEPKiS8_PKS5_SA_S6_PS5_21rocsparse_index_base_b,comdat
.Lfunc_end228:
	.size	_ZN9rocsparseL19gebsrmvn_1xn_kernelILj128ELj2ELj4E21rocsparse_complex_numIdEEEvi20rocsparse_direction_NS_24const_host_device_scalarIT2_EEPKiS8_PKS5_SA_S6_PS5_21rocsparse_index_base_b, .Lfunc_end228-_ZN9rocsparseL19gebsrmvn_1xn_kernelILj128ELj2ELj4E21rocsparse_complex_numIdEEEvi20rocsparse_direction_NS_24const_host_device_scalarIT2_EEPKiS8_PKS5_SA_S6_PS5_21rocsparse_index_base_b
                                        ; -- End function
	.set _ZN9rocsparseL19gebsrmvn_1xn_kernelILj128ELj2ELj4E21rocsparse_complex_numIdEEEvi20rocsparse_direction_NS_24const_host_device_scalarIT2_EEPKiS8_PKS5_SA_S6_PS5_21rocsparse_index_base_b.num_vgpr, 36
	.set _ZN9rocsparseL19gebsrmvn_1xn_kernelILj128ELj2ELj4E21rocsparse_complex_numIdEEEvi20rocsparse_direction_NS_24const_host_device_scalarIT2_EEPKiS8_PKS5_SA_S6_PS5_21rocsparse_index_base_b.num_agpr, 0
	.set _ZN9rocsparseL19gebsrmvn_1xn_kernelILj128ELj2ELj4E21rocsparse_complex_numIdEEEvi20rocsparse_direction_NS_24const_host_device_scalarIT2_EEPKiS8_PKS5_SA_S6_PS5_21rocsparse_index_base_b.numbered_sgpr, 13
	.set _ZN9rocsparseL19gebsrmvn_1xn_kernelILj128ELj2ELj4E21rocsparse_complex_numIdEEEvi20rocsparse_direction_NS_24const_host_device_scalarIT2_EEPKiS8_PKS5_SA_S6_PS5_21rocsparse_index_base_b.num_named_barrier, 0
	.set _ZN9rocsparseL19gebsrmvn_1xn_kernelILj128ELj2ELj4E21rocsparse_complex_numIdEEEvi20rocsparse_direction_NS_24const_host_device_scalarIT2_EEPKiS8_PKS5_SA_S6_PS5_21rocsparse_index_base_b.private_seg_size, 0
	.set _ZN9rocsparseL19gebsrmvn_1xn_kernelILj128ELj2ELj4E21rocsparse_complex_numIdEEEvi20rocsparse_direction_NS_24const_host_device_scalarIT2_EEPKiS8_PKS5_SA_S6_PS5_21rocsparse_index_base_b.uses_vcc, 1
	.set _ZN9rocsparseL19gebsrmvn_1xn_kernelILj128ELj2ELj4E21rocsparse_complex_numIdEEEvi20rocsparse_direction_NS_24const_host_device_scalarIT2_EEPKiS8_PKS5_SA_S6_PS5_21rocsparse_index_base_b.uses_flat_scratch, 0
	.set _ZN9rocsparseL19gebsrmvn_1xn_kernelILj128ELj2ELj4E21rocsparse_complex_numIdEEEvi20rocsparse_direction_NS_24const_host_device_scalarIT2_EEPKiS8_PKS5_SA_S6_PS5_21rocsparse_index_base_b.has_dyn_sized_stack, 0
	.set _ZN9rocsparseL19gebsrmvn_1xn_kernelILj128ELj2ELj4E21rocsparse_complex_numIdEEEvi20rocsparse_direction_NS_24const_host_device_scalarIT2_EEPKiS8_PKS5_SA_S6_PS5_21rocsparse_index_base_b.has_recursion, 0
	.set _ZN9rocsparseL19gebsrmvn_1xn_kernelILj128ELj2ELj4E21rocsparse_complex_numIdEEEvi20rocsparse_direction_NS_24const_host_device_scalarIT2_EEPKiS8_PKS5_SA_S6_PS5_21rocsparse_index_base_b.has_indirect_call, 0
	.section	.AMDGPU.csdata,"",@progbits
; Kernel info:
; codeLenInByte = 944
; TotalNumSgprs: 15
; NumVgprs: 36
; ScratchSize: 0
; MemoryBound: 0
; FloatMode: 240
; IeeeMode: 1
; LDSByteSize: 0 bytes/workgroup (compile time only)
; SGPRBlocks: 0
; VGPRBlocks: 4
; NumSGPRsForWavesPerEU: 15
; NumVGPRsForWavesPerEU: 36
; Occupancy: 16
; WaveLimiterHint : 1
; COMPUTE_PGM_RSRC2:SCRATCH_EN: 0
; COMPUTE_PGM_RSRC2:USER_SGPR: 6
; COMPUTE_PGM_RSRC2:TRAP_HANDLER: 0
; COMPUTE_PGM_RSRC2:TGID_X_EN: 1
; COMPUTE_PGM_RSRC2:TGID_Y_EN: 0
; COMPUTE_PGM_RSRC2:TGID_Z_EN: 0
; COMPUTE_PGM_RSRC2:TIDIG_COMP_CNT: 0
	.section	.text._ZN9rocsparseL19gebsrmvn_1xn_kernelILj128ELj2ELj8E21rocsparse_complex_numIdEEEvi20rocsparse_direction_NS_24const_host_device_scalarIT2_EEPKiS8_PKS5_SA_S6_PS5_21rocsparse_index_base_b,"axG",@progbits,_ZN9rocsparseL19gebsrmvn_1xn_kernelILj128ELj2ELj8E21rocsparse_complex_numIdEEEvi20rocsparse_direction_NS_24const_host_device_scalarIT2_EEPKiS8_PKS5_SA_S6_PS5_21rocsparse_index_base_b,comdat
	.globl	_ZN9rocsparseL19gebsrmvn_1xn_kernelILj128ELj2ELj8E21rocsparse_complex_numIdEEEvi20rocsparse_direction_NS_24const_host_device_scalarIT2_EEPKiS8_PKS5_SA_S6_PS5_21rocsparse_index_base_b ; -- Begin function _ZN9rocsparseL19gebsrmvn_1xn_kernelILj128ELj2ELj8E21rocsparse_complex_numIdEEEvi20rocsparse_direction_NS_24const_host_device_scalarIT2_EEPKiS8_PKS5_SA_S6_PS5_21rocsparse_index_base_b
	.p2align	8
	.type	_ZN9rocsparseL19gebsrmvn_1xn_kernelILj128ELj2ELj8E21rocsparse_complex_numIdEEEvi20rocsparse_direction_NS_24const_host_device_scalarIT2_EEPKiS8_PKS5_SA_S6_PS5_21rocsparse_index_base_b,@function
_ZN9rocsparseL19gebsrmvn_1xn_kernelILj128ELj2ELj8E21rocsparse_complex_numIdEEEvi20rocsparse_direction_NS_24const_host_device_scalarIT2_EEPKiS8_PKS5_SA_S6_PS5_21rocsparse_index_base_b: ; @_ZN9rocsparseL19gebsrmvn_1xn_kernelILj128ELj2ELj8E21rocsparse_complex_numIdEEEvi20rocsparse_direction_NS_24const_host_device_scalarIT2_EEPKiS8_PKS5_SA_S6_PS5_21rocsparse_index_base_b
; %bb.0:
	s_clause 0x1
	s_load_dwordx2 s[8:9], s[4:5], 0x50
	s_load_dwordx2 s[0:1], s[4:5], 0x8
	s_add_u32 s7, s4, 8
	s_addc_u32 s10, s5, 0
	s_add_u32 s11, s4, 56
	s_addc_u32 s12, s5, 0
	s_load_dwordx2 s[2:3], s[4:5], 0x38
	s_waitcnt lgkmcnt(0)
	s_bitcmp1_b32 s9, 0
	s_cselect_b32 s0, s7, s0
	s_cselect_b32 s1, s10, s1
	v_mov_b32_e32 v1, s0
	v_mov_b32_e32 v2, s1
	s_cselect_b32 s0, s11, s2
	s_cselect_b32 s1, s12, s3
	flat_load_dwordx4 v[5:8], v[1:2]
	v_mov_b32_e32 v1, s0
	v_mov_b32_e32 v2, s1
	flat_load_dwordx4 v[1:4], v[1:2]
	s_waitcnt vmcnt(1) lgkmcnt(1)
	v_cmp_eq_f64_e32 vcc_lo, 0, v[5:6]
	v_cmp_eq_f64_e64 s0, 0, v[7:8]
	s_and_b32 s2, vcc_lo, s0
	s_mov_b32 s0, -1
	s_and_saveexec_b32 s1, s2
	s_cbranch_execz .LBB229_2
; %bb.1:
	s_waitcnt vmcnt(0) lgkmcnt(0)
	v_cmp_neq_f64_e32 vcc_lo, 1.0, v[1:2]
	v_cmp_neq_f64_e64 s0, 0, v[3:4]
	s_or_b32 s0, vcc_lo, s0
	s_orn2_b32 s0, s0, exec_lo
.LBB229_2:
	s_or_b32 exec_lo, exec_lo, s1
	s_and_saveexec_b32 s1, s0
	s_cbranch_execz .LBB229_13
; %bb.3:
	s_load_dword s0, s[4:5], 0x0
	v_lshrrev_b32_e32 v9, 3, v0
	v_lshl_or_b32 v9, s6, 4, v9
	s_waitcnt lgkmcnt(0)
	v_cmp_gt_i32_e32 vcc_lo, s0, v9
	s_and_b32 exec_lo, exec_lo, vcc_lo
	s_cbranch_execz .LBB229_13
; %bb.4:
	s_clause 0x1
	s_load_dwordx2 s[0:1], s[4:5], 0x18
	s_load_dwordx2 s[6:7], s[4:5], 0x48
	v_ashrrev_i32_e32 v10, 31, v9
	v_and_b32_e32 v0, 7, v0
	s_mov_b32 s9, exec_lo
	v_lshlrev_b64 v[11:12], 2, v[9:10]
	v_subrev_nc_u32_e32 v13, s8, v0
	s_waitcnt lgkmcnt(0)
	v_add_co_u32 v11, vcc_lo, s0, v11
	v_add_co_ci_u32_e64 v12, null, s1, v12, vcc_lo
	global_load_dwordx2 v[11:12], v[11:12], off
	s_waitcnt vmcnt(0)
	v_subrev_nc_u32_e32 v19, s8, v12
	v_add_nc_u32_e32 v15, v11, v13
	v_mov_b32_e32 v11, 0
	v_mov_b32_e32 v13, 0
	;; [unrolled: 1-line block ×4, first 2 shown]
	v_cmpx_lt_i32_e64 v15, v19
	s_cbranch_execz .LBB229_8
; %bb.5:
	s_clause 0x1
	s_load_dwordx4 s[0:3], s[4:5], 0x20
	s_load_dwordx2 s[4:5], s[4:5], 0x30
	v_mov_b32_e32 v11, 0
	v_mov_b32_e32 v13, 0
	v_lshlrev_b32_e32 v17, 1, v15
	v_mov_b32_e32 v12, 0
	v_mov_b32_e32 v14, 0
	;; [unrolled: 1-line block ×3, first 2 shown]
	s_mov_b32 s10, 0
.LBB229_6:                              ; =>This Inner Loop Header: Depth=1
	v_ashrrev_i32_e32 v16, 31, v15
	v_mov_b32_e32 v23, v18
	v_lshlrev_b64 v[20:21], 2, v[15:16]
	v_add_nc_u32_e32 v15, 8, v15
	s_waitcnt lgkmcnt(0)
	v_add_co_u32 v20, vcc_lo, s0, v20
	v_add_co_ci_u32_e64 v21, null, s1, v21, vcc_lo
	global_load_dword v16, v[20:21], off
	v_lshlrev_b64 v[20:21], 4, v[17:18]
	v_add_nc_u32_e32 v17, 16, v17
	v_add_co_u32 v24, vcc_lo, s2, v20
	v_add_co_ci_u32_e64 v25, null, s3, v21, vcc_lo
	s_waitcnt vmcnt(0)
	v_subrev_nc_u32_e32 v16, s8, v16
	v_lshlrev_b32_e32 v22, 1, v16
	v_lshlrev_b64 v[22:23], 4, v[22:23]
	v_add_co_u32 v32, vcc_lo, s4, v22
	v_add_co_ci_u32_e64 v33, null, s5, v23, vcc_lo
	v_cmp_ge_i32_e32 vcc_lo, v15, v19
	s_clause 0x1
	global_load_dwordx4 v[20:23], v[24:25], off offset:16
	global_load_dwordx4 v[24:27], v[24:25], off
	s_clause 0x1
	global_load_dwordx4 v[28:31], v[32:33], off
	global_load_dwordx4 v[32:35], v[32:33], off offset:16
	s_or_b32 s10, vcc_lo, s10
	s_waitcnt vmcnt(1)
	v_fma_f64 v[13:14], v[24:25], v[28:29], v[13:14]
	v_fma_f64 v[11:12], v[26:27], v[28:29], v[11:12]
	v_fma_f64 v[13:14], -v[26:27], v[30:31], v[13:14]
	v_fma_f64 v[11:12], v[24:25], v[30:31], v[11:12]
	s_waitcnt vmcnt(0)
	v_fma_f64 v[13:14], v[20:21], v[32:33], v[13:14]
	v_fma_f64 v[11:12], v[22:23], v[32:33], v[11:12]
	v_fma_f64 v[13:14], -v[22:23], v[34:35], v[13:14]
	v_fma_f64 v[11:12], v[20:21], v[34:35], v[11:12]
	s_andn2_b32 exec_lo, exec_lo, s10
	s_cbranch_execnz .LBB229_6
; %bb.7:
	s_or_b32 exec_lo, exec_lo, s10
.LBB229_8:
	s_or_b32 exec_lo, exec_lo, s9
	v_mbcnt_lo_u32_b32 v19, -1, 0
	v_xor_b32_e32 v15, 4, v19
	v_cmp_gt_i32_e32 vcc_lo, 32, v15
	v_cndmask_b32_e32 v15, v19, v15, vcc_lo
	v_lshlrev_b32_e32 v18, 2, v15
	ds_bpermute_b32 v15, v18, v13
	ds_bpermute_b32 v16, v18, v14
	;; [unrolled: 1-line block ×4, first 2 shown]
	s_waitcnt lgkmcnt(2)
	v_add_f64 v[13:14], v[13:14], v[15:16]
	s_waitcnt lgkmcnt(0)
	v_add_f64 v[15:16], v[11:12], v[17:18]
	v_xor_b32_e32 v11, 2, v19
	v_cmp_gt_i32_e32 vcc_lo, 32, v11
	v_cndmask_b32_e32 v11, v19, v11, vcc_lo
	v_lshlrev_b32_e32 v18, 2, v11
	ds_bpermute_b32 v11, v18, v13
	ds_bpermute_b32 v12, v18, v14
	;; [unrolled: 1-line block ×4, first 2 shown]
	s_waitcnt lgkmcnt(2)
	v_add_f64 v[11:12], v[13:14], v[11:12]
	s_waitcnt lgkmcnt(0)
	v_add_f64 v[13:14], v[15:16], v[17:18]
	v_xor_b32_e32 v15, 1, v19
	v_cmp_gt_i32_e32 vcc_lo, 32, v15
	v_cndmask_b32_e32 v15, v19, v15, vcc_lo
	v_cmp_eq_u32_e32 vcc_lo, 7, v0
	v_lshlrev_b32_e32 v18, 2, v15
	ds_bpermute_b32 v15, v18, v11
	ds_bpermute_b32 v16, v18, v12
	;; [unrolled: 1-line block ×4, first 2 shown]
	s_and_b32 exec_lo, exec_lo, vcc_lo
	s_cbranch_execz .LBB229_13
; %bb.9:
	s_waitcnt lgkmcnt(0)
	v_add_f64 v[13:14], v[13:14], v[17:18]
	v_add_f64 v[11:12], v[11:12], v[15:16]
	v_cmp_eq_f64_e32 vcc_lo, 0, v[1:2]
	v_cmp_eq_f64_e64 s0, 0, v[3:4]
	v_lshlrev_b64 v[9:10], 4, v[9:10]
	v_mul_f64 v[15:16], v[13:14], -v[7:8]
	v_mul_f64 v[13:14], v[5:6], v[13:14]
	s_and_b32 s0, vcc_lo, s0
	v_fma_f64 v[5:6], v[5:6], v[11:12], v[15:16]
	v_fma_f64 v[7:8], v[7:8], v[11:12], v[13:14]
	s_and_saveexec_b32 s1, s0
	s_xor_b32 s0, exec_lo, s1
	s_cbranch_execz .LBB229_11
; %bb.10:
	v_add_co_u32 v0, vcc_lo, s6, v9
	v_add_co_ci_u32_e64 v1, null, s7, v10, vcc_lo
                                        ; implicit-def: $vgpr9_vgpr10
	global_store_dwordx4 v[0:1], v[5:8], off
                                        ; implicit-def: $vgpr1_vgpr2
                                        ; implicit-def: $vgpr5_vgpr6
.LBB229_11:
	s_andn2_saveexec_b32 s0, s0
	s_cbranch_execz .LBB229_13
; %bb.12:
	v_add_co_u32 v13, vcc_lo, s6, v9
	v_add_co_ci_u32_e64 v14, null, s7, v10, vcc_lo
	global_load_dwordx4 v[9:12], v[13:14], off
	s_waitcnt vmcnt(0)
	v_fma_f64 v[5:6], v[1:2], v[9:10], v[5:6]
	v_fma_f64 v[7:8], v[3:4], v[9:10], v[7:8]
	v_fma_f64 v[3:4], -v[3:4], v[11:12], v[5:6]
	v_fma_f64 v[5:6], v[1:2], v[11:12], v[7:8]
	global_store_dwordx4 v[13:14], v[3:6], off
.LBB229_13:
	s_endpgm
	.section	.rodata,"a",@progbits
	.p2align	6, 0x0
	.amdhsa_kernel _ZN9rocsparseL19gebsrmvn_1xn_kernelILj128ELj2ELj8E21rocsparse_complex_numIdEEEvi20rocsparse_direction_NS_24const_host_device_scalarIT2_EEPKiS8_PKS5_SA_S6_PS5_21rocsparse_index_base_b
		.amdhsa_group_segment_fixed_size 0
		.amdhsa_private_segment_fixed_size 0
		.amdhsa_kernarg_size 88
		.amdhsa_user_sgpr_count 6
		.amdhsa_user_sgpr_private_segment_buffer 1
		.amdhsa_user_sgpr_dispatch_ptr 0
		.amdhsa_user_sgpr_queue_ptr 0
		.amdhsa_user_sgpr_kernarg_segment_ptr 1
		.amdhsa_user_sgpr_dispatch_id 0
		.amdhsa_user_sgpr_flat_scratch_init 0
		.amdhsa_user_sgpr_private_segment_size 0
		.amdhsa_wavefront_size32 1
		.amdhsa_uses_dynamic_stack 0
		.amdhsa_system_sgpr_private_segment_wavefront_offset 0
		.amdhsa_system_sgpr_workgroup_id_x 1
		.amdhsa_system_sgpr_workgroup_id_y 0
		.amdhsa_system_sgpr_workgroup_id_z 0
		.amdhsa_system_sgpr_workgroup_info 0
		.amdhsa_system_vgpr_workitem_id 0
		.amdhsa_next_free_vgpr 36
		.amdhsa_next_free_sgpr 13
		.amdhsa_reserve_vcc 1
		.amdhsa_reserve_flat_scratch 0
		.amdhsa_float_round_mode_32 0
		.amdhsa_float_round_mode_16_64 0
		.amdhsa_float_denorm_mode_32 3
		.amdhsa_float_denorm_mode_16_64 3
		.amdhsa_dx10_clamp 1
		.amdhsa_ieee_mode 1
		.amdhsa_fp16_overflow 0
		.amdhsa_workgroup_processor_mode 1
		.amdhsa_memory_ordered 1
		.amdhsa_forward_progress 1
		.amdhsa_shared_vgpr_count 0
		.amdhsa_exception_fp_ieee_invalid_op 0
		.amdhsa_exception_fp_denorm_src 0
		.amdhsa_exception_fp_ieee_div_zero 0
		.amdhsa_exception_fp_ieee_overflow 0
		.amdhsa_exception_fp_ieee_underflow 0
		.amdhsa_exception_fp_ieee_inexact 0
		.amdhsa_exception_int_div_zero 0
	.end_amdhsa_kernel
	.section	.text._ZN9rocsparseL19gebsrmvn_1xn_kernelILj128ELj2ELj8E21rocsparse_complex_numIdEEEvi20rocsparse_direction_NS_24const_host_device_scalarIT2_EEPKiS8_PKS5_SA_S6_PS5_21rocsparse_index_base_b,"axG",@progbits,_ZN9rocsparseL19gebsrmvn_1xn_kernelILj128ELj2ELj8E21rocsparse_complex_numIdEEEvi20rocsparse_direction_NS_24const_host_device_scalarIT2_EEPKiS8_PKS5_SA_S6_PS5_21rocsparse_index_base_b,comdat
.Lfunc_end229:
	.size	_ZN9rocsparseL19gebsrmvn_1xn_kernelILj128ELj2ELj8E21rocsparse_complex_numIdEEEvi20rocsparse_direction_NS_24const_host_device_scalarIT2_EEPKiS8_PKS5_SA_S6_PS5_21rocsparse_index_base_b, .Lfunc_end229-_ZN9rocsparseL19gebsrmvn_1xn_kernelILj128ELj2ELj8E21rocsparse_complex_numIdEEEvi20rocsparse_direction_NS_24const_host_device_scalarIT2_EEPKiS8_PKS5_SA_S6_PS5_21rocsparse_index_base_b
                                        ; -- End function
	.set _ZN9rocsparseL19gebsrmvn_1xn_kernelILj128ELj2ELj8E21rocsparse_complex_numIdEEEvi20rocsparse_direction_NS_24const_host_device_scalarIT2_EEPKiS8_PKS5_SA_S6_PS5_21rocsparse_index_base_b.num_vgpr, 36
	.set _ZN9rocsparseL19gebsrmvn_1xn_kernelILj128ELj2ELj8E21rocsparse_complex_numIdEEEvi20rocsparse_direction_NS_24const_host_device_scalarIT2_EEPKiS8_PKS5_SA_S6_PS5_21rocsparse_index_base_b.num_agpr, 0
	.set _ZN9rocsparseL19gebsrmvn_1xn_kernelILj128ELj2ELj8E21rocsparse_complex_numIdEEEvi20rocsparse_direction_NS_24const_host_device_scalarIT2_EEPKiS8_PKS5_SA_S6_PS5_21rocsparse_index_base_b.numbered_sgpr, 13
	.set _ZN9rocsparseL19gebsrmvn_1xn_kernelILj128ELj2ELj8E21rocsparse_complex_numIdEEEvi20rocsparse_direction_NS_24const_host_device_scalarIT2_EEPKiS8_PKS5_SA_S6_PS5_21rocsparse_index_base_b.num_named_barrier, 0
	.set _ZN9rocsparseL19gebsrmvn_1xn_kernelILj128ELj2ELj8E21rocsparse_complex_numIdEEEvi20rocsparse_direction_NS_24const_host_device_scalarIT2_EEPKiS8_PKS5_SA_S6_PS5_21rocsparse_index_base_b.private_seg_size, 0
	.set _ZN9rocsparseL19gebsrmvn_1xn_kernelILj128ELj2ELj8E21rocsparse_complex_numIdEEEvi20rocsparse_direction_NS_24const_host_device_scalarIT2_EEPKiS8_PKS5_SA_S6_PS5_21rocsparse_index_base_b.uses_vcc, 1
	.set _ZN9rocsparseL19gebsrmvn_1xn_kernelILj128ELj2ELj8E21rocsparse_complex_numIdEEEvi20rocsparse_direction_NS_24const_host_device_scalarIT2_EEPKiS8_PKS5_SA_S6_PS5_21rocsparse_index_base_b.uses_flat_scratch, 0
	.set _ZN9rocsparseL19gebsrmvn_1xn_kernelILj128ELj2ELj8E21rocsparse_complex_numIdEEEvi20rocsparse_direction_NS_24const_host_device_scalarIT2_EEPKiS8_PKS5_SA_S6_PS5_21rocsparse_index_base_b.has_dyn_sized_stack, 0
	.set _ZN9rocsparseL19gebsrmvn_1xn_kernelILj128ELj2ELj8E21rocsparse_complex_numIdEEEvi20rocsparse_direction_NS_24const_host_device_scalarIT2_EEPKiS8_PKS5_SA_S6_PS5_21rocsparse_index_base_b.has_recursion, 0
	.set _ZN9rocsparseL19gebsrmvn_1xn_kernelILj128ELj2ELj8E21rocsparse_complex_numIdEEEvi20rocsparse_direction_NS_24const_host_device_scalarIT2_EEPKiS8_PKS5_SA_S6_PS5_21rocsparse_index_base_b.has_indirect_call, 0
	.section	.AMDGPU.csdata,"",@progbits
; Kernel info:
; codeLenInByte = 1016
; TotalNumSgprs: 15
; NumVgprs: 36
; ScratchSize: 0
; MemoryBound: 0
; FloatMode: 240
; IeeeMode: 1
; LDSByteSize: 0 bytes/workgroup (compile time only)
; SGPRBlocks: 0
; VGPRBlocks: 4
; NumSGPRsForWavesPerEU: 15
; NumVGPRsForWavesPerEU: 36
; Occupancy: 16
; WaveLimiterHint : 1
; COMPUTE_PGM_RSRC2:SCRATCH_EN: 0
; COMPUTE_PGM_RSRC2:USER_SGPR: 6
; COMPUTE_PGM_RSRC2:TRAP_HANDLER: 0
; COMPUTE_PGM_RSRC2:TGID_X_EN: 1
; COMPUTE_PGM_RSRC2:TGID_Y_EN: 0
; COMPUTE_PGM_RSRC2:TGID_Z_EN: 0
; COMPUTE_PGM_RSRC2:TIDIG_COMP_CNT: 0
	.section	.text._ZN9rocsparseL19gebsrmvn_1xn_kernelILj128ELj2ELj16E21rocsparse_complex_numIdEEEvi20rocsparse_direction_NS_24const_host_device_scalarIT2_EEPKiS8_PKS5_SA_S6_PS5_21rocsparse_index_base_b,"axG",@progbits,_ZN9rocsparseL19gebsrmvn_1xn_kernelILj128ELj2ELj16E21rocsparse_complex_numIdEEEvi20rocsparse_direction_NS_24const_host_device_scalarIT2_EEPKiS8_PKS5_SA_S6_PS5_21rocsparse_index_base_b,comdat
	.globl	_ZN9rocsparseL19gebsrmvn_1xn_kernelILj128ELj2ELj16E21rocsparse_complex_numIdEEEvi20rocsparse_direction_NS_24const_host_device_scalarIT2_EEPKiS8_PKS5_SA_S6_PS5_21rocsparse_index_base_b ; -- Begin function _ZN9rocsparseL19gebsrmvn_1xn_kernelILj128ELj2ELj16E21rocsparse_complex_numIdEEEvi20rocsparse_direction_NS_24const_host_device_scalarIT2_EEPKiS8_PKS5_SA_S6_PS5_21rocsparse_index_base_b
	.p2align	8
	.type	_ZN9rocsparseL19gebsrmvn_1xn_kernelILj128ELj2ELj16E21rocsparse_complex_numIdEEEvi20rocsparse_direction_NS_24const_host_device_scalarIT2_EEPKiS8_PKS5_SA_S6_PS5_21rocsparse_index_base_b,@function
_ZN9rocsparseL19gebsrmvn_1xn_kernelILj128ELj2ELj16E21rocsparse_complex_numIdEEEvi20rocsparse_direction_NS_24const_host_device_scalarIT2_EEPKiS8_PKS5_SA_S6_PS5_21rocsparse_index_base_b: ; @_ZN9rocsparseL19gebsrmvn_1xn_kernelILj128ELj2ELj16E21rocsparse_complex_numIdEEEvi20rocsparse_direction_NS_24const_host_device_scalarIT2_EEPKiS8_PKS5_SA_S6_PS5_21rocsparse_index_base_b
; %bb.0:
	s_clause 0x1
	s_load_dwordx2 s[8:9], s[4:5], 0x50
	s_load_dwordx2 s[0:1], s[4:5], 0x8
	s_add_u32 s7, s4, 8
	s_addc_u32 s10, s5, 0
	s_add_u32 s11, s4, 56
	s_addc_u32 s12, s5, 0
	s_load_dwordx2 s[2:3], s[4:5], 0x38
	s_waitcnt lgkmcnt(0)
	s_bitcmp1_b32 s9, 0
	s_cselect_b32 s0, s7, s0
	s_cselect_b32 s1, s10, s1
	v_mov_b32_e32 v1, s0
	v_mov_b32_e32 v2, s1
	s_cselect_b32 s0, s11, s2
	s_cselect_b32 s1, s12, s3
	flat_load_dwordx4 v[5:8], v[1:2]
	v_mov_b32_e32 v1, s0
	v_mov_b32_e32 v2, s1
	flat_load_dwordx4 v[1:4], v[1:2]
	s_waitcnt vmcnt(1) lgkmcnt(1)
	v_cmp_eq_f64_e32 vcc_lo, 0, v[5:6]
	v_cmp_eq_f64_e64 s0, 0, v[7:8]
	s_and_b32 s2, vcc_lo, s0
	s_mov_b32 s0, -1
	s_and_saveexec_b32 s1, s2
	s_cbranch_execz .LBB230_2
; %bb.1:
	s_waitcnt vmcnt(0) lgkmcnt(0)
	v_cmp_neq_f64_e32 vcc_lo, 1.0, v[1:2]
	v_cmp_neq_f64_e64 s0, 0, v[3:4]
	s_or_b32 s0, vcc_lo, s0
	s_orn2_b32 s0, s0, exec_lo
.LBB230_2:
	s_or_b32 exec_lo, exec_lo, s1
	s_and_saveexec_b32 s1, s0
	s_cbranch_execz .LBB230_13
; %bb.3:
	s_load_dword s0, s[4:5], 0x0
	v_lshrrev_b32_e32 v9, 4, v0
	v_lshl_or_b32 v9, s6, 3, v9
	s_waitcnt lgkmcnt(0)
	v_cmp_gt_i32_e32 vcc_lo, s0, v9
	s_and_b32 exec_lo, exec_lo, vcc_lo
	s_cbranch_execz .LBB230_13
; %bb.4:
	s_clause 0x1
	s_load_dwordx2 s[0:1], s[4:5], 0x18
	s_load_dwordx2 s[6:7], s[4:5], 0x48
	v_ashrrev_i32_e32 v10, 31, v9
	v_and_b32_e32 v0, 15, v0
	s_mov_b32 s9, exec_lo
	v_lshlrev_b64 v[11:12], 2, v[9:10]
	v_subrev_nc_u32_e32 v13, s8, v0
	s_waitcnt lgkmcnt(0)
	v_add_co_u32 v11, vcc_lo, s0, v11
	v_add_co_ci_u32_e64 v12, null, s1, v12, vcc_lo
	global_load_dwordx2 v[11:12], v[11:12], off
	s_waitcnt vmcnt(0)
	v_subrev_nc_u32_e32 v19, s8, v12
	v_add_nc_u32_e32 v15, v11, v13
	v_mov_b32_e32 v11, 0
	v_mov_b32_e32 v13, 0
	;; [unrolled: 1-line block ×4, first 2 shown]
	v_cmpx_lt_i32_e64 v15, v19
	s_cbranch_execz .LBB230_8
; %bb.5:
	s_clause 0x1
	s_load_dwordx4 s[0:3], s[4:5], 0x20
	s_load_dwordx2 s[4:5], s[4:5], 0x30
	v_mov_b32_e32 v11, 0
	v_mov_b32_e32 v13, 0
	v_lshlrev_b32_e32 v17, 1, v15
	v_mov_b32_e32 v12, 0
	v_mov_b32_e32 v14, 0
	;; [unrolled: 1-line block ×3, first 2 shown]
	s_mov_b32 s10, 0
.LBB230_6:                              ; =>This Inner Loop Header: Depth=1
	v_ashrrev_i32_e32 v16, 31, v15
	v_mov_b32_e32 v23, v18
	v_lshlrev_b64 v[20:21], 2, v[15:16]
	v_add_nc_u32_e32 v15, 16, v15
	s_waitcnt lgkmcnt(0)
	v_add_co_u32 v20, vcc_lo, s0, v20
	v_add_co_ci_u32_e64 v21, null, s1, v21, vcc_lo
	global_load_dword v16, v[20:21], off
	v_lshlrev_b64 v[20:21], 4, v[17:18]
	v_add_nc_u32_e32 v17, 32, v17
	v_add_co_u32 v24, vcc_lo, s2, v20
	v_add_co_ci_u32_e64 v25, null, s3, v21, vcc_lo
	s_waitcnt vmcnt(0)
	v_subrev_nc_u32_e32 v16, s8, v16
	v_lshlrev_b32_e32 v22, 1, v16
	v_lshlrev_b64 v[22:23], 4, v[22:23]
	v_add_co_u32 v32, vcc_lo, s4, v22
	v_add_co_ci_u32_e64 v33, null, s5, v23, vcc_lo
	v_cmp_ge_i32_e32 vcc_lo, v15, v19
	s_clause 0x1
	global_load_dwordx4 v[20:23], v[24:25], off offset:16
	global_load_dwordx4 v[24:27], v[24:25], off
	s_clause 0x1
	global_load_dwordx4 v[28:31], v[32:33], off
	global_load_dwordx4 v[32:35], v[32:33], off offset:16
	s_or_b32 s10, vcc_lo, s10
	s_waitcnt vmcnt(1)
	v_fma_f64 v[13:14], v[24:25], v[28:29], v[13:14]
	v_fma_f64 v[11:12], v[26:27], v[28:29], v[11:12]
	v_fma_f64 v[13:14], -v[26:27], v[30:31], v[13:14]
	v_fma_f64 v[11:12], v[24:25], v[30:31], v[11:12]
	s_waitcnt vmcnt(0)
	v_fma_f64 v[13:14], v[20:21], v[32:33], v[13:14]
	v_fma_f64 v[11:12], v[22:23], v[32:33], v[11:12]
	v_fma_f64 v[13:14], -v[22:23], v[34:35], v[13:14]
	v_fma_f64 v[11:12], v[20:21], v[34:35], v[11:12]
	s_andn2_b32 exec_lo, exec_lo, s10
	s_cbranch_execnz .LBB230_6
; %bb.7:
	s_or_b32 exec_lo, exec_lo, s10
.LBB230_8:
	s_or_b32 exec_lo, exec_lo, s9
	v_mbcnt_lo_u32_b32 v19, -1, 0
	v_xor_b32_e32 v15, 8, v19
	v_cmp_gt_i32_e32 vcc_lo, 32, v15
	v_cndmask_b32_e32 v15, v19, v15, vcc_lo
	v_lshlrev_b32_e32 v18, 2, v15
	ds_bpermute_b32 v15, v18, v13
	ds_bpermute_b32 v16, v18, v14
	;; [unrolled: 1-line block ×4, first 2 shown]
	s_waitcnt lgkmcnt(2)
	v_add_f64 v[13:14], v[13:14], v[15:16]
	v_xor_b32_e32 v15, 4, v19
	s_waitcnt lgkmcnt(0)
	v_add_f64 v[11:12], v[11:12], v[17:18]
	v_cmp_gt_i32_e32 vcc_lo, 32, v15
	v_cndmask_b32_e32 v15, v19, v15, vcc_lo
	v_lshlrev_b32_e32 v18, 2, v15
	ds_bpermute_b32 v15, v18, v13
	ds_bpermute_b32 v16, v18, v14
	;; [unrolled: 1-line block ×4, first 2 shown]
	s_waitcnt lgkmcnt(2)
	v_add_f64 v[13:14], v[13:14], v[15:16]
	s_waitcnt lgkmcnt(0)
	v_add_f64 v[15:16], v[11:12], v[17:18]
	v_xor_b32_e32 v11, 2, v19
	v_cmp_gt_i32_e32 vcc_lo, 32, v11
	v_cndmask_b32_e32 v11, v19, v11, vcc_lo
	v_lshlrev_b32_e32 v18, 2, v11
	ds_bpermute_b32 v11, v18, v13
	ds_bpermute_b32 v12, v18, v14
	ds_bpermute_b32 v17, v18, v15
	ds_bpermute_b32 v18, v18, v16
	s_waitcnt lgkmcnt(2)
	v_add_f64 v[11:12], v[13:14], v[11:12]
	s_waitcnt lgkmcnt(0)
	v_add_f64 v[13:14], v[15:16], v[17:18]
	v_xor_b32_e32 v15, 1, v19
	v_cmp_gt_i32_e32 vcc_lo, 32, v15
	v_cndmask_b32_e32 v15, v19, v15, vcc_lo
	v_cmp_eq_u32_e32 vcc_lo, 15, v0
	v_lshlrev_b32_e32 v18, 2, v15
	ds_bpermute_b32 v15, v18, v11
	ds_bpermute_b32 v16, v18, v12
	;; [unrolled: 1-line block ×4, first 2 shown]
	s_and_b32 exec_lo, exec_lo, vcc_lo
	s_cbranch_execz .LBB230_13
; %bb.9:
	s_waitcnt lgkmcnt(0)
	v_add_f64 v[13:14], v[13:14], v[17:18]
	v_add_f64 v[11:12], v[11:12], v[15:16]
	v_cmp_eq_f64_e32 vcc_lo, 0, v[1:2]
	v_cmp_eq_f64_e64 s0, 0, v[3:4]
	v_lshlrev_b64 v[9:10], 4, v[9:10]
	v_mul_f64 v[15:16], v[13:14], -v[7:8]
	v_mul_f64 v[13:14], v[5:6], v[13:14]
	s_and_b32 s0, vcc_lo, s0
	v_fma_f64 v[5:6], v[5:6], v[11:12], v[15:16]
	v_fma_f64 v[7:8], v[7:8], v[11:12], v[13:14]
	s_and_saveexec_b32 s1, s0
	s_xor_b32 s0, exec_lo, s1
	s_cbranch_execz .LBB230_11
; %bb.10:
	v_add_co_u32 v0, vcc_lo, s6, v9
	v_add_co_ci_u32_e64 v1, null, s7, v10, vcc_lo
                                        ; implicit-def: $vgpr9_vgpr10
	global_store_dwordx4 v[0:1], v[5:8], off
                                        ; implicit-def: $vgpr1_vgpr2
                                        ; implicit-def: $vgpr5_vgpr6
.LBB230_11:
	s_andn2_saveexec_b32 s0, s0
	s_cbranch_execz .LBB230_13
; %bb.12:
	v_add_co_u32 v13, vcc_lo, s6, v9
	v_add_co_ci_u32_e64 v14, null, s7, v10, vcc_lo
	global_load_dwordx4 v[9:12], v[13:14], off
	s_waitcnt vmcnt(0)
	v_fma_f64 v[5:6], v[1:2], v[9:10], v[5:6]
	v_fma_f64 v[7:8], v[3:4], v[9:10], v[7:8]
	v_fma_f64 v[3:4], -v[3:4], v[11:12], v[5:6]
	v_fma_f64 v[5:6], v[1:2], v[11:12], v[7:8]
	global_store_dwordx4 v[13:14], v[3:6], off
.LBB230_13:
	s_endpgm
	.section	.rodata,"a",@progbits
	.p2align	6, 0x0
	.amdhsa_kernel _ZN9rocsparseL19gebsrmvn_1xn_kernelILj128ELj2ELj16E21rocsparse_complex_numIdEEEvi20rocsparse_direction_NS_24const_host_device_scalarIT2_EEPKiS8_PKS5_SA_S6_PS5_21rocsparse_index_base_b
		.amdhsa_group_segment_fixed_size 0
		.amdhsa_private_segment_fixed_size 0
		.amdhsa_kernarg_size 88
		.amdhsa_user_sgpr_count 6
		.amdhsa_user_sgpr_private_segment_buffer 1
		.amdhsa_user_sgpr_dispatch_ptr 0
		.amdhsa_user_sgpr_queue_ptr 0
		.amdhsa_user_sgpr_kernarg_segment_ptr 1
		.amdhsa_user_sgpr_dispatch_id 0
		.amdhsa_user_sgpr_flat_scratch_init 0
		.amdhsa_user_sgpr_private_segment_size 0
		.amdhsa_wavefront_size32 1
		.amdhsa_uses_dynamic_stack 0
		.amdhsa_system_sgpr_private_segment_wavefront_offset 0
		.amdhsa_system_sgpr_workgroup_id_x 1
		.amdhsa_system_sgpr_workgroup_id_y 0
		.amdhsa_system_sgpr_workgroup_id_z 0
		.amdhsa_system_sgpr_workgroup_info 0
		.amdhsa_system_vgpr_workitem_id 0
		.amdhsa_next_free_vgpr 36
		.amdhsa_next_free_sgpr 13
		.amdhsa_reserve_vcc 1
		.amdhsa_reserve_flat_scratch 0
		.amdhsa_float_round_mode_32 0
		.amdhsa_float_round_mode_16_64 0
		.amdhsa_float_denorm_mode_32 3
		.amdhsa_float_denorm_mode_16_64 3
		.amdhsa_dx10_clamp 1
		.amdhsa_ieee_mode 1
		.amdhsa_fp16_overflow 0
		.amdhsa_workgroup_processor_mode 1
		.amdhsa_memory_ordered 1
		.amdhsa_forward_progress 1
		.amdhsa_shared_vgpr_count 0
		.amdhsa_exception_fp_ieee_invalid_op 0
		.amdhsa_exception_fp_denorm_src 0
		.amdhsa_exception_fp_ieee_div_zero 0
		.amdhsa_exception_fp_ieee_overflow 0
		.amdhsa_exception_fp_ieee_underflow 0
		.amdhsa_exception_fp_ieee_inexact 0
		.amdhsa_exception_int_div_zero 0
	.end_amdhsa_kernel
	.section	.text._ZN9rocsparseL19gebsrmvn_1xn_kernelILj128ELj2ELj16E21rocsparse_complex_numIdEEEvi20rocsparse_direction_NS_24const_host_device_scalarIT2_EEPKiS8_PKS5_SA_S6_PS5_21rocsparse_index_base_b,"axG",@progbits,_ZN9rocsparseL19gebsrmvn_1xn_kernelILj128ELj2ELj16E21rocsparse_complex_numIdEEEvi20rocsparse_direction_NS_24const_host_device_scalarIT2_EEPKiS8_PKS5_SA_S6_PS5_21rocsparse_index_base_b,comdat
.Lfunc_end230:
	.size	_ZN9rocsparseL19gebsrmvn_1xn_kernelILj128ELj2ELj16E21rocsparse_complex_numIdEEEvi20rocsparse_direction_NS_24const_host_device_scalarIT2_EEPKiS8_PKS5_SA_S6_PS5_21rocsparse_index_base_b, .Lfunc_end230-_ZN9rocsparseL19gebsrmvn_1xn_kernelILj128ELj2ELj16E21rocsparse_complex_numIdEEEvi20rocsparse_direction_NS_24const_host_device_scalarIT2_EEPKiS8_PKS5_SA_S6_PS5_21rocsparse_index_base_b
                                        ; -- End function
	.set _ZN9rocsparseL19gebsrmvn_1xn_kernelILj128ELj2ELj16E21rocsparse_complex_numIdEEEvi20rocsparse_direction_NS_24const_host_device_scalarIT2_EEPKiS8_PKS5_SA_S6_PS5_21rocsparse_index_base_b.num_vgpr, 36
	.set _ZN9rocsparseL19gebsrmvn_1xn_kernelILj128ELj2ELj16E21rocsparse_complex_numIdEEEvi20rocsparse_direction_NS_24const_host_device_scalarIT2_EEPKiS8_PKS5_SA_S6_PS5_21rocsparse_index_base_b.num_agpr, 0
	.set _ZN9rocsparseL19gebsrmvn_1xn_kernelILj128ELj2ELj16E21rocsparse_complex_numIdEEEvi20rocsparse_direction_NS_24const_host_device_scalarIT2_EEPKiS8_PKS5_SA_S6_PS5_21rocsparse_index_base_b.numbered_sgpr, 13
	.set _ZN9rocsparseL19gebsrmvn_1xn_kernelILj128ELj2ELj16E21rocsparse_complex_numIdEEEvi20rocsparse_direction_NS_24const_host_device_scalarIT2_EEPKiS8_PKS5_SA_S6_PS5_21rocsparse_index_base_b.num_named_barrier, 0
	.set _ZN9rocsparseL19gebsrmvn_1xn_kernelILj128ELj2ELj16E21rocsparse_complex_numIdEEEvi20rocsparse_direction_NS_24const_host_device_scalarIT2_EEPKiS8_PKS5_SA_S6_PS5_21rocsparse_index_base_b.private_seg_size, 0
	.set _ZN9rocsparseL19gebsrmvn_1xn_kernelILj128ELj2ELj16E21rocsparse_complex_numIdEEEvi20rocsparse_direction_NS_24const_host_device_scalarIT2_EEPKiS8_PKS5_SA_S6_PS5_21rocsparse_index_base_b.uses_vcc, 1
	.set _ZN9rocsparseL19gebsrmvn_1xn_kernelILj128ELj2ELj16E21rocsparse_complex_numIdEEEvi20rocsparse_direction_NS_24const_host_device_scalarIT2_EEPKiS8_PKS5_SA_S6_PS5_21rocsparse_index_base_b.uses_flat_scratch, 0
	.set _ZN9rocsparseL19gebsrmvn_1xn_kernelILj128ELj2ELj16E21rocsparse_complex_numIdEEEvi20rocsparse_direction_NS_24const_host_device_scalarIT2_EEPKiS8_PKS5_SA_S6_PS5_21rocsparse_index_base_b.has_dyn_sized_stack, 0
	.set _ZN9rocsparseL19gebsrmvn_1xn_kernelILj128ELj2ELj16E21rocsparse_complex_numIdEEEvi20rocsparse_direction_NS_24const_host_device_scalarIT2_EEPKiS8_PKS5_SA_S6_PS5_21rocsparse_index_base_b.has_recursion, 0
	.set _ZN9rocsparseL19gebsrmvn_1xn_kernelILj128ELj2ELj16E21rocsparse_complex_numIdEEEvi20rocsparse_direction_NS_24const_host_device_scalarIT2_EEPKiS8_PKS5_SA_S6_PS5_21rocsparse_index_base_b.has_indirect_call, 0
	.section	.AMDGPU.csdata,"",@progbits
; Kernel info:
; codeLenInByte = 1088
; TotalNumSgprs: 15
; NumVgprs: 36
; ScratchSize: 0
; MemoryBound: 0
; FloatMode: 240
; IeeeMode: 1
; LDSByteSize: 0 bytes/workgroup (compile time only)
; SGPRBlocks: 0
; VGPRBlocks: 4
; NumSGPRsForWavesPerEU: 15
; NumVGPRsForWavesPerEU: 36
; Occupancy: 16
; WaveLimiterHint : 1
; COMPUTE_PGM_RSRC2:SCRATCH_EN: 0
; COMPUTE_PGM_RSRC2:USER_SGPR: 6
; COMPUTE_PGM_RSRC2:TRAP_HANDLER: 0
; COMPUTE_PGM_RSRC2:TGID_X_EN: 1
; COMPUTE_PGM_RSRC2:TGID_Y_EN: 0
; COMPUTE_PGM_RSRC2:TGID_Z_EN: 0
; COMPUTE_PGM_RSRC2:TIDIG_COMP_CNT: 0
	.section	.text._ZN9rocsparseL19gebsrmvn_1xn_kernelILj128ELj2ELj32E21rocsparse_complex_numIdEEEvi20rocsparse_direction_NS_24const_host_device_scalarIT2_EEPKiS8_PKS5_SA_S6_PS5_21rocsparse_index_base_b,"axG",@progbits,_ZN9rocsparseL19gebsrmvn_1xn_kernelILj128ELj2ELj32E21rocsparse_complex_numIdEEEvi20rocsparse_direction_NS_24const_host_device_scalarIT2_EEPKiS8_PKS5_SA_S6_PS5_21rocsparse_index_base_b,comdat
	.globl	_ZN9rocsparseL19gebsrmvn_1xn_kernelILj128ELj2ELj32E21rocsparse_complex_numIdEEEvi20rocsparse_direction_NS_24const_host_device_scalarIT2_EEPKiS8_PKS5_SA_S6_PS5_21rocsparse_index_base_b ; -- Begin function _ZN9rocsparseL19gebsrmvn_1xn_kernelILj128ELj2ELj32E21rocsparse_complex_numIdEEEvi20rocsparse_direction_NS_24const_host_device_scalarIT2_EEPKiS8_PKS5_SA_S6_PS5_21rocsparse_index_base_b
	.p2align	8
	.type	_ZN9rocsparseL19gebsrmvn_1xn_kernelILj128ELj2ELj32E21rocsparse_complex_numIdEEEvi20rocsparse_direction_NS_24const_host_device_scalarIT2_EEPKiS8_PKS5_SA_S6_PS5_21rocsparse_index_base_b,@function
_ZN9rocsparseL19gebsrmvn_1xn_kernelILj128ELj2ELj32E21rocsparse_complex_numIdEEEvi20rocsparse_direction_NS_24const_host_device_scalarIT2_EEPKiS8_PKS5_SA_S6_PS5_21rocsparse_index_base_b: ; @_ZN9rocsparseL19gebsrmvn_1xn_kernelILj128ELj2ELj32E21rocsparse_complex_numIdEEEvi20rocsparse_direction_NS_24const_host_device_scalarIT2_EEPKiS8_PKS5_SA_S6_PS5_21rocsparse_index_base_b
; %bb.0:
	s_clause 0x1
	s_load_dwordx2 s[8:9], s[4:5], 0x50
	s_load_dwordx2 s[0:1], s[4:5], 0x8
	s_add_u32 s7, s4, 8
	s_addc_u32 s10, s5, 0
	s_add_u32 s11, s4, 56
	s_addc_u32 s12, s5, 0
	s_load_dwordx2 s[2:3], s[4:5], 0x38
	s_waitcnt lgkmcnt(0)
	s_bitcmp1_b32 s9, 0
	s_cselect_b32 s0, s7, s0
	s_cselect_b32 s1, s10, s1
	v_mov_b32_e32 v1, s0
	v_mov_b32_e32 v2, s1
	s_cselect_b32 s0, s11, s2
	s_cselect_b32 s1, s12, s3
	flat_load_dwordx4 v[5:8], v[1:2]
	v_mov_b32_e32 v1, s0
	v_mov_b32_e32 v2, s1
	flat_load_dwordx4 v[1:4], v[1:2]
	s_waitcnt vmcnt(1) lgkmcnt(1)
	v_cmp_eq_f64_e32 vcc_lo, 0, v[5:6]
	v_cmp_eq_f64_e64 s0, 0, v[7:8]
	s_and_b32 s2, vcc_lo, s0
	s_mov_b32 s0, -1
	s_and_saveexec_b32 s1, s2
	s_cbranch_execz .LBB231_2
; %bb.1:
	s_waitcnt vmcnt(0) lgkmcnt(0)
	v_cmp_neq_f64_e32 vcc_lo, 1.0, v[1:2]
	v_cmp_neq_f64_e64 s0, 0, v[3:4]
	s_or_b32 s0, vcc_lo, s0
	s_orn2_b32 s0, s0, exec_lo
.LBB231_2:
	s_or_b32 exec_lo, exec_lo, s1
	s_and_saveexec_b32 s1, s0
	s_cbranch_execz .LBB231_13
; %bb.3:
	s_load_dword s0, s[4:5], 0x0
	v_lshrrev_b32_e32 v9, 5, v0
	v_lshl_or_b32 v9, s6, 2, v9
	s_waitcnt lgkmcnt(0)
	v_cmp_gt_i32_e32 vcc_lo, s0, v9
	s_and_b32 exec_lo, exec_lo, vcc_lo
	s_cbranch_execz .LBB231_13
; %bb.4:
	s_clause 0x1
	s_load_dwordx2 s[0:1], s[4:5], 0x18
	s_load_dwordx2 s[6:7], s[4:5], 0x48
	v_ashrrev_i32_e32 v10, 31, v9
	v_and_b32_e32 v0, 31, v0
	s_mov_b32 s9, exec_lo
	v_lshlrev_b64 v[11:12], 2, v[9:10]
	v_subrev_nc_u32_e32 v13, s8, v0
	s_waitcnt lgkmcnt(0)
	v_add_co_u32 v11, vcc_lo, s0, v11
	v_add_co_ci_u32_e64 v12, null, s1, v12, vcc_lo
	global_load_dwordx2 v[11:12], v[11:12], off
	s_waitcnt vmcnt(0)
	v_subrev_nc_u32_e32 v19, s8, v12
	v_add_nc_u32_e32 v15, v11, v13
	v_mov_b32_e32 v11, 0
	v_mov_b32_e32 v13, 0
	;; [unrolled: 1-line block ×4, first 2 shown]
	v_cmpx_lt_i32_e64 v15, v19
	s_cbranch_execz .LBB231_8
; %bb.5:
	s_clause 0x1
	s_load_dwordx4 s[0:3], s[4:5], 0x20
	s_load_dwordx2 s[4:5], s[4:5], 0x30
	v_mov_b32_e32 v11, 0
	v_mov_b32_e32 v13, 0
	v_lshlrev_b32_e32 v17, 1, v15
	v_mov_b32_e32 v12, 0
	v_mov_b32_e32 v14, 0
	;; [unrolled: 1-line block ×3, first 2 shown]
	s_mov_b32 s10, 0
.LBB231_6:                              ; =>This Inner Loop Header: Depth=1
	v_ashrrev_i32_e32 v16, 31, v15
	v_mov_b32_e32 v23, v18
	v_lshlrev_b64 v[20:21], 2, v[15:16]
	v_add_nc_u32_e32 v15, 32, v15
	s_waitcnt lgkmcnt(0)
	v_add_co_u32 v20, vcc_lo, s0, v20
	v_add_co_ci_u32_e64 v21, null, s1, v21, vcc_lo
	global_load_dword v16, v[20:21], off
	v_lshlrev_b64 v[20:21], 4, v[17:18]
	v_add_nc_u32_e32 v17, 64, v17
	v_add_co_u32 v24, vcc_lo, s2, v20
	v_add_co_ci_u32_e64 v25, null, s3, v21, vcc_lo
	s_waitcnt vmcnt(0)
	v_subrev_nc_u32_e32 v16, s8, v16
	v_lshlrev_b32_e32 v22, 1, v16
	v_lshlrev_b64 v[22:23], 4, v[22:23]
	v_add_co_u32 v32, vcc_lo, s4, v22
	v_add_co_ci_u32_e64 v33, null, s5, v23, vcc_lo
	v_cmp_ge_i32_e32 vcc_lo, v15, v19
	s_clause 0x1
	global_load_dwordx4 v[20:23], v[24:25], off offset:16
	global_load_dwordx4 v[24:27], v[24:25], off
	s_clause 0x1
	global_load_dwordx4 v[28:31], v[32:33], off
	global_load_dwordx4 v[32:35], v[32:33], off offset:16
	s_or_b32 s10, vcc_lo, s10
	s_waitcnt vmcnt(1)
	v_fma_f64 v[13:14], v[24:25], v[28:29], v[13:14]
	v_fma_f64 v[11:12], v[26:27], v[28:29], v[11:12]
	v_fma_f64 v[13:14], -v[26:27], v[30:31], v[13:14]
	v_fma_f64 v[11:12], v[24:25], v[30:31], v[11:12]
	s_waitcnt vmcnt(0)
	v_fma_f64 v[13:14], v[20:21], v[32:33], v[13:14]
	v_fma_f64 v[11:12], v[22:23], v[32:33], v[11:12]
	v_fma_f64 v[13:14], -v[22:23], v[34:35], v[13:14]
	v_fma_f64 v[11:12], v[20:21], v[34:35], v[11:12]
	s_andn2_b32 exec_lo, exec_lo, s10
	s_cbranch_execnz .LBB231_6
; %bb.7:
	s_or_b32 exec_lo, exec_lo, s10
.LBB231_8:
	s_or_b32 exec_lo, exec_lo, s9
	v_mbcnt_lo_u32_b32 v19, -1, 0
	v_xor_b32_e32 v15, 16, v19
	v_cmp_gt_i32_e32 vcc_lo, 32, v15
	v_cndmask_b32_e32 v15, v19, v15, vcc_lo
	v_lshlrev_b32_e32 v18, 2, v15
	ds_bpermute_b32 v15, v18, v13
	ds_bpermute_b32 v16, v18, v14
	;; [unrolled: 1-line block ×4, first 2 shown]
	s_waitcnt lgkmcnt(2)
	v_add_f64 v[13:14], v[13:14], v[15:16]
	v_xor_b32_e32 v15, 8, v19
	s_waitcnt lgkmcnt(0)
	v_add_f64 v[11:12], v[11:12], v[17:18]
	v_cmp_gt_i32_e32 vcc_lo, 32, v15
	v_cndmask_b32_e32 v15, v19, v15, vcc_lo
	v_lshlrev_b32_e32 v18, 2, v15
	ds_bpermute_b32 v15, v18, v13
	ds_bpermute_b32 v16, v18, v14
	;; [unrolled: 1-line block ×4, first 2 shown]
	s_waitcnt lgkmcnt(2)
	v_add_f64 v[13:14], v[13:14], v[15:16]
	v_xor_b32_e32 v15, 4, v19
	s_waitcnt lgkmcnt(0)
	v_add_f64 v[11:12], v[11:12], v[17:18]
	v_cmp_gt_i32_e32 vcc_lo, 32, v15
	v_cndmask_b32_e32 v15, v19, v15, vcc_lo
	v_lshlrev_b32_e32 v18, 2, v15
	ds_bpermute_b32 v15, v18, v13
	ds_bpermute_b32 v16, v18, v14
	;; [unrolled: 1-line block ×4, first 2 shown]
	s_waitcnt lgkmcnt(2)
	v_add_f64 v[13:14], v[13:14], v[15:16]
	s_waitcnt lgkmcnt(0)
	v_add_f64 v[15:16], v[11:12], v[17:18]
	v_xor_b32_e32 v11, 2, v19
	v_cmp_gt_i32_e32 vcc_lo, 32, v11
	v_cndmask_b32_e32 v11, v19, v11, vcc_lo
	v_lshlrev_b32_e32 v18, 2, v11
	ds_bpermute_b32 v11, v18, v13
	ds_bpermute_b32 v12, v18, v14
	;; [unrolled: 1-line block ×4, first 2 shown]
	s_waitcnt lgkmcnt(2)
	v_add_f64 v[11:12], v[13:14], v[11:12]
	s_waitcnt lgkmcnt(0)
	v_add_f64 v[13:14], v[15:16], v[17:18]
	v_xor_b32_e32 v15, 1, v19
	v_cmp_gt_i32_e32 vcc_lo, 32, v15
	v_cndmask_b32_e32 v15, v19, v15, vcc_lo
	v_cmp_eq_u32_e32 vcc_lo, 31, v0
	v_lshlrev_b32_e32 v18, 2, v15
	ds_bpermute_b32 v15, v18, v11
	ds_bpermute_b32 v16, v18, v12
	ds_bpermute_b32 v17, v18, v13
	ds_bpermute_b32 v18, v18, v14
	s_and_b32 exec_lo, exec_lo, vcc_lo
	s_cbranch_execz .LBB231_13
; %bb.9:
	s_waitcnt lgkmcnt(0)
	v_add_f64 v[13:14], v[13:14], v[17:18]
	v_add_f64 v[11:12], v[11:12], v[15:16]
	v_cmp_eq_f64_e32 vcc_lo, 0, v[1:2]
	v_cmp_eq_f64_e64 s0, 0, v[3:4]
	v_lshlrev_b64 v[9:10], 4, v[9:10]
	v_mul_f64 v[15:16], v[13:14], -v[7:8]
	v_mul_f64 v[13:14], v[5:6], v[13:14]
	s_and_b32 s0, vcc_lo, s0
	v_fma_f64 v[5:6], v[5:6], v[11:12], v[15:16]
	v_fma_f64 v[7:8], v[7:8], v[11:12], v[13:14]
	s_and_saveexec_b32 s1, s0
	s_xor_b32 s0, exec_lo, s1
	s_cbranch_execz .LBB231_11
; %bb.10:
	v_add_co_u32 v0, vcc_lo, s6, v9
	v_add_co_ci_u32_e64 v1, null, s7, v10, vcc_lo
                                        ; implicit-def: $vgpr9_vgpr10
	global_store_dwordx4 v[0:1], v[5:8], off
                                        ; implicit-def: $vgpr1_vgpr2
                                        ; implicit-def: $vgpr5_vgpr6
.LBB231_11:
	s_andn2_saveexec_b32 s0, s0
	s_cbranch_execz .LBB231_13
; %bb.12:
	v_add_co_u32 v13, vcc_lo, s6, v9
	v_add_co_ci_u32_e64 v14, null, s7, v10, vcc_lo
	global_load_dwordx4 v[9:12], v[13:14], off
	s_waitcnt vmcnt(0)
	v_fma_f64 v[5:6], v[1:2], v[9:10], v[5:6]
	v_fma_f64 v[7:8], v[3:4], v[9:10], v[7:8]
	v_fma_f64 v[3:4], -v[3:4], v[11:12], v[5:6]
	v_fma_f64 v[5:6], v[1:2], v[11:12], v[7:8]
	global_store_dwordx4 v[13:14], v[3:6], off
.LBB231_13:
	s_endpgm
	.section	.rodata,"a",@progbits
	.p2align	6, 0x0
	.amdhsa_kernel _ZN9rocsparseL19gebsrmvn_1xn_kernelILj128ELj2ELj32E21rocsparse_complex_numIdEEEvi20rocsparse_direction_NS_24const_host_device_scalarIT2_EEPKiS8_PKS5_SA_S6_PS5_21rocsparse_index_base_b
		.amdhsa_group_segment_fixed_size 0
		.amdhsa_private_segment_fixed_size 0
		.amdhsa_kernarg_size 88
		.amdhsa_user_sgpr_count 6
		.amdhsa_user_sgpr_private_segment_buffer 1
		.amdhsa_user_sgpr_dispatch_ptr 0
		.amdhsa_user_sgpr_queue_ptr 0
		.amdhsa_user_sgpr_kernarg_segment_ptr 1
		.amdhsa_user_sgpr_dispatch_id 0
		.amdhsa_user_sgpr_flat_scratch_init 0
		.amdhsa_user_sgpr_private_segment_size 0
		.amdhsa_wavefront_size32 1
		.amdhsa_uses_dynamic_stack 0
		.amdhsa_system_sgpr_private_segment_wavefront_offset 0
		.amdhsa_system_sgpr_workgroup_id_x 1
		.amdhsa_system_sgpr_workgroup_id_y 0
		.amdhsa_system_sgpr_workgroup_id_z 0
		.amdhsa_system_sgpr_workgroup_info 0
		.amdhsa_system_vgpr_workitem_id 0
		.amdhsa_next_free_vgpr 36
		.amdhsa_next_free_sgpr 13
		.amdhsa_reserve_vcc 1
		.amdhsa_reserve_flat_scratch 0
		.amdhsa_float_round_mode_32 0
		.amdhsa_float_round_mode_16_64 0
		.amdhsa_float_denorm_mode_32 3
		.amdhsa_float_denorm_mode_16_64 3
		.amdhsa_dx10_clamp 1
		.amdhsa_ieee_mode 1
		.amdhsa_fp16_overflow 0
		.amdhsa_workgroup_processor_mode 1
		.amdhsa_memory_ordered 1
		.amdhsa_forward_progress 1
		.amdhsa_shared_vgpr_count 0
		.amdhsa_exception_fp_ieee_invalid_op 0
		.amdhsa_exception_fp_denorm_src 0
		.amdhsa_exception_fp_ieee_div_zero 0
		.amdhsa_exception_fp_ieee_overflow 0
		.amdhsa_exception_fp_ieee_underflow 0
		.amdhsa_exception_fp_ieee_inexact 0
		.amdhsa_exception_int_div_zero 0
	.end_amdhsa_kernel
	.section	.text._ZN9rocsparseL19gebsrmvn_1xn_kernelILj128ELj2ELj32E21rocsparse_complex_numIdEEEvi20rocsparse_direction_NS_24const_host_device_scalarIT2_EEPKiS8_PKS5_SA_S6_PS5_21rocsparse_index_base_b,"axG",@progbits,_ZN9rocsparseL19gebsrmvn_1xn_kernelILj128ELj2ELj32E21rocsparse_complex_numIdEEEvi20rocsparse_direction_NS_24const_host_device_scalarIT2_EEPKiS8_PKS5_SA_S6_PS5_21rocsparse_index_base_b,comdat
.Lfunc_end231:
	.size	_ZN9rocsparseL19gebsrmvn_1xn_kernelILj128ELj2ELj32E21rocsparse_complex_numIdEEEvi20rocsparse_direction_NS_24const_host_device_scalarIT2_EEPKiS8_PKS5_SA_S6_PS5_21rocsparse_index_base_b, .Lfunc_end231-_ZN9rocsparseL19gebsrmvn_1xn_kernelILj128ELj2ELj32E21rocsparse_complex_numIdEEEvi20rocsparse_direction_NS_24const_host_device_scalarIT2_EEPKiS8_PKS5_SA_S6_PS5_21rocsparse_index_base_b
                                        ; -- End function
	.set _ZN9rocsparseL19gebsrmvn_1xn_kernelILj128ELj2ELj32E21rocsparse_complex_numIdEEEvi20rocsparse_direction_NS_24const_host_device_scalarIT2_EEPKiS8_PKS5_SA_S6_PS5_21rocsparse_index_base_b.num_vgpr, 36
	.set _ZN9rocsparseL19gebsrmvn_1xn_kernelILj128ELj2ELj32E21rocsparse_complex_numIdEEEvi20rocsparse_direction_NS_24const_host_device_scalarIT2_EEPKiS8_PKS5_SA_S6_PS5_21rocsparse_index_base_b.num_agpr, 0
	.set _ZN9rocsparseL19gebsrmvn_1xn_kernelILj128ELj2ELj32E21rocsparse_complex_numIdEEEvi20rocsparse_direction_NS_24const_host_device_scalarIT2_EEPKiS8_PKS5_SA_S6_PS5_21rocsparse_index_base_b.numbered_sgpr, 13
	.set _ZN9rocsparseL19gebsrmvn_1xn_kernelILj128ELj2ELj32E21rocsparse_complex_numIdEEEvi20rocsparse_direction_NS_24const_host_device_scalarIT2_EEPKiS8_PKS5_SA_S6_PS5_21rocsparse_index_base_b.num_named_barrier, 0
	.set _ZN9rocsparseL19gebsrmvn_1xn_kernelILj128ELj2ELj32E21rocsparse_complex_numIdEEEvi20rocsparse_direction_NS_24const_host_device_scalarIT2_EEPKiS8_PKS5_SA_S6_PS5_21rocsparse_index_base_b.private_seg_size, 0
	.set _ZN9rocsparseL19gebsrmvn_1xn_kernelILj128ELj2ELj32E21rocsparse_complex_numIdEEEvi20rocsparse_direction_NS_24const_host_device_scalarIT2_EEPKiS8_PKS5_SA_S6_PS5_21rocsparse_index_base_b.uses_vcc, 1
	.set _ZN9rocsparseL19gebsrmvn_1xn_kernelILj128ELj2ELj32E21rocsparse_complex_numIdEEEvi20rocsparse_direction_NS_24const_host_device_scalarIT2_EEPKiS8_PKS5_SA_S6_PS5_21rocsparse_index_base_b.uses_flat_scratch, 0
	.set _ZN9rocsparseL19gebsrmvn_1xn_kernelILj128ELj2ELj32E21rocsparse_complex_numIdEEEvi20rocsparse_direction_NS_24const_host_device_scalarIT2_EEPKiS8_PKS5_SA_S6_PS5_21rocsparse_index_base_b.has_dyn_sized_stack, 0
	.set _ZN9rocsparseL19gebsrmvn_1xn_kernelILj128ELj2ELj32E21rocsparse_complex_numIdEEEvi20rocsparse_direction_NS_24const_host_device_scalarIT2_EEPKiS8_PKS5_SA_S6_PS5_21rocsparse_index_base_b.has_recursion, 0
	.set _ZN9rocsparseL19gebsrmvn_1xn_kernelILj128ELj2ELj32E21rocsparse_complex_numIdEEEvi20rocsparse_direction_NS_24const_host_device_scalarIT2_EEPKiS8_PKS5_SA_S6_PS5_21rocsparse_index_base_b.has_indirect_call, 0
	.section	.AMDGPU.csdata,"",@progbits
; Kernel info:
; codeLenInByte = 1160
; TotalNumSgprs: 15
; NumVgprs: 36
; ScratchSize: 0
; MemoryBound: 0
; FloatMode: 240
; IeeeMode: 1
; LDSByteSize: 0 bytes/workgroup (compile time only)
; SGPRBlocks: 0
; VGPRBlocks: 4
; NumSGPRsForWavesPerEU: 15
; NumVGPRsForWavesPerEU: 36
; Occupancy: 16
; WaveLimiterHint : 1
; COMPUTE_PGM_RSRC2:SCRATCH_EN: 0
; COMPUTE_PGM_RSRC2:USER_SGPR: 6
; COMPUTE_PGM_RSRC2:TRAP_HANDLER: 0
; COMPUTE_PGM_RSRC2:TGID_X_EN: 1
; COMPUTE_PGM_RSRC2:TGID_Y_EN: 0
; COMPUTE_PGM_RSRC2:TGID_Z_EN: 0
; COMPUTE_PGM_RSRC2:TIDIG_COMP_CNT: 0
	.section	.text._ZN9rocsparseL19gebsrmvn_1xn_kernelILj128ELj2ELj64E21rocsparse_complex_numIdEEEvi20rocsparse_direction_NS_24const_host_device_scalarIT2_EEPKiS8_PKS5_SA_S6_PS5_21rocsparse_index_base_b,"axG",@progbits,_ZN9rocsparseL19gebsrmvn_1xn_kernelILj128ELj2ELj64E21rocsparse_complex_numIdEEEvi20rocsparse_direction_NS_24const_host_device_scalarIT2_EEPKiS8_PKS5_SA_S6_PS5_21rocsparse_index_base_b,comdat
	.globl	_ZN9rocsparseL19gebsrmvn_1xn_kernelILj128ELj2ELj64E21rocsparse_complex_numIdEEEvi20rocsparse_direction_NS_24const_host_device_scalarIT2_EEPKiS8_PKS5_SA_S6_PS5_21rocsparse_index_base_b ; -- Begin function _ZN9rocsparseL19gebsrmvn_1xn_kernelILj128ELj2ELj64E21rocsparse_complex_numIdEEEvi20rocsparse_direction_NS_24const_host_device_scalarIT2_EEPKiS8_PKS5_SA_S6_PS5_21rocsparse_index_base_b
	.p2align	8
	.type	_ZN9rocsparseL19gebsrmvn_1xn_kernelILj128ELj2ELj64E21rocsparse_complex_numIdEEEvi20rocsparse_direction_NS_24const_host_device_scalarIT2_EEPKiS8_PKS5_SA_S6_PS5_21rocsparse_index_base_b,@function
_ZN9rocsparseL19gebsrmvn_1xn_kernelILj128ELj2ELj64E21rocsparse_complex_numIdEEEvi20rocsparse_direction_NS_24const_host_device_scalarIT2_EEPKiS8_PKS5_SA_S6_PS5_21rocsparse_index_base_b: ; @_ZN9rocsparseL19gebsrmvn_1xn_kernelILj128ELj2ELj64E21rocsparse_complex_numIdEEEvi20rocsparse_direction_NS_24const_host_device_scalarIT2_EEPKiS8_PKS5_SA_S6_PS5_21rocsparse_index_base_b
; %bb.0:
	s_clause 0x1
	s_load_dwordx2 s[8:9], s[4:5], 0x50
	s_load_dwordx2 s[0:1], s[4:5], 0x8
	s_add_u32 s7, s4, 8
	s_addc_u32 s10, s5, 0
	s_add_u32 s11, s4, 56
	s_addc_u32 s12, s5, 0
	s_load_dwordx2 s[2:3], s[4:5], 0x38
	s_waitcnt lgkmcnt(0)
	s_bitcmp1_b32 s9, 0
	s_cselect_b32 s0, s7, s0
	s_cselect_b32 s1, s10, s1
	v_mov_b32_e32 v1, s0
	v_mov_b32_e32 v2, s1
	s_cselect_b32 s0, s11, s2
	s_cselect_b32 s1, s12, s3
	flat_load_dwordx4 v[5:8], v[1:2]
	v_mov_b32_e32 v1, s0
	v_mov_b32_e32 v2, s1
	flat_load_dwordx4 v[1:4], v[1:2]
	s_waitcnt vmcnt(1) lgkmcnt(1)
	v_cmp_eq_f64_e32 vcc_lo, 0, v[5:6]
	v_cmp_eq_f64_e64 s0, 0, v[7:8]
	s_and_b32 s2, vcc_lo, s0
	s_mov_b32 s0, -1
	s_and_saveexec_b32 s1, s2
	s_cbranch_execz .LBB232_2
; %bb.1:
	s_waitcnt vmcnt(0) lgkmcnt(0)
	v_cmp_neq_f64_e32 vcc_lo, 1.0, v[1:2]
	v_cmp_neq_f64_e64 s0, 0, v[3:4]
	s_or_b32 s0, vcc_lo, s0
	s_orn2_b32 s0, s0, exec_lo
.LBB232_2:
	s_or_b32 exec_lo, exec_lo, s1
	s_and_saveexec_b32 s1, s0
	s_cbranch_execz .LBB232_13
; %bb.3:
	s_load_dword s0, s[4:5], 0x0
	v_lshrrev_b32_e32 v9, 6, v0
	v_lshl_or_b32 v9, s6, 1, v9
	s_waitcnt lgkmcnt(0)
	v_cmp_gt_i32_e32 vcc_lo, s0, v9
	s_and_b32 exec_lo, exec_lo, vcc_lo
	s_cbranch_execz .LBB232_13
; %bb.4:
	s_clause 0x1
	s_load_dwordx2 s[0:1], s[4:5], 0x18
	s_load_dwordx2 s[6:7], s[4:5], 0x48
	v_ashrrev_i32_e32 v10, 31, v9
	v_and_b32_e32 v0, 63, v0
	s_mov_b32 s9, exec_lo
	v_lshlrev_b64 v[11:12], 2, v[9:10]
	v_subrev_nc_u32_e32 v13, s8, v0
	s_waitcnt lgkmcnt(0)
	v_add_co_u32 v11, vcc_lo, s0, v11
	v_add_co_ci_u32_e64 v12, null, s1, v12, vcc_lo
	global_load_dwordx2 v[11:12], v[11:12], off
	s_waitcnt vmcnt(0)
	v_subrev_nc_u32_e32 v19, s8, v12
	v_add_nc_u32_e32 v15, v11, v13
	v_mov_b32_e32 v11, 0
	v_mov_b32_e32 v13, 0
	;; [unrolled: 1-line block ×4, first 2 shown]
	v_cmpx_lt_i32_e64 v15, v19
	s_cbranch_execz .LBB232_8
; %bb.5:
	s_clause 0x1
	s_load_dwordx4 s[0:3], s[4:5], 0x20
	s_load_dwordx2 s[4:5], s[4:5], 0x30
	v_mov_b32_e32 v11, 0
	v_mov_b32_e32 v13, 0
	v_lshlrev_b32_e32 v17, 1, v15
	v_mov_b32_e32 v12, 0
	v_mov_b32_e32 v14, 0
	;; [unrolled: 1-line block ×3, first 2 shown]
	s_mov_b32 s10, 0
.LBB232_6:                              ; =>This Inner Loop Header: Depth=1
	v_ashrrev_i32_e32 v16, 31, v15
	v_mov_b32_e32 v23, v18
	v_lshlrev_b64 v[20:21], 2, v[15:16]
	v_add_nc_u32_e32 v15, 64, v15
	s_waitcnt lgkmcnt(0)
	v_add_co_u32 v20, vcc_lo, s0, v20
	v_add_co_ci_u32_e64 v21, null, s1, v21, vcc_lo
	global_load_dword v16, v[20:21], off
	v_lshlrev_b64 v[20:21], 4, v[17:18]
	v_add_nc_u32_e32 v17, 0x80, v17
	v_add_co_u32 v24, vcc_lo, s2, v20
	v_add_co_ci_u32_e64 v25, null, s3, v21, vcc_lo
	s_waitcnt vmcnt(0)
	v_subrev_nc_u32_e32 v16, s8, v16
	v_lshlrev_b32_e32 v22, 1, v16
	v_lshlrev_b64 v[22:23], 4, v[22:23]
	v_add_co_u32 v32, vcc_lo, s4, v22
	v_add_co_ci_u32_e64 v33, null, s5, v23, vcc_lo
	v_cmp_ge_i32_e32 vcc_lo, v15, v19
	s_clause 0x1
	global_load_dwordx4 v[20:23], v[24:25], off offset:16
	global_load_dwordx4 v[24:27], v[24:25], off
	s_clause 0x1
	global_load_dwordx4 v[28:31], v[32:33], off
	global_load_dwordx4 v[32:35], v[32:33], off offset:16
	s_or_b32 s10, vcc_lo, s10
	s_waitcnt vmcnt(1)
	v_fma_f64 v[13:14], v[24:25], v[28:29], v[13:14]
	v_fma_f64 v[11:12], v[26:27], v[28:29], v[11:12]
	v_fma_f64 v[13:14], -v[26:27], v[30:31], v[13:14]
	v_fma_f64 v[11:12], v[24:25], v[30:31], v[11:12]
	s_waitcnt vmcnt(0)
	v_fma_f64 v[13:14], v[20:21], v[32:33], v[13:14]
	v_fma_f64 v[11:12], v[22:23], v[32:33], v[11:12]
	v_fma_f64 v[13:14], -v[22:23], v[34:35], v[13:14]
	v_fma_f64 v[11:12], v[20:21], v[34:35], v[11:12]
	s_andn2_b32 exec_lo, exec_lo, s10
	s_cbranch_execnz .LBB232_6
; %bb.7:
	s_or_b32 exec_lo, exec_lo, s10
.LBB232_8:
	s_or_b32 exec_lo, exec_lo, s9
	v_mbcnt_lo_u32_b32 v19, -1, 0
	v_or_b32_e32 v15, 32, v19
	v_cmp_gt_i32_e32 vcc_lo, 32, v15
	v_cndmask_b32_e32 v15, v19, v15, vcc_lo
	v_lshlrev_b32_e32 v18, 2, v15
	ds_bpermute_b32 v15, v18, v13
	ds_bpermute_b32 v16, v18, v14
	ds_bpermute_b32 v17, v18, v11
	ds_bpermute_b32 v18, v18, v12
	s_waitcnt lgkmcnt(2)
	v_add_f64 v[13:14], v[13:14], v[15:16]
	v_xor_b32_e32 v15, 16, v19
	s_waitcnt lgkmcnt(0)
	v_add_f64 v[11:12], v[11:12], v[17:18]
	v_cmp_gt_i32_e32 vcc_lo, 32, v15
	v_cndmask_b32_e32 v15, v19, v15, vcc_lo
	v_lshlrev_b32_e32 v18, 2, v15
	ds_bpermute_b32 v15, v18, v13
	ds_bpermute_b32 v16, v18, v14
	ds_bpermute_b32 v17, v18, v11
	ds_bpermute_b32 v18, v18, v12
	s_waitcnt lgkmcnt(2)
	v_add_f64 v[13:14], v[13:14], v[15:16]
	v_xor_b32_e32 v15, 8, v19
	s_waitcnt lgkmcnt(0)
	v_add_f64 v[11:12], v[11:12], v[17:18]
	;; [unrolled: 12-line block ×3, first 2 shown]
	v_cmp_gt_i32_e32 vcc_lo, 32, v15
	v_cndmask_b32_e32 v15, v19, v15, vcc_lo
	v_lshlrev_b32_e32 v18, 2, v15
	ds_bpermute_b32 v15, v18, v13
	ds_bpermute_b32 v16, v18, v14
	;; [unrolled: 1-line block ×4, first 2 shown]
	s_waitcnt lgkmcnt(2)
	v_add_f64 v[13:14], v[13:14], v[15:16]
	s_waitcnt lgkmcnt(0)
	v_add_f64 v[15:16], v[11:12], v[17:18]
	v_xor_b32_e32 v11, 2, v19
	v_cmp_gt_i32_e32 vcc_lo, 32, v11
	v_cndmask_b32_e32 v11, v19, v11, vcc_lo
	v_lshlrev_b32_e32 v18, 2, v11
	ds_bpermute_b32 v11, v18, v13
	ds_bpermute_b32 v12, v18, v14
	;; [unrolled: 1-line block ×4, first 2 shown]
	s_waitcnt lgkmcnt(2)
	v_add_f64 v[11:12], v[13:14], v[11:12]
	s_waitcnt lgkmcnt(0)
	v_add_f64 v[13:14], v[15:16], v[17:18]
	v_xor_b32_e32 v15, 1, v19
	v_cmp_gt_i32_e32 vcc_lo, 32, v15
	v_cndmask_b32_e32 v15, v19, v15, vcc_lo
	v_cmp_eq_u32_e32 vcc_lo, 63, v0
	v_lshlrev_b32_e32 v18, 2, v15
	ds_bpermute_b32 v15, v18, v11
	ds_bpermute_b32 v16, v18, v12
	;; [unrolled: 1-line block ×4, first 2 shown]
	s_and_b32 exec_lo, exec_lo, vcc_lo
	s_cbranch_execz .LBB232_13
; %bb.9:
	s_waitcnt lgkmcnt(0)
	v_add_f64 v[13:14], v[13:14], v[17:18]
	v_add_f64 v[11:12], v[11:12], v[15:16]
	v_cmp_eq_f64_e32 vcc_lo, 0, v[1:2]
	v_cmp_eq_f64_e64 s0, 0, v[3:4]
	v_lshlrev_b64 v[9:10], 4, v[9:10]
	v_mul_f64 v[15:16], v[13:14], -v[7:8]
	v_mul_f64 v[13:14], v[5:6], v[13:14]
	s_and_b32 s0, vcc_lo, s0
	v_fma_f64 v[5:6], v[5:6], v[11:12], v[15:16]
	v_fma_f64 v[7:8], v[7:8], v[11:12], v[13:14]
	s_and_saveexec_b32 s1, s0
	s_xor_b32 s0, exec_lo, s1
	s_cbranch_execz .LBB232_11
; %bb.10:
	v_add_co_u32 v0, vcc_lo, s6, v9
	v_add_co_ci_u32_e64 v1, null, s7, v10, vcc_lo
                                        ; implicit-def: $vgpr9_vgpr10
	global_store_dwordx4 v[0:1], v[5:8], off
                                        ; implicit-def: $vgpr1_vgpr2
                                        ; implicit-def: $vgpr5_vgpr6
.LBB232_11:
	s_andn2_saveexec_b32 s0, s0
	s_cbranch_execz .LBB232_13
; %bb.12:
	v_add_co_u32 v13, vcc_lo, s6, v9
	v_add_co_ci_u32_e64 v14, null, s7, v10, vcc_lo
	global_load_dwordx4 v[9:12], v[13:14], off
	s_waitcnt vmcnt(0)
	v_fma_f64 v[5:6], v[1:2], v[9:10], v[5:6]
	v_fma_f64 v[7:8], v[3:4], v[9:10], v[7:8]
	v_fma_f64 v[3:4], -v[3:4], v[11:12], v[5:6]
	v_fma_f64 v[5:6], v[1:2], v[11:12], v[7:8]
	global_store_dwordx4 v[13:14], v[3:6], off
.LBB232_13:
	s_endpgm
	.section	.rodata,"a",@progbits
	.p2align	6, 0x0
	.amdhsa_kernel _ZN9rocsparseL19gebsrmvn_1xn_kernelILj128ELj2ELj64E21rocsparse_complex_numIdEEEvi20rocsparse_direction_NS_24const_host_device_scalarIT2_EEPKiS8_PKS5_SA_S6_PS5_21rocsparse_index_base_b
		.amdhsa_group_segment_fixed_size 0
		.amdhsa_private_segment_fixed_size 0
		.amdhsa_kernarg_size 88
		.amdhsa_user_sgpr_count 6
		.amdhsa_user_sgpr_private_segment_buffer 1
		.amdhsa_user_sgpr_dispatch_ptr 0
		.amdhsa_user_sgpr_queue_ptr 0
		.amdhsa_user_sgpr_kernarg_segment_ptr 1
		.amdhsa_user_sgpr_dispatch_id 0
		.amdhsa_user_sgpr_flat_scratch_init 0
		.amdhsa_user_sgpr_private_segment_size 0
		.amdhsa_wavefront_size32 1
		.amdhsa_uses_dynamic_stack 0
		.amdhsa_system_sgpr_private_segment_wavefront_offset 0
		.amdhsa_system_sgpr_workgroup_id_x 1
		.amdhsa_system_sgpr_workgroup_id_y 0
		.amdhsa_system_sgpr_workgroup_id_z 0
		.amdhsa_system_sgpr_workgroup_info 0
		.amdhsa_system_vgpr_workitem_id 0
		.amdhsa_next_free_vgpr 36
		.amdhsa_next_free_sgpr 13
		.amdhsa_reserve_vcc 1
		.amdhsa_reserve_flat_scratch 0
		.amdhsa_float_round_mode_32 0
		.amdhsa_float_round_mode_16_64 0
		.amdhsa_float_denorm_mode_32 3
		.amdhsa_float_denorm_mode_16_64 3
		.amdhsa_dx10_clamp 1
		.amdhsa_ieee_mode 1
		.amdhsa_fp16_overflow 0
		.amdhsa_workgroup_processor_mode 1
		.amdhsa_memory_ordered 1
		.amdhsa_forward_progress 1
		.amdhsa_shared_vgpr_count 0
		.amdhsa_exception_fp_ieee_invalid_op 0
		.amdhsa_exception_fp_denorm_src 0
		.amdhsa_exception_fp_ieee_div_zero 0
		.amdhsa_exception_fp_ieee_overflow 0
		.amdhsa_exception_fp_ieee_underflow 0
		.amdhsa_exception_fp_ieee_inexact 0
		.amdhsa_exception_int_div_zero 0
	.end_amdhsa_kernel
	.section	.text._ZN9rocsparseL19gebsrmvn_1xn_kernelILj128ELj2ELj64E21rocsparse_complex_numIdEEEvi20rocsparse_direction_NS_24const_host_device_scalarIT2_EEPKiS8_PKS5_SA_S6_PS5_21rocsparse_index_base_b,"axG",@progbits,_ZN9rocsparseL19gebsrmvn_1xn_kernelILj128ELj2ELj64E21rocsparse_complex_numIdEEEvi20rocsparse_direction_NS_24const_host_device_scalarIT2_EEPKiS8_PKS5_SA_S6_PS5_21rocsparse_index_base_b,comdat
.Lfunc_end232:
	.size	_ZN9rocsparseL19gebsrmvn_1xn_kernelILj128ELj2ELj64E21rocsparse_complex_numIdEEEvi20rocsparse_direction_NS_24const_host_device_scalarIT2_EEPKiS8_PKS5_SA_S6_PS5_21rocsparse_index_base_b, .Lfunc_end232-_ZN9rocsparseL19gebsrmvn_1xn_kernelILj128ELj2ELj64E21rocsparse_complex_numIdEEEvi20rocsparse_direction_NS_24const_host_device_scalarIT2_EEPKiS8_PKS5_SA_S6_PS5_21rocsparse_index_base_b
                                        ; -- End function
	.set _ZN9rocsparseL19gebsrmvn_1xn_kernelILj128ELj2ELj64E21rocsparse_complex_numIdEEEvi20rocsparse_direction_NS_24const_host_device_scalarIT2_EEPKiS8_PKS5_SA_S6_PS5_21rocsparse_index_base_b.num_vgpr, 36
	.set _ZN9rocsparseL19gebsrmvn_1xn_kernelILj128ELj2ELj64E21rocsparse_complex_numIdEEEvi20rocsparse_direction_NS_24const_host_device_scalarIT2_EEPKiS8_PKS5_SA_S6_PS5_21rocsparse_index_base_b.num_agpr, 0
	.set _ZN9rocsparseL19gebsrmvn_1xn_kernelILj128ELj2ELj64E21rocsparse_complex_numIdEEEvi20rocsparse_direction_NS_24const_host_device_scalarIT2_EEPKiS8_PKS5_SA_S6_PS5_21rocsparse_index_base_b.numbered_sgpr, 13
	.set _ZN9rocsparseL19gebsrmvn_1xn_kernelILj128ELj2ELj64E21rocsparse_complex_numIdEEEvi20rocsparse_direction_NS_24const_host_device_scalarIT2_EEPKiS8_PKS5_SA_S6_PS5_21rocsparse_index_base_b.num_named_barrier, 0
	.set _ZN9rocsparseL19gebsrmvn_1xn_kernelILj128ELj2ELj64E21rocsparse_complex_numIdEEEvi20rocsparse_direction_NS_24const_host_device_scalarIT2_EEPKiS8_PKS5_SA_S6_PS5_21rocsparse_index_base_b.private_seg_size, 0
	.set _ZN9rocsparseL19gebsrmvn_1xn_kernelILj128ELj2ELj64E21rocsparse_complex_numIdEEEvi20rocsparse_direction_NS_24const_host_device_scalarIT2_EEPKiS8_PKS5_SA_S6_PS5_21rocsparse_index_base_b.uses_vcc, 1
	.set _ZN9rocsparseL19gebsrmvn_1xn_kernelILj128ELj2ELj64E21rocsparse_complex_numIdEEEvi20rocsparse_direction_NS_24const_host_device_scalarIT2_EEPKiS8_PKS5_SA_S6_PS5_21rocsparse_index_base_b.uses_flat_scratch, 0
	.set _ZN9rocsparseL19gebsrmvn_1xn_kernelILj128ELj2ELj64E21rocsparse_complex_numIdEEEvi20rocsparse_direction_NS_24const_host_device_scalarIT2_EEPKiS8_PKS5_SA_S6_PS5_21rocsparse_index_base_b.has_dyn_sized_stack, 0
	.set _ZN9rocsparseL19gebsrmvn_1xn_kernelILj128ELj2ELj64E21rocsparse_complex_numIdEEEvi20rocsparse_direction_NS_24const_host_device_scalarIT2_EEPKiS8_PKS5_SA_S6_PS5_21rocsparse_index_base_b.has_recursion, 0
	.set _ZN9rocsparseL19gebsrmvn_1xn_kernelILj128ELj2ELj64E21rocsparse_complex_numIdEEEvi20rocsparse_direction_NS_24const_host_device_scalarIT2_EEPKiS8_PKS5_SA_S6_PS5_21rocsparse_index_base_b.has_indirect_call, 0
	.section	.AMDGPU.csdata,"",@progbits
; Kernel info:
; codeLenInByte = 1236
; TotalNumSgprs: 15
; NumVgprs: 36
; ScratchSize: 0
; MemoryBound: 0
; FloatMode: 240
; IeeeMode: 1
; LDSByteSize: 0 bytes/workgroup (compile time only)
; SGPRBlocks: 0
; VGPRBlocks: 4
; NumSGPRsForWavesPerEU: 15
; NumVGPRsForWavesPerEU: 36
; Occupancy: 16
; WaveLimiterHint : 1
; COMPUTE_PGM_RSRC2:SCRATCH_EN: 0
; COMPUTE_PGM_RSRC2:USER_SGPR: 6
; COMPUTE_PGM_RSRC2:TRAP_HANDLER: 0
; COMPUTE_PGM_RSRC2:TGID_X_EN: 1
; COMPUTE_PGM_RSRC2:TGID_Y_EN: 0
; COMPUTE_PGM_RSRC2:TGID_Z_EN: 0
; COMPUTE_PGM_RSRC2:TIDIG_COMP_CNT: 0
	.section	.text._ZN9rocsparseL19gebsrmvn_1xn_kernelILj128ELj3ELj4E21rocsparse_complex_numIdEEEvi20rocsparse_direction_NS_24const_host_device_scalarIT2_EEPKiS8_PKS5_SA_S6_PS5_21rocsparse_index_base_b,"axG",@progbits,_ZN9rocsparseL19gebsrmvn_1xn_kernelILj128ELj3ELj4E21rocsparse_complex_numIdEEEvi20rocsparse_direction_NS_24const_host_device_scalarIT2_EEPKiS8_PKS5_SA_S6_PS5_21rocsparse_index_base_b,comdat
	.globl	_ZN9rocsparseL19gebsrmvn_1xn_kernelILj128ELj3ELj4E21rocsparse_complex_numIdEEEvi20rocsparse_direction_NS_24const_host_device_scalarIT2_EEPKiS8_PKS5_SA_S6_PS5_21rocsparse_index_base_b ; -- Begin function _ZN9rocsparseL19gebsrmvn_1xn_kernelILj128ELj3ELj4E21rocsparse_complex_numIdEEEvi20rocsparse_direction_NS_24const_host_device_scalarIT2_EEPKiS8_PKS5_SA_S6_PS5_21rocsparse_index_base_b
	.p2align	8
	.type	_ZN9rocsparseL19gebsrmvn_1xn_kernelILj128ELj3ELj4E21rocsparse_complex_numIdEEEvi20rocsparse_direction_NS_24const_host_device_scalarIT2_EEPKiS8_PKS5_SA_S6_PS5_21rocsparse_index_base_b,@function
_ZN9rocsparseL19gebsrmvn_1xn_kernelILj128ELj3ELj4E21rocsparse_complex_numIdEEEvi20rocsparse_direction_NS_24const_host_device_scalarIT2_EEPKiS8_PKS5_SA_S6_PS5_21rocsparse_index_base_b: ; @_ZN9rocsparseL19gebsrmvn_1xn_kernelILj128ELj3ELj4E21rocsparse_complex_numIdEEEvi20rocsparse_direction_NS_24const_host_device_scalarIT2_EEPKiS8_PKS5_SA_S6_PS5_21rocsparse_index_base_b
; %bb.0:
	s_clause 0x1
	s_load_dwordx2 s[8:9], s[4:5], 0x50
	s_load_dwordx2 s[0:1], s[4:5], 0x8
	s_add_u32 s7, s4, 8
	s_addc_u32 s10, s5, 0
	s_add_u32 s11, s4, 56
	s_addc_u32 s12, s5, 0
	s_load_dwordx2 s[2:3], s[4:5], 0x38
	s_waitcnt lgkmcnt(0)
	s_bitcmp1_b32 s9, 0
	s_cselect_b32 s0, s7, s0
	s_cselect_b32 s1, s10, s1
	v_mov_b32_e32 v1, s0
	v_mov_b32_e32 v2, s1
	s_cselect_b32 s0, s11, s2
	s_cselect_b32 s1, s12, s3
	flat_load_dwordx4 v[5:8], v[1:2]
	v_mov_b32_e32 v1, s0
	v_mov_b32_e32 v2, s1
	flat_load_dwordx4 v[1:4], v[1:2]
	s_waitcnt vmcnt(1) lgkmcnt(1)
	v_cmp_eq_f64_e32 vcc_lo, 0, v[5:6]
	v_cmp_eq_f64_e64 s0, 0, v[7:8]
	s_and_b32 s2, vcc_lo, s0
	s_mov_b32 s0, -1
	s_and_saveexec_b32 s1, s2
	s_cbranch_execz .LBB233_2
; %bb.1:
	s_waitcnt vmcnt(0) lgkmcnt(0)
	v_cmp_neq_f64_e32 vcc_lo, 1.0, v[1:2]
	v_cmp_neq_f64_e64 s0, 0, v[3:4]
	s_or_b32 s0, vcc_lo, s0
	s_orn2_b32 s0, s0, exec_lo
.LBB233_2:
	s_or_b32 exec_lo, exec_lo, s1
	s_and_saveexec_b32 s1, s0
	s_cbranch_execz .LBB233_13
; %bb.3:
	s_load_dword s0, s[4:5], 0x0
	v_lshrrev_b32_e32 v9, 2, v0
	v_lshl_or_b32 v9, s6, 5, v9
	s_waitcnt lgkmcnt(0)
	v_cmp_gt_i32_e32 vcc_lo, s0, v9
	s_and_b32 exec_lo, exec_lo, vcc_lo
	s_cbranch_execz .LBB233_13
; %bb.4:
	s_clause 0x1
	s_load_dwordx2 s[0:1], s[4:5], 0x18
	s_load_dwordx2 s[6:7], s[4:5], 0x48
	v_ashrrev_i32_e32 v10, 31, v9
	v_and_b32_e32 v0, 3, v0
	v_mov_b32_e32 v15, 0
	v_mov_b32_e32 v16, 0
	s_mov_b32 s9, exec_lo
	v_lshlrev_b64 v[11:12], 2, v[9:10]
	v_subrev_nc_u32_e32 v13, s8, v0
	s_waitcnt lgkmcnt(0)
	v_add_co_u32 v11, vcc_lo, s0, v11
	v_add_co_ci_u32_e64 v12, null, s1, v12, vcc_lo
	global_load_dwordx2 v[11:12], v[11:12], off
	s_waitcnt vmcnt(0)
	v_subrev_nc_u32_e32 v19, s8, v12
	v_add_nc_u32_e32 v13, v11, v13
	v_mov_b32_e32 v11, 0
	v_mov_b32_e32 v12, 0
	v_cmpx_lt_i32_e64 v13, v19
	s_cbranch_execz .LBB233_8
; %bb.5:
	s_clause 0x1
	s_load_dwordx4 s[0:3], s[4:5], 0x20
	s_load_dwordx2 s[4:5], s[4:5], 0x30
	v_mov_b32_e32 v11, 0
	v_mov_b32_e32 v15, 0
	v_lshl_add_u32 v17, v13, 1, v13
	v_mov_b32_e32 v12, 0
	v_mov_b32_e32 v16, 0
	;; [unrolled: 1-line block ×3, first 2 shown]
	s_mov_b32 s10, 0
.LBB233_6:                              ; =>This Inner Loop Header: Depth=1
	v_ashrrev_i32_e32 v14, 31, v13
	v_mov_b32_e32 v37, v18
	v_add_nc_u32_e32 v28, 1, v17
	v_mov_b32_e32 v29, v18
	v_mov_b32_e32 v30, v18
	v_lshlrev_b64 v[20:21], 2, v[13:14]
	v_mov_b32_e32 v38, v18
	v_mov_b32_e32 v39, v18
	v_lshlrev_b64 v[31:32], 4, v[28:29]
	v_add_nc_u32_e32 v13, 4, v13
	s_waitcnt lgkmcnt(0)
	v_add_co_u32 v20, vcc_lo, s0, v20
	v_add_co_ci_u32_e64 v21, null, s1, v21, vcc_lo
	global_load_dword v14, v[20:21], off
	v_lshlrev_b64 v[20:21], 4, v[17:18]
	v_add_co_u32 v20, vcc_lo, s2, v20
	v_add_co_ci_u32_e64 v21, null, s3, v21, vcc_lo
	s_waitcnt vmcnt(0)
	v_subrev_nc_u32_e32 v14, s8, v14
	v_lshl_add_u32 v36, v14, 1, v14
	v_lshlrev_b64 v[22:23], 4, v[36:37]
	v_add_nc_u32_e32 v29, 1, v36
	v_add_nc_u32_e32 v37, 2, v17
	;; [unrolled: 1-line block ×3, first 2 shown]
	v_add_co_u32 v24, vcc_lo, s4, v22
	v_add_co_ci_u32_e64 v25, null, s5, v23, vcc_lo
	v_add_co_u32 v28, vcc_lo, s2, v31
	global_load_dwordx4 v[20:23], v[20:21], off
	global_load_dwordx4 v[24:27], v[24:25], off
	v_lshlrev_b64 v[30:31], 4, v[29:30]
	v_add_co_ci_u32_e64 v29, null, s3, v32, vcc_lo
	v_lshlrev_b64 v[40:41], 4, v[37:38]
	v_add_nc_u32_e32 v38, 2, v36
	v_add_co_u32 v32, vcc_lo, s4, v30
	v_add_co_ci_u32_e64 v33, null, s5, v31, vcc_lo
	global_load_dwordx4 v[28:31], v[28:29], off
	global_load_dwordx4 v[32:35], v[32:33], off
	v_lshlrev_b64 v[38:39], 4, v[38:39]
	v_add_co_u32 v36, vcc_lo, s2, v40
	v_add_co_ci_u32_e64 v37, null, s3, v41, vcc_lo
	v_add_co_u32 v40, vcc_lo, s4, v38
	v_add_co_ci_u32_e64 v41, null, s5, v39, vcc_lo
	global_load_dwordx4 v[36:39], v[36:37], off
	global_load_dwordx4 v[40:43], v[40:41], off
	v_cmp_ge_i32_e32 vcc_lo, v13, v19
	s_or_b32 s10, vcc_lo, s10
	s_waitcnt vmcnt(4)
	v_fma_f64 v[14:15], v[20:21], v[24:25], v[15:16]
	v_fma_f64 v[11:12], v[22:23], v[24:25], v[11:12]
	v_fma_f64 v[14:15], -v[22:23], v[26:27], v[14:15]
	v_fma_f64 v[11:12], v[20:21], v[26:27], v[11:12]
	s_waitcnt vmcnt(2)
	v_fma_f64 v[14:15], v[28:29], v[32:33], v[14:15]
	v_fma_f64 v[11:12], v[30:31], v[32:33], v[11:12]
	v_fma_f64 v[14:15], -v[30:31], v[34:35], v[14:15]
	v_fma_f64 v[11:12], v[28:29], v[34:35], v[11:12]
	;; [unrolled: 5-line block ×3, first 2 shown]
	s_andn2_b32 exec_lo, exec_lo, s10
	s_cbranch_execnz .LBB233_6
; %bb.7:
	s_or_b32 exec_lo, exec_lo, s10
.LBB233_8:
	s_or_b32 exec_lo, exec_lo, s9
	v_mbcnt_lo_u32_b32 v19, -1, 0
	v_xor_b32_e32 v13, 2, v19
	v_cmp_gt_i32_e32 vcc_lo, 32, v13
	v_cndmask_b32_e32 v13, v19, v13, vcc_lo
	v_lshlrev_b32_e32 v18, 2, v13
	ds_bpermute_b32 v13, v18, v15
	ds_bpermute_b32 v14, v18, v16
	;; [unrolled: 1-line block ×4, first 2 shown]
	s_waitcnt lgkmcnt(2)
	v_add_f64 v[13:14], v[15:16], v[13:14]
	v_xor_b32_e32 v15, 1, v19
	s_waitcnt lgkmcnt(0)
	v_add_f64 v[11:12], v[11:12], v[17:18]
	v_cmp_gt_i32_e32 vcc_lo, 32, v15
	v_cndmask_b32_e32 v15, v19, v15, vcc_lo
	v_cmp_eq_u32_e32 vcc_lo, 3, v0
	v_lshlrev_b32_e32 v18, 2, v15
	ds_bpermute_b32 v15, v18, v13
	ds_bpermute_b32 v16, v18, v14
	;; [unrolled: 1-line block ×4, first 2 shown]
	s_and_b32 exec_lo, exec_lo, vcc_lo
	s_cbranch_execz .LBB233_13
; %bb.9:
	s_waitcnt lgkmcnt(0)
	v_add_f64 v[11:12], v[11:12], v[17:18]
	v_add_f64 v[13:14], v[13:14], v[15:16]
	v_cmp_eq_f64_e32 vcc_lo, 0, v[1:2]
	v_cmp_eq_f64_e64 s0, 0, v[3:4]
	v_lshlrev_b64 v[9:10], 4, v[9:10]
	v_mul_f64 v[15:16], v[11:12], -v[7:8]
	v_mul_f64 v[11:12], v[5:6], v[11:12]
	s_and_b32 s0, vcc_lo, s0
	v_fma_f64 v[5:6], v[5:6], v[13:14], v[15:16]
	v_fma_f64 v[7:8], v[7:8], v[13:14], v[11:12]
	s_and_saveexec_b32 s1, s0
	s_xor_b32 s0, exec_lo, s1
	s_cbranch_execz .LBB233_11
; %bb.10:
	v_add_co_u32 v0, vcc_lo, s6, v9
	v_add_co_ci_u32_e64 v1, null, s7, v10, vcc_lo
                                        ; implicit-def: $vgpr9_vgpr10
	global_store_dwordx4 v[0:1], v[5:8], off
                                        ; implicit-def: $vgpr1_vgpr2
                                        ; implicit-def: $vgpr5_vgpr6
.LBB233_11:
	s_andn2_saveexec_b32 s0, s0
	s_cbranch_execz .LBB233_13
; %bb.12:
	v_add_co_u32 v13, vcc_lo, s6, v9
	v_add_co_ci_u32_e64 v14, null, s7, v10, vcc_lo
	global_load_dwordx4 v[9:12], v[13:14], off
	s_waitcnt vmcnt(0)
	v_fma_f64 v[5:6], v[1:2], v[9:10], v[5:6]
	v_fma_f64 v[7:8], v[3:4], v[9:10], v[7:8]
	v_fma_f64 v[3:4], -v[3:4], v[11:12], v[5:6]
	v_fma_f64 v[5:6], v[1:2], v[11:12], v[7:8]
	global_store_dwordx4 v[13:14], v[3:6], off
.LBB233_13:
	s_endpgm
	.section	.rodata,"a",@progbits
	.p2align	6, 0x0
	.amdhsa_kernel _ZN9rocsparseL19gebsrmvn_1xn_kernelILj128ELj3ELj4E21rocsparse_complex_numIdEEEvi20rocsparse_direction_NS_24const_host_device_scalarIT2_EEPKiS8_PKS5_SA_S6_PS5_21rocsparse_index_base_b
		.amdhsa_group_segment_fixed_size 0
		.amdhsa_private_segment_fixed_size 0
		.amdhsa_kernarg_size 88
		.amdhsa_user_sgpr_count 6
		.amdhsa_user_sgpr_private_segment_buffer 1
		.amdhsa_user_sgpr_dispatch_ptr 0
		.amdhsa_user_sgpr_queue_ptr 0
		.amdhsa_user_sgpr_kernarg_segment_ptr 1
		.amdhsa_user_sgpr_dispatch_id 0
		.amdhsa_user_sgpr_flat_scratch_init 0
		.amdhsa_user_sgpr_private_segment_size 0
		.amdhsa_wavefront_size32 1
		.amdhsa_uses_dynamic_stack 0
		.amdhsa_system_sgpr_private_segment_wavefront_offset 0
		.amdhsa_system_sgpr_workgroup_id_x 1
		.amdhsa_system_sgpr_workgroup_id_y 0
		.amdhsa_system_sgpr_workgroup_id_z 0
		.amdhsa_system_sgpr_workgroup_info 0
		.amdhsa_system_vgpr_workitem_id 0
		.amdhsa_next_free_vgpr 44
		.amdhsa_next_free_sgpr 13
		.amdhsa_reserve_vcc 1
		.amdhsa_reserve_flat_scratch 0
		.amdhsa_float_round_mode_32 0
		.amdhsa_float_round_mode_16_64 0
		.amdhsa_float_denorm_mode_32 3
		.amdhsa_float_denorm_mode_16_64 3
		.amdhsa_dx10_clamp 1
		.amdhsa_ieee_mode 1
		.amdhsa_fp16_overflow 0
		.amdhsa_workgroup_processor_mode 1
		.amdhsa_memory_ordered 1
		.amdhsa_forward_progress 1
		.amdhsa_shared_vgpr_count 0
		.amdhsa_exception_fp_ieee_invalid_op 0
		.amdhsa_exception_fp_denorm_src 0
		.amdhsa_exception_fp_ieee_div_zero 0
		.amdhsa_exception_fp_ieee_overflow 0
		.amdhsa_exception_fp_ieee_underflow 0
		.amdhsa_exception_fp_ieee_inexact 0
		.amdhsa_exception_int_div_zero 0
	.end_amdhsa_kernel
	.section	.text._ZN9rocsparseL19gebsrmvn_1xn_kernelILj128ELj3ELj4E21rocsparse_complex_numIdEEEvi20rocsparse_direction_NS_24const_host_device_scalarIT2_EEPKiS8_PKS5_SA_S6_PS5_21rocsparse_index_base_b,"axG",@progbits,_ZN9rocsparseL19gebsrmvn_1xn_kernelILj128ELj3ELj4E21rocsparse_complex_numIdEEEvi20rocsparse_direction_NS_24const_host_device_scalarIT2_EEPKiS8_PKS5_SA_S6_PS5_21rocsparse_index_base_b,comdat
.Lfunc_end233:
	.size	_ZN9rocsparseL19gebsrmvn_1xn_kernelILj128ELj3ELj4E21rocsparse_complex_numIdEEEvi20rocsparse_direction_NS_24const_host_device_scalarIT2_EEPKiS8_PKS5_SA_S6_PS5_21rocsparse_index_base_b, .Lfunc_end233-_ZN9rocsparseL19gebsrmvn_1xn_kernelILj128ELj3ELj4E21rocsparse_complex_numIdEEEvi20rocsparse_direction_NS_24const_host_device_scalarIT2_EEPKiS8_PKS5_SA_S6_PS5_21rocsparse_index_base_b
                                        ; -- End function
	.set _ZN9rocsparseL19gebsrmvn_1xn_kernelILj128ELj3ELj4E21rocsparse_complex_numIdEEEvi20rocsparse_direction_NS_24const_host_device_scalarIT2_EEPKiS8_PKS5_SA_S6_PS5_21rocsparse_index_base_b.num_vgpr, 44
	.set _ZN9rocsparseL19gebsrmvn_1xn_kernelILj128ELj3ELj4E21rocsparse_complex_numIdEEEvi20rocsparse_direction_NS_24const_host_device_scalarIT2_EEPKiS8_PKS5_SA_S6_PS5_21rocsparse_index_base_b.num_agpr, 0
	.set _ZN9rocsparseL19gebsrmvn_1xn_kernelILj128ELj3ELj4E21rocsparse_complex_numIdEEEvi20rocsparse_direction_NS_24const_host_device_scalarIT2_EEPKiS8_PKS5_SA_S6_PS5_21rocsparse_index_base_b.numbered_sgpr, 13
	.set _ZN9rocsparseL19gebsrmvn_1xn_kernelILj128ELj3ELj4E21rocsparse_complex_numIdEEEvi20rocsparse_direction_NS_24const_host_device_scalarIT2_EEPKiS8_PKS5_SA_S6_PS5_21rocsparse_index_base_b.num_named_barrier, 0
	.set _ZN9rocsparseL19gebsrmvn_1xn_kernelILj128ELj3ELj4E21rocsparse_complex_numIdEEEvi20rocsparse_direction_NS_24const_host_device_scalarIT2_EEPKiS8_PKS5_SA_S6_PS5_21rocsparse_index_base_b.private_seg_size, 0
	.set _ZN9rocsparseL19gebsrmvn_1xn_kernelILj128ELj3ELj4E21rocsparse_complex_numIdEEEvi20rocsparse_direction_NS_24const_host_device_scalarIT2_EEPKiS8_PKS5_SA_S6_PS5_21rocsparse_index_base_b.uses_vcc, 1
	.set _ZN9rocsparseL19gebsrmvn_1xn_kernelILj128ELj3ELj4E21rocsparse_complex_numIdEEEvi20rocsparse_direction_NS_24const_host_device_scalarIT2_EEPKiS8_PKS5_SA_S6_PS5_21rocsparse_index_base_b.uses_flat_scratch, 0
	.set _ZN9rocsparseL19gebsrmvn_1xn_kernelILj128ELj3ELj4E21rocsparse_complex_numIdEEEvi20rocsparse_direction_NS_24const_host_device_scalarIT2_EEPKiS8_PKS5_SA_S6_PS5_21rocsparse_index_base_b.has_dyn_sized_stack, 0
	.set _ZN9rocsparseL19gebsrmvn_1xn_kernelILj128ELj3ELj4E21rocsparse_complex_numIdEEEvi20rocsparse_direction_NS_24const_host_device_scalarIT2_EEPKiS8_PKS5_SA_S6_PS5_21rocsparse_index_base_b.has_recursion, 0
	.set _ZN9rocsparseL19gebsrmvn_1xn_kernelILj128ELj3ELj4E21rocsparse_complex_numIdEEEvi20rocsparse_direction_NS_24const_host_device_scalarIT2_EEPKiS8_PKS5_SA_S6_PS5_21rocsparse_index_base_b.has_indirect_call, 0
	.section	.AMDGPU.csdata,"",@progbits
; Kernel info:
; codeLenInByte = 1124
; TotalNumSgprs: 15
; NumVgprs: 44
; ScratchSize: 0
; MemoryBound: 0
; FloatMode: 240
; IeeeMode: 1
; LDSByteSize: 0 bytes/workgroup (compile time only)
; SGPRBlocks: 0
; VGPRBlocks: 5
; NumSGPRsForWavesPerEU: 15
; NumVGPRsForWavesPerEU: 44
; Occupancy: 16
; WaveLimiterHint : 1
; COMPUTE_PGM_RSRC2:SCRATCH_EN: 0
; COMPUTE_PGM_RSRC2:USER_SGPR: 6
; COMPUTE_PGM_RSRC2:TRAP_HANDLER: 0
; COMPUTE_PGM_RSRC2:TGID_X_EN: 1
; COMPUTE_PGM_RSRC2:TGID_Y_EN: 0
; COMPUTE_PGM_RSRC2:TGID_Z_EN: 0
; COMPUTE_PGM_RSRC2:TIDIG_COMP_CNT: 0
	.section	.text._ZN9rocsparseL19gebsrmvn_1xn_kernelILj128ELj3ELj8E21rocsparse_complex_numIdEEEvi20rocsparse_direction_NS_24const_host_device_scalarIT2_EEPKiS8_PKS5_SA_S6_PS5_21rocsparse_index_base_b,"axG",@progbits,_ZN9rocsparseL19gebsrmvn_1xn_kernelILj128ELj3ELj8E21rocsparse_complex_numIdEEEvi20rocsparse_direction_NS_24const_host_device_scalarIT2_EEPKiS8_PKS5_SA_S6_PS5_21rocsparse_index_base_b,comdat
	.globl	_ZN9rocsparseL19gebsrmvn_1xn_kernelILj128ELj3ELj8E21rocsparse_complex_numIdEEEvi20rocsparse_direction_NS_24const_host_device_scalarIT2_EEPKiS8_PKS5_SA_S6_PS5_21rocsparse_index_base_b ; -- Begin function _ZN9rocsparseL19gebsrmvn_1xn_kernelILj128ELj3ELj8E21rocsparse_complex_numIdEEEvi20rocsparse_direction_NS_24const_host_device_scalarIT2_EEPKiS8_PKS5_SA_S6_PS5_21rocsparse_index_base_b
	.p2align	8
	.type	_ZN9rocsparseL19gebsrmvn_1xn_kernelILj128ELj3ELj8E21rocsparse_complex_numIdEEEvi20rocsparse_direction_NS_24const_host_device_scalarIT2_EEPKiS8_PKS5_SA_S6_PS5_21rocsparse_index_base_b,@function
_ZN9rocsparseL19gebsrmvn_1xn_kernelILj128ELj3ELj8E21rocsparse_complex_numIdEEEvi20rocsparse_direction_NS_24const_host_device_scalarIT2_EEPKiS8_PKS5_SA_S6_PS5_21rocsparse_index_base_b: ; @_ZN9rocsparseL19gebsrmvn_1xn_kernelILj128ELj3ELj8E21rocsparse_complex_numIdEEEvi20rocsparse_direction_NS_24const_host_device_scalarIT2_EEPKiS8_PKS5_SA_S6_PS5_21rocsparse_index_base_b
; %bb.0:
	s_clause 0x1
	s_load_dwordx2 s[8:9], s[4:5], 0x50
	s_load_dwordx2 s[0:1], s[4:5], 0x8
	s_add_u32 s7, s4, 8
	s_addc_u32 s10, s5, 0
	s_add_u32 s11, s4, 56
	s_addc_u32 s12, s5, 0
	s_load_dwordx2 s[2:3], s[4:5], 0x38
	s_waitcnt lgkmcnt(0)
	s_bitcmp1_b32 s9, 0
	s_cselect_b32 s0, s7, s0
	s_cselect_b32 s1, s10, s1
	v_mov_b32_e32 v1, s0
	v_mov_b32_e32 v2, s1
	s_cselect_b32 s0, s11, s2
	s_cselect_b32 s1, s12, s3
	flat_load_dwordx4 v[5:8], v[1:2]
	v_mov_b32_e32 v1, s0
	v_mov_b32_e32 v2, s1
	flat_load_dwordx4 v[1:4], v[1:2]
	s_waitcnt vmcnt(1) lgkmcnt(1)
	v_cmp_eq_f64_e32 vcc_lo, 0, v[5:6]
	v_cmp_eq_f64_e64 s0, 0, v[7:8]
	s_and_b32 s2, vcc_lo, s0
	s_mov_b32 s0, -1
	s_and_saveexec_b32 s1, s2
	s_cbranch_execz .LBB234_2
; %bb.1:
	s_waitcnt vmcnt(0) lgkmcnt(0)
	v_cmp_neq_f64_e32 vcc_lo, 1.0, v[1:2]
	v_cmp_neq_f64_e64 s0, 0, v[3:4]
	s_or_b32 s0, vcc_lo, s0
	s_orn2_b32 s0, s0, exec_lo
.LBB234_2:
	s_or_b32 exec_lo, exec_lo, s1
	s_and_saveexec_b32 s1, s0
	s_cbranch_execz .LBB234_13
; %bb.3:
	s_load_dword s0, s[4:5], 0x0
	v_lshrrev_b32_e32 v9, 3, v0
	v_lshl_or_b32 v9, s6, 4, v9
	s_waitcnt lgkmcnt(0)
	v_cmp_gt_i32_e32 vcc_lo, s0, v9
	s_and_b32 exec_lo, exec_lo, vcc_lo
	s_cbranch_execz .LBB234_13
; %bb.4:
	s_clause 0x1
	s_load_dwordx2 s[0:1], s[4:5], 0x18
	s_load_dwordx2 s[6:7], s[4:5], 0x48
	v_ashrrev_i32_e32 v10, 31, v9
	v_and_b32_e32 v0, 7, v0
	s_mov_b32 s9, exec_lo
	v_lshlrev_b64 v[11:12], 2, v[9:10]
	v_subrev_nc_u32_e32 v13, s8, v0
	s_waitcnt lgkmcnt(0)
	v_add_co_u32 v11, vcc_lo, s0, v11
	v_add_co_ci_u32_e64 v12, null, s1, v12, vcc_lo
	global_load_dwordx2 v[11:12], v[11:12], off
	s_waitcnt vmcnt(0)
	v_subrev_nc_u32_e32 v19, s8, v12
	v_add_nc_u32_e32 v15, v11, v13
	v_mov_b32_e32 v11, 0
	v_mov_b32_e32 v13, 0
	;; [unrolled: 1-line block ×4, first 2 shown]
	v_cmpx_lt_i32_e64 v15, v19
	s_cbranch_execz .LBB234_8
; %bb.5:
	s_clause 0x1
	s_load_dwordx4 s[0:3], s[4:5], 0x20
	s_load_dwordx2 s[4:5], s[4:5], 0x30
	v_mov_b32_e32 v11, 0
	v_mov_b32_e32 v13, 0
	v_lshl_add_u32 v17, v15, 1, v15
	v_mov_b32_e32 v12, 0
	v_mov_b32_e32 v14, 0
	;; [unrolled: 1-line block ×3, first 2 shown]
	s_mov_b32 s10, 0
.LBB234_6:                              ; =>This Inner Loop Header: Depth=1
	v_ashrrev_i32_e32 v16, 31, v15
	v_mov_b32_e32 v37, v18
	v_add_nc_u32_e32 v28, 1, v17
	v_mov_b32_e32 v29, v18
	v_mov_b32_e32 v30, v18
	v_lshlrev_b64 v[20:21], 2, v[15:16]
	v_mov_b32_e32 v38, v18
	v_mov_b32_e32 v39, v18
	v_lshlrev_b64 v[31:32], 4, v[28:29]
	v_add_nc_u32_e32 v15, 8, v15
	s_waitcnt lgkmcnt(0)
	v_add_co_u32 v20, vcc_lo, s0, v20
	v_add_co_ci_u32_e64 v21, null, s1, v21, vcc_lo
	global_load_dword v16, v[20:21], off
	v_lshlrev_b64 v[20:21], 4, v[17:18]
	v_add_co_u32 v20, vcc_lo, s2, v20
	v_add_co_ci_u32_e64 v21, null, s3, v21, vcc_lo
	s_waitcnt vmcnt(0)
	v_subrev_nc_u32_e32 v16, s8, v16
	v_lshl_add_u32 v36, v16, 1, v16
	v_lshlrev_b64 v[22:23], 4, v[36:37]
	v_add_nc_u32_e32 v29, 1, v36
	v_add_nc_u32_e32 v37, 2, v17
	;; [unrolled: 1-line block ×3, first 2 shown]
	v_add_co_u32 v24, vcc_lo, s4, v22
	v_add_co_ci_u32_e64 v25, null, s5, v23, vcc_lo
	v_add_co_u32 v28, vcc_lo, s2, v31
	global_load_dwordx4 v[20:23], v[20:21], off
	global_load_dwordx4 v[24:27], v[24:25], off
	v_lshlrev_b64 v[30:31], 4, v[29:30]
	v_add_co_ci_u32_e64 v29, null, s3, v32, vcc_lo
	v_lshlrev_b64 v[40:41], 4, v[37:38]
	v_add_nc_u32_e32 v38, 2, v36
	v_add_co_u32 v32, vcc_lo, s4, v30
	v_add_co_ci_u32_e64 v33, null, s5, v31, vcc_lo
	global_load_dwordx4 v[28:31], v[28:29], off
	global_load_dwordx4 v[32:35], v[32:33], off
	v_lshlrev_b64 v[38:39], 4, v[38:39]
	v_add_co_u32 v36, vcc_lo, s2, v40
	v_add_co_ci_u32_e64 v37, null, s3, v41, vcc_lo
	v_add_co_u32 v40, vcc_lo, s4, v38
	v_add_co_ci_u32_e64 v41, null, s5, v39, vcc_lo
	global_load_dwordx4 v[36:39], v[36:37], off
	global_load_dwordx4 v[40:43], v[40:41], off
	v_cmp_ge_i32_e32 vcc_lo, v15, v19
	s_or_b32 s10, vcc_lo, s10
	s_waitcnt vmcnt(4)
	v_fma_f64 v[13:14], v[20:21], v[24:25], v[13:14]
	v_fma_f64 v[11:12], v[22:23], v[24:25], v[11:12]
	v_fma_f64 v[13:14], -v[22:23], v[26:27], v[13:14]
	v_fma_f64 v[11:12], v[20:21], v[26:27], v[11:12]
	s_waitcnt vmcnt(2)
	v_fma_f64 v[13:14], v[28:29], v[32:33], v[13:14]
	v_fma_f64 v[11:12], v[30:31], v[32:33], v[11:12]
	v_fma_f64 v[13:14], -v[30:31], v[34:35], v[13:14]
	v_fma_f64 v[11:12], v[28:29], v[34:35], v[11:12]
	;; [unrolled: 5-line block ×3, first 2 shown]
	s_andn2_b32 exec_lo, exec_lo, s10
	s_cbranch_execnz .LBB234_6
; %bb.7:
	s_or_b32 exec_lo, exec_lo, s10
.LBB234_8:
	s_or_b32 exec_lo, exec_lo, s9
	v_mbcnt_lo_u32_b32 v19, -1, 0
	v_xor_b32_e32 v15, 4, v19
	v_cmp_gt_i32_e32 vcc_lo, 32, v15
	v_cndmask_b32_e32 v15, v19, v15, vcc_lo
	v_lshlrev_b32_e32 v18, 2, v15
	ds_bpermute_b32 v15, v18, v13
	ds_bpermute_b32 v16, v18, v14
	;; [unrolled: 1-line block ×4, first 2 shown]
	s_waitcnt lgkmcnt(2)
	v_add_f64 v[13:14], v[13:14], v[15:16]
	s_waitcnt lgkmcnt(0)
	v_add_f64 v[15:16], v[11:12], v[17:18]
	v_xor_b32_e32 v11, 2, v19
	v_cmp_gt_i32_e32 vcc_lo, 32, v11
	v_cndmask_b32_e32 v11, v19, v11, vcc_lo
	v_lshlrev_b32_e32 v18, 2, v11
	ds_bpermute_b32 v11, v18, v13
	ds_bpermute_b32 v12, v18, v14
	;; [unrolled: 1-line block ×4, first 2 shown]
	s_waitcnt lgkmcnt(2)
	v_add_f64 v[11:12], v[13:14], v[11:12]
	s_waitcnt lgkmcnt(0)
	v_add_f64 v[13:14], v[15:16], v[17:18]
	v_xor_b32_e32 v15, 1, v19
	v_cmp_gt_i32_e32 vcc_lo, 32, v15
	v_cndmask_b32_e32 v15, v19, v15, vcc_lo
	v_cmp_eq_u32_e32 vcc_lo, 7, v0
	v_lshlrev_b32_e32 v18, 2, v15
	ds_bpermute_b32 v15, v18, v11
	ds_bpermute_b32 v16, v18, v12
	;; [unrolled: 1-line block ×4, first 2 shown]
	s_and_b32 exec_lo, exec_lo, vcc_lo
	s_cbranch_execz .LBB234_13
; %bb.9:
	s_waitcnt lgkmcnt(0)
	v_add_f64 v[13:14], v[13:14], v[17:18]
	v_add_f64 v[11:12], v[11:12], v[15:16]
	v_cmp_eq_f64_e32 vcc_lo, 0, v[1:2]
	v_cmp_eq_f64_e64 s0, 0, v[3:4]
	v_lshlrev_b64 v[9:10], 4, v[9:10]
	v_mul_f64 v[15:16], v[13:14], -v[7:8]
	v_mul_f64 v[13:14], v[5:6], v[13:14]
	s_and_b32 s0, vcc_lo, s0
	v_fma_f64 v[5:6], v[5:6], v[11:12], v[15:16]
	v_fma_f64 v[7:8], v[7:8], v[11:12], v[13:14]
	s_and_saveexec_b32 s1, s0
	s_xor_b32 s0, exec_lo, s1
	s_cbranch_execz .LBB234_11
; %bb.10:
	v_add_co_u32 v0, vcc_lo, s6, v9
	v_add_co_ci_u32_e64 v1, null, s7, v10, vcc_lo
                                        ; implicit-def: $vgpr9_vgpr10
	global_store_dwordx4 v[0:1], v[5:8], off
                                        ; implicit-def: $vgpr1_vgpr2
                                        ; implicit-def: $vgpr5_vgpr6
.LBB234_11:
	s_andn2_saveexec_b32 s0, s0
	s_cbranch_execz .LBB234_13
; %bb.12:
	v_add_co_u32 v13, vcc_lo, s6, v9
	v_add_co_ci_u32_e64 v14, null, s7, v10, vcc_lo
	global_load_dwordx4 v[9:12], v[13:14], off
	s_waitcnt vmcnt(0)
	v_fma_f64 v[5:6], v[1:2], v[9:10], v[5:6]
	v_fma_f64 v[7:8], v[3:4], v[9:10], v[7:8]
	v_fma_f64 v[3:4], -v[3:4], v[11:12], v[5:6]
	v_fma_f64 v[5:6], v[1:2], v[11:12], v[7:8]
	global_store_dwordx4 v[13:14], v[3:6], off
.LBB234_13:
	s_endpgm
	.section	.rodata,"a",@progbits
	.p2align	6, 0x0
	.amdhsa_kernel _ZN9rocsparseL19gebsrmvn_1xn_kernelILj128ELj3ELj8E21rocsparse_complex_numIdEEEvi20rocsparse_direction_NS_24const_host_device_scalarIT2_EEPKiS8_PKS5_SA_S6_PS5_21rocsparse_index_base_b
		.amdhsa_group_segment_fixed_size 0
		.amdhsa_private_segment_fixed_size 0
		.amdhsa_kernarg_size 88
		.amdhsa_user_sgpr_count 6
		.amdhsa_user_sgpr_private_segment_buffer 1
		.amdhsa_user_sgpr_dispatch_ptr 0
		.amdhsa_user_sgpr_queue_ptr 0
		.amdhsa_user_sgpr_kernarg_segment_ptr 1
		.amdhsa_user_sgpr_dispatch_id 0
		.amdhsa_user_sgpr_flat_scratch_init 0
		.amdhsa_user_sgpr_private_segment_size 0
		.amdhsa_wavefront_size32 1
		.amdhsa_uses_dynamic_stack 0
		.amdhsa_system_sgpr_private_segment_wavefront_offset 0
		.amdhsa_system_sgpr_workgroup_id_x 1
		.amdhsa_system_sgpr_workgroup_id_y 0
		.amdhsa_system_sgpr_workgroup_id_z 0
		.amdhsa_system_sgpr_workgroup_info 0
		.amdhsa_system_vgpr_workitem_id 0
		.amdhsa_next_free_vgpr 44
		.amdhsa_next_free_sgpr 13
		.amdhsa_reserve_vcc 1
		.amdhsa_reserve_flat_scratch 0
		.amdhsa_float_round_mode_32 0
		.amdhsa_float_round_mode_16_64 0
		.amdhsa_float_denorm_mode_32 3
		.amdhsa_float_denorm_mode_16_64 3
		.amdhsa_dx10_clamp 1
		.amdhsa_ieee_mode 1
		.amdhsa_fp16_overflow 0
		.amdhsa_workgroup_processor_mode 1
		.amdhsa_memory_ordered 1
		.amdhsa_forward_progress 1
		.amdhsa_shared_vgpr_count 0
		.amdhsa_exception_fp_ieee_invalid_op 0
		.amdhsa_exception_fp_denorm_src 0
		.amdhsa_exception_fp_ieee_div_zero 0
		.amdhsa_exception_fp_ieee_overflow 0
		.amdhsa_exception_fp_ieee_underflow 0
		.amdhsa_exception_fp_ieee_inexact 0
		.amdhsa_exception_int_div_zero 0
	.end_amdhsa_kernel
	.section	.text._ZN9rocsparseL19gebsrmvn_1xn_kernelILj128ELj3ELj8E21rocsparse_complex_numIdEEEvi20rocsparse_direction_NS_24const_host_device_scalarIT2_EEPKiS8_PKS5_SA_S6_PS5_21rocsparse_index_base_b,"axG",@progbits,_ZN9rocsparseL19gebsrmvn_1xn_kernelILj128ELj3ELj8E21rocsparse_complex_numIdEEEvi20rocsparse_direction_NS_24const_host_device_scalarIT2_EEPKiS8_PKS5_SA_S6_PS5_21rocsparse_index_base_b,comdat
.Lfunc_end234:
	.size	_ZN9rocsparseL19gebsrmvn_1xn_kernelILj128ELj3ELj8E21rocsparse_complex_numIdEEEvi20rocsparse_direction_NS_24const_host_device_scalarIT2_EEPKiS8_PKS5_SA_S6_PS5_21rocsparse_index_base_b, .Lfunc_end234-_ZN9rocsparseL19gebsrmvn_1xn_kernelILj128ELj3ELj8E21rocsparse_complex_numIdEEEvi20rocsparse_direction_NS_24const_host_device_scalarIT2_EEPKiS8_PKS5_SA_S6_PS5_21rocsparse_index_base_b
                                        ; -- End function
	.set _ZN9rocsparseL19gebsrmvn_1xn_kernelILj128ELj3ELj8E21rocsparse_complex_numIdEEEvi20rocsparse_direction_NS_24const_host_device_scalarIT2_EEPKiS8_PKS5_SA_S6_PS5_21rocsparse_index_base_b.num_vgpr, 44
	.set _ZN9rocsparseL19gebsrmvn_1xn_kernelILj128ELj3ELj8E21rocsparse_complex_numIdEEEvi20rocsparse_direction_NS_24const_host_device_scalarIT2_EEPKiS8_PKS5_SA_S6_PS5_21rocsparse_index_base_b.num_agpr, 0
	.set _ZN9rocsparseL19gebsrmvn_1xn_kernelILj128ELj3ELj8E21rocsparse_complex_numIdEEEvi20rocsparse_direction_NS_24const_host_device_scalarIT2_EEPKiS8_PKS5_SA_S6_PS5_21rocsparse_index_base_b.numbered_sgpr, 13
	.set _ZN9rocsparseL19gebsrmvn_1xn_kernelILj128ELj3ELj8E21rocsparse_complex_numIdEEEvi20rocsparse_direction_NS_24const_host_device_scalarIT2_EEPKiS8_PKS5_SA_S6_PS5_21rocsparse_index_base_b.num_named_barrier, 0
	.set _ZN9rocsparseL19gebsrmvn_1xn_kernelILj128ELj3ELj8E21rocsparse_complex_numIdEEEvi20rocsparse_direction_NS_24const_host_device_scalarIT2_EEPKiS8_PKS5_SA_S6_PS5_21rocsparse_index_base_b.private_seg_size, 0
	.set _ZN9rocsparseL19gebsrmvn_1xn_kernelILj128ELj3ELj8E21rocsparse_complex_numIdEEEvi20rocsparse_direction_NS_24const_host_device_scalarIT2_EEPKiS8_PKS5_SA_S6_PS5_21rocsparse_index_base_b.uses_vcc, 1
	.set _ZN9rocsparseL19gebsrmvn_1xn_kernelILj128ELj3ELj8E21rocsparse_complex_numIdEEEvi20rocsparse_direction_NS_24const_host_device_scalarIT2_EEPKiS8_PKS5_SA_S6_PS5_21rocsparse_index_base_b.uses_flat_scratch, 0
	.set _ZN9rocsparseL19gebsrmvn_1xn_kernelILj128ELj3ELj8E21rocsparse_complex_numIdEEEvi20rocsparse_direction_NS_24const_host_device_scalarIT2_EEPKiS8_PKS5_SA_S6_PS5_21rocsparse_index_base_b.has_dyn_sized_stack, 0
	.set _ZN9rocsparseL19gebsrmvn_1xn_kernelILj128ELj3ELj8E21rocsparse_complex_numIdEEEvi20rocsparse_direction_NS_24const_host_device_scalarIT2_EEPKiS8_PKS5_SA_S6_PS5_21rocsparse_index_base_b.has_recursion, 0
	.set _ZN9rocsparseL19gebsrmvn_1xn_kernelILj128ELj3ELj8E21rocsparse_complex_numIdEEEvi20rocsparse_direction_NS_24const_host_device_scalarIT2_EEPKiS8_PKS5_SA_S6_PS5_21rocsparse_index_base_b.has_indirect_call, 0
	.section	.AMDGPU.csdata,"",@progbits
; Kernel info:
; codeLenInByte = 1196
; TotalNumSgprs: 15
; NumVgprs: 44
; ScratchSize: 0
; MemoryBound: 0
; FloatMode: 240
; IeeeMode: 1
; LDSByteSize: 0 bytes/workgroup (compile time only)
; SGPRBlocks: 0
; VGPRBlocks: 5
; NumSGPRsForWavesPerEU: 15
; NumVGPRsForWavesPerEU: 44
; Occupancy: 16
; WaveLimiterHint : 1
; COMPUTE_PGM_RSRC2:SCRATCH_EN: 0
; COMPUTE_PGM_RSRC2:USER_SGPR: 6
; COMPUTE_PGM_RSRC2:TRAP_HANDLER: 0
; COMPUTE_PGM_RSRC2:TGID_X_EN: 1
; COMPUTE_PGM_RSRC2:TGID_Y_EN: 0
; COMPUTE_PGM_RSRC2:TGID_Z_EN: 0
; COMPUTE_PGM_RSRC2:TIDIG_COMP_CNT: 0
	.section	.text._ZN9rocsparseL19gebsrmvn_1xn_kernelILj128ELj3ELj16E21rocsparse_complex_numIdEEEvi20rocsparse_direction_NS_24const_host_device_scalarIT2_EEPKiS8_PKS5_SA_S6_PS5_21rocsparse_index_base_b,"axG",@progbits,_ZN9rocsparseL19gebsrmvn_1xn_kernelILj128ELj3ELj16E21rocsparse_complex_numIdEEEvi20rocsparse_direction_NS_24const_host_device_scalarIT2_EEPKiS8_PKS5_SA_S6_PS5_21rocsparse_index_base_b,comdat
	.globl	_ZN9rocsparseL19gebsrmvn_1xn_kernelILj128ELj3ELj16E21rocsparse_complex_numIdEEEvi20rocsparse_direction_NS_24const_host_device_scalarIT2_EEPKiS8_PKS5_SA_S6_PS5_21rocsparse_index_base_b ; -- Begin function _ZN9rocsparseL19gebsrmvn_1xn_kernelILj128ELj3ELj16E21rocsparse_complex_numIdEEEvi20rocsparse_direction_NS_24const_host_device_scalarIT2_EEPKiS8_PKS5_SA_S6_PS5_21rocsparse_index_base_b
	.p2align	8
	.type	_ZN9rocsparseL19gebsrmvn_1xn_kernelILj128ELj3ELj16E21rocsparse_complex_numIdEEEvi20rocsparse_direction_NS_24const_host_device_scalarIT2_EEPKiS8_PKS5_SA_S6_PS5_21rocsparse_index_base_b,@function
_ZN9rocsparseL19gebsrmvn_1xn_kernelILj128ELj3ELj16E21rocsparse_complex_numIdEEEvi20rocsparse_direction_NS_24const_host_device_scalarIT2_EEPKiS8_PKS5_SA_S6_PS5_21rocsparse_index_base_b: ; @_ZN9rocsparseL19gebsrmvn_1xn_kernelILj128ELj3ELj16E21rocsparse_complex_numIdEEEvi20rocsparse_direction_NS_24const_host_device_scalarIT2_EEPKiS8_PKS5_SA_S6_PS5_21rocsparse_index_base_b
; %bb.0:
	s_clause 0x1
	s_load_dwordx2 s[8:9], s[4:5], 0x50
	s_load_dwordx2 s[0:1], s[4:5], 0x8
	s_add_u32 s7, s4, 8
	s_addc_u32 s10, s5, 0
	s_add_u32 s11, s4, 56
	s_addc_u32 s12, s5, 0
	s_load_dwordx2 s[2:3], s[4:5], 0x38
	s_waitcnt lgkmcnt(0)
	s_bitcmp1_b32 s9, 0
	s_cselect_b32 s0, s7, s0
	s_cselect_b32 s1, s10, s1
	v_mov_b32_e32 v1, s0
	v_mov_b32_e32 v2, s1
	s_cselect_b32 s0, s11, s2
	s_cselect_b32 s1, s12, s3
	flat_load_dwordx4 v[5:8], v[1:2]
	v_mov_b32_e32 v1, s0
	v_mov_b32_e32 v2, s1
	flat_load_dwordx4 v[1:4], v[1:2]
	s_waitcnt vmcnt(1) lgkmcnt(1)
	v_cmp_eq_f64_e32 vcc_lo, 0, v[5:6]
	v_cmp_eq_f64_e64 s0, 0, v[7:8]
	s_and_b32 s2, vcc_lo, s0
	s_mov_b32 s0, -1
	s_and_saveexec_b32 s1, s2
	s_cbranch_execz .LBB235_2
; %bb.1:
	s_waitcnt vmcnt(0) lgkmcnt(0)
	v_cmp_neq_f64_e32 vcc_lo, 1.0, v[1:2]
	v_cmp_neq_f64_e64 s0, 0, v[3:4]
	s_or_b32 s0, vcc_lo, s0
	s_orn2_b32 s0, s0, exec_lo
.LBB235_2:
	s_or_b32 exec_lo, exec_lo, s1
	s_and_saveexec_b32 s1, s0
	s_cbranch_execz .LBB235_13
; %bb.3:
	s_load_dword s0, s[4:5], 0x0
	v_lshrrev_b32_e32 v9, 4, v0
	v_lshl_or_b32 v9, s6, 3, v9
	s_waitcnt lgkmcnt(0)
	v_cmp_gt_i32_e32 vcc_lo, s0, v9
	s_and_b32 exec_lo, exec_lo, vcc_lo
	s_cbranch_execz .LBB235_13
; %bb.4:
	s_clause 0x1
	s_load_dwordx2 s[0:1], s[4:5], 0x18
	s_load_dwordx2 s[6:7], s[4:5], 0x48
	v_ashrrev_i32_e32 v10, 31, v9
	v_and_b32_e32 v0, 15, v0
	s_mov_b32 s9, exec_lo
	v_lshlrev_b64 v[11:12], 2, v[9:10]
	v_subrev_nc_u32_e32 v13, s8, v0
	s_waitcnt lgkmcnt(0)
	v_add_co_u32 v11, vcc_lo, s0, v11
	v_add_co_ci_u32_e64 v12, null, s1, v12, vcc_lo
	global_load_dwordx2 v[11:12], v[11:12], off
	s_waitcnt vmcnt(0)
	v_subrev_nc_u32_e32 v19, s8, v12
	v_add_nc_u32_e32 v15, v11, v13
	v_mov_b32_e32 v11, 0
	v_mov_b32_e32 v13, 0
	;; [unrolled: 1-line block ×4, first 2 shown]
	v_cmpx_lt_i32_e64 v15, v19
	s_cbranch_execz .LBB235_8
; %bb.5:
	s_clause 0x1
	s_load_dwordx4 s[0:3], s[4:5], 0x20
	s_load_dwordx2 s[4:5], s[4:5], 0x30
	v_mov_b32_e32 v11, 0
	v_mov_b32_e32 v13, 0
	v_lshl_add_u32 v17, v15, 1, v15
	v_mov_b32_e32 v12, 0
	v_mov_b32_e32 v14, 0
	;; [unrolled: 1-line block ×3, first 2 shown]
	s_mov_b32 s10, 0
.LBB235_6:                              ; =>This Inner Loop Header: Depth=1
	v_ashrrev_i32_e32 v16, 31, v15
	v_mov_b32_e32 v37, v18
	v_add_nc_u32_e32 v28, 1, v17
	v_mov_b32_e32 v29, v18
	v_mov_b32_e32 v30, v18
	v_lshlrev_b64 v[20:21], 2, v[15:16]
	v_mov_b32_e32 v38, v18
	v_mov_b32_e32 v39, v18
	v_lshlrev_b64 v[31:32], 4, v[28:29]
	v_add_nc_u32_e32 v15, 16, v15
	s_waitcnt lgkmcnt(0)
	v_add_co_u32 v20, vcc_lo, s0, v20
	v_add_co_ci_u32_e64 v21, null, s1, v21, vcc_lo
	global_load_dword v16, v[20:21], off
	v_lshlrev_b64 v[20:21], 4, v[17:18]
	v_add_co_u32 v20, vcc_lo, s2, v20
	v_add_co_ci_u32_e64 v21, null, s3, v21, vcc_lo
	s_waitcnt vmcnt(0)
	v_subrev_nc_u32_e32 v16, s8, v16
	v_lshl_add_u32 v36, v16, 1, v16
	v_lshlrev_b64 v[22:23], 4, v[36:37]
	v_add_nc_u32_e32 v29, 1, v36
	v_add_nc_u32_e32 v37, 2, v17
	;; [unrolled: 1-line block ×3, first 2 shown]
	v_add_co_u32 v24, vcc_lo, s4, v22
	v_add_co_ci_u32_e64 v25, null, s5, v23, vcc_lo
	v_add_co_u32 v28, vcc_lo, s2, v31
	global_load_dwordx4 v[20:23], v[20:21], off
	global_load_dwordx4 v[24:27], v[24:25], off
	v_lshlrev_b64 v[30:31], 4, v[29:30]
	v_add_co_ci_u32_e64 v29, null, s3, v32, vcc_lo
	v_lshlrev_b64 v[40:41], 4, v[37:38]
	v_add_nc_u32_e32 v38, 2, v36
	v_add_co_u32 v32, vcc_lo, s4, v30
	v_add_co_ci_u32_e64 v33, null, s5, v31, vcc_lo
	global_load_dwordx4 v[28:31], v[28:29], off
	global_load_dwordx4 v[32:35], v[32:33], off
	v_lshlrev_b64 v[38:39], 4, v[38:39]
	v_add_co_u32 v36, vcc_lo, s2, v40
	v_add_co_ci_u32_e64 v37, null, s3, v41, vcc_lo
	v_add_co_u32 v40, vcc_lo, s4, v38
	v_add_co_ci_u32_e64 v41, null, s5, v39, vcc_lo
	global_load_dwordx4 v[36:39], v[36:37], off
	global_load_dwordx4 v[40:43], v[40:41], off
	v_cmp_ge_i32_e32 vcc_lo, v15, v19
	s_or_b32 s10, vcc_lo, s10
	s_waitcnt vmcnt(4)
	v_fma_f64 v[13:14], v[20:21], v[24:25], v[13:14]
	v_fma_f64 v[11:12], v[22:23], v[24:25], v[11:12]
	v_fma_f64 v[13:14], -v[22:23], v[26:27], v[13:14]
	v_fma_f64 v[11:12], v[20:21], v[26:27], v[11:12]
	s_waitcnt vmcnt(2)
	v_fma_f64 v[13:14], v[28:29], v[32:33], v[13:14]
	v_fma_f64 v[11:12], v[30:31], v[32:33], v[11:12]
	v_fma_f64 v[13:14], -v[30:31], v[34:35], v[13:14]
	v_fma_f64 v[11:12], v[28:29], v[34:35], v[11:12]
	;; [unrolled: 5-line block ×3, first 2 shown]
	s_andn2_b32 exec_lo, exec_lo, s10
	s_cbranch_execnz .LBB235_6
; %bb.7:
	s_or_b32 exec_lo, exec_lo, s10
.LBB235_8:
	s_or_b32 exec_lo, exec_lo, s9
	v_mbcnt_lo_u32_b32 v19, -1, 0
	v_xor_b32_e32 v15, 8, v19
	v_cmp_gt_i32_e32 vcc_lo, 32, v15
	v_cndmask_b32_e32 v15, v19, v15, vcc_lo
	v_lshlrev_b32_e32 v18, 2, v15
	ds_bpermute_b32 v15, v18, v13
	ds_bpermute_b32 v16, v18, v14
	;; [unrolled: 1-line block ×4, first 2 shown]
	s_waitcnt lgkmcnt(2)
	v_add_f64 v[13:14], v[13:14], v[15:16]
	v_xor_b32_e32 v15, 4, v19
	s_waitcnt lgkmcnt(0)
	v_add_f64 v[11:12], v[11:12], v[17:18]
	v_cmp_gt_i32_e32 vcc_lo, 32, v15
	v_cndmask_b32_e32 v15, v19, v15, vcc_lo
	v_lshlrev_b32_e32 v18, 2, v15
	ds_bpermute_b32 v15, v18, v13
	ds_bpermute_b32 v16, v18, v14
	;; [unrolled: 1-line block ×4, first 2 shown]
	s_waitcnt lgkmcnt(2)
	v_add_f64 v[13:14], v[13:14], v[15:16]
	s_waitcnt lgkmcnt(0)
	v_add_f64 v[15:16], v[11:12], v[17:18]
	v_xor_b32_e32 v11, 2, v19
	v_cmp_gt_i32_e32 vcc_lo, 32, v11
	v_cndmask_b32_e32 v11, v19, v11, vcc_lo
	v_lshlrev_b32_e32 v18, 2, v11
	ds_bpermute_b32 v11, v18, v13
	ds_bpermute_b32 v12, v18, v14
	ds_bpermute_b32 v17, v18, v15
	ds_bpermute_b32 v18, v18, v16
	s_waitcnt lgkmcnt(2)
	v_add_f64 v[11:12], v[13:14], v[11:12]
	s_waitcnt lgkmcnt(0)
	v_add_f64 v[13:14], v[15:16], v[17:18]
	v_xor_b32_e32 v15, 1, v19
	v_cmp_gt_i32_e32 vcc_lo, 32, v15
	v_cndmask_b32_e32 v15, v19, v15, vcc_lo
	v_cmp_eq_u32_e32 vcc_lo, 15, v0
	v_lshlrev_b32_e32 v18, 2, v15
	ds_bpermute_b32 v15, v18, v11
	ds_bpermute_b32 v16, v18, v12
	;; [unrolled: 1-line block ×4, first 2 shown]
	s_and_b32 exec_lo, exec_lo, vcc_lo
	s_cbranch_execz .LBB235_13
; %bb.9:
	s_waitcnt lgkmcnt(0)
	v_add_f64 v[13:14], v[13:14], v[17:18]
	v_add_f64 v[11:12], v[11:12], v[15:16]
	v_cmp_eq_f64_e32 vcc_lo, 0, v[1:2]
	v_cmp_eq_f64_e64 s0, 0, v[3:4]
	v_lshlrev_b64 v[9:10], 4, v[9:10]
	v_mul_f64 v[15:16], v[13:14], -v[7:8]
	v_mul_f64 v[13:14], v[5:6], v[13:14]
	s_and_b32 s0, vcc_lo, s0
	v_fma_f64 v[5:6], v[5:6], v[11:12], v[15:16]
	v_fma_f64 v[7:8], v[7:8], v[11:12], v[13:14]
	s_and_saveexec_b32 s1, s0
	s_xor_b32 s0, exec_lo, s1
	s_cbranch_execz .LBB235_11
; %bb.10:
	v_add_co_u32 v0, vcc_lo, s6, v9
	v_add_co_ci_u32_e64 v1, null, s7, v10, vcc_lo
                                        ; implicit-def: $vgpr9_vgpr10
	global_store_dwordx4 v[0:1], v[5:8], off
                                        ; implicit-def: $vgpr1_vgpr2
                                        ; implicit-def: $vgpr5_vgpr6
.LBB235_11:
	s_andn2_saveexec_b32 s0, s0
	s_cbranch_execz .LBB235_13
; %bb.12:
	v_add_co_u32 v13, vcc_lo, s6, v9
	v_add_co_ci_u32_e64 v14, null, s7, v10, vcc_lo
	global_load_dwordx4 v[9:12], v[13:14], off
	s_waitcnt vmcnt(0)
	v_fma_f64 v[5:6], v[1:2], v[9:10], v[5:6]
	v_fma_f64 v[7:8], v[3:4], v[9:10], v[7:8]
	v_fma_f64 v[3:4], -v[3:4], v[11:12], v[5:6]
	v_fma_f64 v[5:6], v[1:2], v[11:12], v[7:8]
	global_store_dwordx4 v[13:14], v[3:6], off
.LBB235_13:
	s_endpgm
	.section	.rodata,"a",@progbits
	.p2align	6, 0x0
	.amdhsa_kernel _ZN9rocsparseL19gebsrmvn_1xn_kernelILj128ELj3ELj16E21rocsparse_complex_numIdEEEvi20rocsparse_direction_NS_24const_host_device_scalarIT2_EEPKiS8_PKS5_SA_S6_PS5_21rocsparse_index_base_b
		.amdhsa_group_segment_fixed_size 0
		.amdhsa_private_segment_fixed_size 0
		.amdhsa_kernarg_size 88
		.amdhsa_user_sgpr_count 6
		.amdhsa_user_sgpr_private_segment_buffer 1
		.amdhsa_user_sgpr_dispatch_ptr 0
		.amdhsa_user_sgpr_queue_ptr 0
		.amdhsa_user_sgpr_kernarg_segment_ptr 1
		.amdhsa_user_sgpr_dispatch_id 0
		.amdhsa_user_sgpr_flat_scratch_init 0
		.amdhsa_user_sgpr_private_segment_size 0
		.amdhsa_wavefront_size32 1
		.amdhsa_uses_dynamic_stack 0
		.amdhsa_system_sgpr_private_segment_wavefront_offset 0
		.amdhsa_system_sgpr_workgroup_id_x 1
		.amdhsa_system_sgpr_workgroup_id_y 0
		.amdhsa_system_sgpr_workgroup_id_z 0
		.amdhsa_system_sgpr_workgroup_info 0
		.amdhsa_system_vgpr_workitem_id 0
		.amdhsa_next_free_vgpr 44
		.amdhsa_next_free_sgpr 13
		.amdhsa_reserve_vcc 1
		.amdhsa_reserve_flat_scratch 0
		.amdhsa_float_round_mode_32 0
		.amdhsa_float_round_mode_16_64 0
		.amdhsa_float_denorm_mode_32 3
		.amdhsa_float_denorm_mode_16_64 3
		.amdhsa_dx10_clamp 1
		.amdhsa_ieee_mode 1
		.amdhsa_fp16_overflow 0
		.amdhsa_workgroup_processor_mode 1
		.amdhsa_memory_ordered 1
		.amdhsa_forward_progress 1
		.amdhsa_shared_vgpr_count 0
		.amdhsa_exception_fp_ieee_invalid_op 0
		.amdhsa_exception_fp_denorm_src 0
		.amdhsa_exception_fp_ieee_div_zero 0
		.amdhsa_exception_fp_ieee_overflow 0
		.amdhsa_exception_fp_ieee_underflow 0
		.amdhsa_exception_fp_ieee_inexact 0
		.amdhsa_exception_int_div_zero 0
	.end_amdhsa_kernel
	.section	.text._ZN9rocsparseL19gebsrmvn_1xn_kernelILj128ELj3ELj16E21rocsparse_complex_numIdEEEvi20rocsparse_direction_NS_24const_host_device_scalarIT2_EEPKiS8_PKS5_SA_S6_PS5_21rocsparse_index_base_b,"axG",@progbits,_ZN9rocsparseL19gebsrmvn_1xn_kernelILj128ELj3ELj16E21rocsparse_complex_numIdEEEvi20rocsparse_direction_NS_24const_host_device_scalarIT2_EEPKiS8_PKS5_SA_S6_PS5_21rocsparse_index_base_b,comdat
.Lfunc_end235:
	.size	_ZN9rocsparseL19gebsrmvn_1xn_kernelILj128ELj3ELj16E21rocsparse_complex_numIdEEEvi20rocsparse_direction_NS_24const_host_device_scalarIT2_EEPKiS8_PKS5_SA_S6_PS5_21rocsparse_index_base_b, .Lfunc_end235-_ZN9rocsparseL19gebsrmvn_1xn_kernelILj128ELj3ELj16E21rocsparse_complex_numIdEEEvi20rocsparse_direction_NS_24const_host_device_scalarIT2_EEPKiS8_PKS5_SA_S6_PS5_21rocsparse_index_base_b
                                        ; -- End function
	.set _ZN9rocsparseL19gebsrmvn_1xn_kernelILj128ELj3ELj16E21rocsparse_complex_numIdEEEvi20rocsparse_direction_NS_24const_host_device_scalarIT2_EEPKiS8_PKS5_SA_S6_PS5_21rocsparse_index_base_b.num_vgpr, 44
	.set _ZN9rocsparseL19gebsrmvn_1xn_kernelILj128ELj3ELj16E21rocsparse_complex_numIdEEEvi20rocsparse_direction_NS_24const_host_device_scalarIT2_EEPKiS8_PKS5_SA_S6_PS5_21rocsparse_index_base_b.num_agpr, 0
	.set _ZN9rocsparseL19gebsrmvn_1xn_kernelILj128ELj3ELj16E21rocsparse_complex_numIdEEEvi20rocsparse_direction_NS_24const_host_device_scalarIT2_EEPKiS8_PKS5_SA_S6_PS5_21rocsparse_index_base_b.numbered_sgpr, 13
	.set _ZN9rocsparseL19gebsrmvn_1xn_kernelILj128ELj3ELj16E21rocsparse_complex_numIdEEEvi20rocsparse_direction_NS_24const_host_device_scalarIT2_EEPKiS8_PKS5_SA_S6_PS5_21rocsparse_index_base_b.num_named_barrier, 0
	.set _ZN9rocsparseL19gebsrmvn_1xn_kernelILj128ELj3ELj16E21rocsparse_complex_numIdEEEvi20rocsparse_direction_NS_24const_host_device_scalarIT2_EEPKiS8_PKS5_SA_S6_PS5_21rocsparse_index_base_b.private_seg_size, 0
	.set _ZN9rocsparseL19gebsrmvn_1xn_kernelILj128ELj3ELj16E21rocsparse_complex_numIdEEEvi20rocsparse_direction_NS_24const_host_device_scalarIT2_EEPKiS8_PKS5_SA_S6_PS5_21rocsparse_index_base_b.uses_vcc, 1
	.set _ZN9rocsparseL19gebsrmvn_1xn_kernelILj128ELj3ELj16E21rocsparse_complex_numIdEEEvi20rocsparse_direction_NS_24const_host_device_scalarIT2_EEPKiS8_PKS5_SA_S6_PS5_21rocsparse_index_base_b.uses_flat_scratch, 0
	.set _ZN9rocsparseL19gebsrmvn_1xn_kernelILj128ELj3ELj16E21rocsparse_complex_numIdEEEvi20rocsparse_direction_NS_24const_host_device_scalarIT2_EEPKiS8_PKS5_SA_S6_PS5_21rocsparse_index_base_b.has_dyn_sized_stack, 0
	.set _ZN9rocsparseL19gebsrmvn_1xn_kernelILj128ELj3ELj16E21rocsparse_complex_numIdEEEvi20rocsparse_direction_NS_24const_host_device_scalarIT2_EEPKiS8_PKS5_SA_S6_PS5_21rocsparse_index_base_b.has_recursion, 0
	.set _ZN9rocsparseL19gebsrmvn_1xn_kernelILj128ELj3ELj16E21rocsparse_complex_numIdEEEvi20rocsparse_direction_NS_24const_host_device_scalarIT2_EEPKiS8_PKS5_SA_S6_PS5_21rocsparse_index_base_b.has_indirect_call, 0
	.section	.AMDGPU.csdata,"",@progbits
; Kernel info:
; codeLenInByte = 1268
; TotalNumSgprs: 15
; NumVgprs: 44
; ScratchSize: 0
; MemoryBound: 0
; FloatMode: 240
; IeeeMode: 1
; LDSByteSize: 0 bytes/workgroup (compile time only)
; SGPRBlocks: 0
; VGPRBlocks: 5
; NumSGPRsForWavesPerEU: 15
; NumVGPRsForWavesPerEU: 44
; Occupancy: 16
; WaveLimiterHint : 1
; COMPUTE_PGM_RSRC2:SCRATCH_EN: 0
; COMPUTE_PGM_RSRC2:USER_SGPR: 6
; COMPUTE_PGM_RSRC2:TRAP_HANDLER: 0
; COMPUTE_PGM_RSRC2:TGID_X_EN: 1
; COMPUTE_PGM_RSRC2:TGID_Y_EN: 0
; COMPUTE_PGM_RSRC2:TGID_Z_EN: 0
; COMPUTE_PGM_RSRC2:TIDIG_COMP_CNT: 0
	.section	.text._ZN9rocsparseL19gebsrmvn_1xn_kernelILj128ELj3ELj32E21rocsparse_complex_numIdEEEvi20rocsparse_direction_NS_24const_host_device_scalarIT2_EEPKiS8_PKS5_SA_S6_PS5_21rocsparse_index_base_b,"axG",@progbits,_ZN9rocsparseL19gebsrmvn_1xn_kernelILj128ELj3ELj32E21rocsparse_complex_numIdEEEvi20rocsparse_direction_NS_24const_host_device_scalarIT2_EEPKiS8_PKS5_SA_S6_PS5_21rocsparse_index_base_b,comdat
	.globl	_ZN9rocsparseL19gebsrmvn_1xn_kernelILj128ELj3ELj32E21rocsparse_complex_numIdEEEvi20rocsparse_direction_NS_24const_host_device_scalarIT2_EEPKiS8_PKS5_SA_S6_PS5_21rocsparse_index_base_b ; -- Begin function _ZN9rocsparseL19gebsrmvn_1xn_kernelILj128ELj3ELj32E21rocsparse_complex_numIdEEEvi20rocsparse_direction_NS_24const_host_device_scalarIT2_EEPKiS8_PKS5_SA_S6_PS5_21rocsparse_index_base_b
	.p2align	8
	.type	_ZN9rocsparseL19gebsrmvn_1xn_kernelILj128ELj3ELj32E21rocsparse_complex_numIdEEEvi20rocsparse_direction_NS_24const_host_device_scalarIT2_EEPKiS8_PKS5_SA_S6_PS5_21rocsparse_index_base_b,@function
_ZN9rocsparseL19gebsrmvn_1xn_kernelILj128ELj3ELj32E21rocsparse_complex_numIdEEEvi20rocsparse_direction_NS_24const_host_device_scalarIT2_EEPKiS8_PKS5_SA_S6_PS5_21rocsparse_index_base_b: ; @_ZN9rocsparseL19gebsrmvn_1xn_kernelILj128ELj3ELj32E21rocsparse_complex_numIdEEEvi20rocsparse_direction_NS_24const_host_device_scalarIT2_EEPKiS8_PKS5_SA_S6_PS5_21rocsparse_index_base_b
; %bb.0:
	s_clause 0x1
	s_load_dwordx2 s[8:9], s[4:5], 0x50
	s_load_dwordx2 s[0:1], s[4:5], 0x8
	s_add_u32 s7, s4, 8
	s_addc_u32 s10, s5, 0
	s_add_u32 s11, s4, 56
	s_addc_u32 s12, s5, 0
	s_load_dwordx2 s[2:3], s[4:5], 0x38
	s_waitcnt lgkmcnt(0)
	s_bitcmp1_b32 s9, 0
	s_cselect_b32 s0, s7, s0
	s_cselect_b32 s1, s10, s1
	v_mov_b32_e32 v1, s0
	v_mov_b32_e32 v2, s1
	s_cselect_b32 s0, s11, s2
	s_cselect_b32 s1, s12, s3
	flat_load_dwordx4 v[5:8], v[1:2]
	v_mov_b32_e32 v1, s0
	v_mov_b32_e32 v2, s1
	flat_load_dwordx4 v[1:4], v[1:2]
	s_waitcnt vmcnt(1) lgkmcnt(1)
	v_cmp_eq_f64_e32 vcc_lo, 0, v[5:6]
	v_cmp_eq_f64_e64 s0, 0, v[7:8]
	s_and_b32 s2, vcc_lo, s0
	s_mov_b32 s0, -1
	s_and_saveexec_b32 s1, s2
	s_cbranch_execz .LBB236_2
; %bb.1:
	s_waitcnt vmcnt(0) lgkmcnt(0)
	v_cmp_neq_f64_e32 vcc_lo, 1.0, v[1:2]
	v_cmp_neq_f64_e64 s0, 0, v[3:4]
	s_or_b32 s0, vcc_lo, s0
	s_orn2_b32 s0, s0, exec_lo
.LBB236_2:
	s_or_b32 exec_lo, exec_lo, s1
	s_and_saveexec_b32 s1, s0
	s_cbranch_execz .LBB236_13
; %bb.3:
	s_load_dword s0, s[4:5], 0x0
	v_lshrrev_b32_e32 v9, 5, v0
	v_lshl_or_b32 v9, s6, 2, v9
	s_waitcnt lgkmcnt(0)
	v_cmp_gt_i32_e32 vcc_lo, s0, v9
	s_and_b32 exec_lo, exec_lo, vcc_lo
	s_cbranch_execz .LBB236_13
; %bb.4:
	s_clause 0x1
	s_load_dwordx2 s[0:1], s[4:5], 0x18
	s_load_dwordx2 s[6:7], s[4:5], 0x48
	v_ashrrev_i32_e32 v10, 31, v9
	v_and_b32_e32 v0, 31, v0
	s_mov_b32 s9, exec_lo
	v_lshlrev_b64 v[11:12], 2, v[9:10]
	v_subrev_nc_u32_e32 v13, s8, v0
	s_waitcnt lgkmcnt(0)
	v_add_co_u32 v11, vcc_lo, s0, v11
	v_add_co_ci_u32_e64 v12, null, s1, v12, vcc_lo
	global_load_dwordx2 v[11:12], v[11:12], off
	s_waitcnt vmcnt(0)
	v_subrev_nc_u32_e32 v19, s8, v12
	v_add_nc_u32_e32 v15, v11, v13
	v_mov_b32_e32 v11, 0
	v_mov_b32_e32 v13, 0
	;; [unrolled: 1-line block ×4, first 2 shown]
	v_cmpx_lt_i32_e64 v15, v19
	s_cbranch_execz .LBB236_8
; %bb.5:
	s_clause 0x1
	s_load_dwordx4 s[0:3], s[4:5], 0x20
	s_load_dwordx2 s[4:5], s[4:5], 0x30
	v_mov_b32_e32 v11, 0
	v_mov_b32_e32 v13, 0
	v_lshl_add_u32 v17, v15, 1, v15
	v_mov_b32_e32 v12, 0
	v_mov_b32_e32 v14, 0
	;; [unrolled: 1-line block ×3, first 2 shown]
	s_mov_b32 s10, 0
.LBB236_6:                              ; =>This Inner Loop Header: Depth=1
	v_ashrrev_i32_e32 v16, 31, v15
	v_mov_b32_e32 v37, v18
	v_add_nc_u32_e32 v28, 1, v17
	v_mov_b32_e32 v29, v18
	v_mov_b32_e32 v30, v18
	v_lshlrev_b64 v[20:21], 2, v[15:16]
	v_mov_b32_e32 v38, v18
	v_mov_b32_e32 v39, v18
	v_lshlrev_b64 v[31:32], 4, v[28:29]
	v_add_nc_u32_e32 v15, 32, v15
	s_waitcnt lgkmcnt(0)
	v_add_co_u32 v20, vcc_lo, s0, v20
	v_add_co_ci_u32_e64 v21, null, s1, v21, vcc_lo
	global_load_dword v16, v[20:21], off
	v_lshlrev_b64 v[20:21], 4, v[17:18]
	v_add_co_u32 v20, vcc_lo, s2, v20
	v_add_co_ci_u32_e64 v21, null, s3, v21, vcc_lo
	s_waitcnt vmcnt(0)
	v_subrev_nc_u32_e32 v16, s8, v16
	v_lshl_add_u32 v36, v16, 1, v16
	v_lshlrev_b64 v[22:23], 4, v[36:37]
	v_add_nc_u32_e32 v29, 1, v36
	v_add_nc_u32_e32 v37, 2, v17
	;; [unrolled: 1-line block ×3, first 2 shown]
	v_add_co_u32 v24, vcc_lo, s4, v22
	v_add_co_ci_u32_e64 v25, null, s5, v23, vcc_lo
	v_add_co_u32 v28, vcc_lo, s2, v31
	global_load_dwordx4 v[20:23], v[20:21], off
	global_load_dwordx4 v[24:27], v[24:25], off
	v_lshlrev_b64 v[30:31], 4, v[29:30]
	v_add_co_ci_u32_e64 v29, null, s3, v32, vcc_lo
	v_lshlrev_b64 v[40:41], 4, v[37:38]
	v_add_nc_u32_e32 v38, 2, v36
	v_add_co_u32 v32, vcc_lo, s4, v30
	v_add_co_ci_u32_e64 v33, null, s5, v31, vcc_lo
	global_load_dwordx4 v[28:31], v[28:29], off
	global_load_dwordx4 v[32:35], v[32:33], off
	v_lshlrev_b64 v[38:39], 4, v[38:39]
	v_add_co_u32 v36, vcc_lo, s2, v40
	v_add_co_ci_u32_e64 v37, null, s3, v41, vcc_lo
	v_add_co_u32 v40, vcc_lo, s4, v38
	v_add_co_ci_u32_e64 v41, null, s5, v39, vcc_lo
	global_load_dwordx4 v[36:39], v[36:37], off
	global_load_dwordx4 v[40:43], v[40:41], off
	v_cmp_ge_i32_e32 vcc_lo, v15, v19
	s_or_b32 s10, vcc_lo, s10
	s_waitcnt vmcnt(4)
	v_fma_f64 v[13:14], v[20:21], v[24:25], v[13:14]
	v_fma_f64 v[11:12], v[22:23], v[24:25], v[11:12]
	v_fma_f64 v[13:14], -v[22:23], v[26:27], v[13:14]
	v_fma_f64 v[11:12], v[20:21], v[26:27], v[11:12]
	s_waitcnt vmcnt(2)
	v_fma_f64 v[13:14], v[28:29], v[32:33], v[13:14]
	v_fma_f64 v[11:12], v[30:31], v[32:33], v[11:12]
	v_fma_f64 v[13:14], -v[30:31], v[34:35], v[13:14]
	v_fma_f64 v[11:12], v[28:29], v[34:35], v[11:12]
	;; [unrolled: 5-line block ×3, first 2 shown]
	s_andn2_b32 exec_lo, exec_lo, s10
	s_cbranch_execnz .LBB236_6
; %bb.7:
	s_or_b32 exec_lo, exec_lo, s10
.LBB236_8:
	s_or_b32 exec_lo, exec_lo, s9
	v_mbcnt_lo_u32_b32 v19, -1, 0
	v_xor_b32_e32 v15, 16, v19
	v_cmp_gt_i32_e32 vcc_lo, 32, v15
	v_cndmask_b32_e32 v15, v19, v15, vcc_lo
	v_lshlrev_b32_e32 v18, 2, v15
	ds_bpermute_b32 v15, v18, v13
	ds_bpermute_b32 v16, v18, v14
	;; [unrolled: 1-line block ×4, first 2 shown]
	s_waitcnt lgkmcnt(2)
	v_add_f64 v[13:14], v[13:14], v[15:16]
	v_xor_b32_e32 v15, 8, v19
	s_waitcnt lgkmcnt(0)
	v_add_f64 v[11:12], v[11:12], v[17:18]
	v_cmp_gt_i32_e32 vcc_lo, 32, v15
	v_cndmask_b32_e32 v15, v19, v15, vcc_lo
	v_lshlrev_b32_e32 v18, 2, v15
	ds_bpermute_b32 v15, v18, v13
	ds_bpermute_b32 v16, v18, v14
	;; [unrolled: 1-line block ×4, first 2 shown]
	s_waitcnt lgkmcnt(2)
	v_add_f64 v[13:14], v[13:14], v[15:16]
	v_xor_b32_e32 v15, 4, v19
	s_waitcnt lgkmcnt(0)
	v_add_f64 v[11:12], v[11:12], v[17:18]
	v_cmp_gt_i32_e32 vcc_lo, 32, v15
	v_cndmask_b32_e32 v15, v19, v15, vcc_lo
	v_lshlrev_b32_e32 v18, 2, v15
	ds_bpermute_b32 v15, v18, v13
	ds_bpermute_b32 v16, v18, v14
	;; [unrolled: 1-line block ×4, first 2 shown]
	s_waitcnt lgkmcnt(2)
	v_add_f64 v[13:14], v[13:14], v[15:16]
	s_waitcnt lgkmcnt(0)
	v_add_f64 v[15:16], v[11:12], v[17:18]
	v_xor_b32_e32 v11, 2, v19
	v_cmp_gt_i32_e32 vcc_lo, 32, v11
	v_cndmask_b32_e32 v11, v19, v11, vcc_lo
	v_lshlrev_b32_e32 v18, 2, v11
	ds_bpermute_b32 v11, v18, v13
	ds_bpermute_b32 v12, v18, v14
	;; [unrolled: 1-line block ×4, first 2 shown]
	s_waitcnt lgkmcnt(2)
	v_add_f64 v[11:12], v[13:14], v[11:12]
	s_waitcnt lgkmcnt(0)
	v_add_f64 v[13:14], v[15:16], v[17:18]
	v_xor_b32_e32 v15, 1, v19
	v_cmp_gt_i32_e32 vcc_lo, 32, v15
	v_cndmask_b32_e32 v15, v19, v15, vcc_lo
	v_cmp_eq_u32_e32 vcc_lo, 31, v0
	v_lshlrev_b32_e32 v18, 2, v15
	ds_bpermute_b32 v15, v18, v11
	ds_bpermute_b32 v16, v18, v12
	;; [unrolled: 1-line block ×4, first 2 shown]
	s_and_b32 exec_lo, exec_lo, vcc_lo
	s_cbranch_execz .LBB236_13
; %bb.9:
	s_waitcnt lgkmcnt(0)
	v_add_f64 v[13:14], v[13:14], v[17:18]
	v_add_f64 v[11:12], v[11:12], v[15:16]
	v_cmp_eq_f64_e32 vcc_lo, 0, v[1:2]
	v_cmp_eq_f64_e64 s0, 0, v[3:4]
	v_lshlrev_b64 v[9:10], 4, v[9:10]
	v_mul_f64 v[15:16], v[13:14], -v[7:8]
	v_mul_f64 v[13:14], v[5:6], v[13:14]
	s_and_b32 s0, vcc_lo, s0
	v_fma_f64 v[5:6], v[5:6], v[11:12], v[15:16]
	v_fma_f64 v[7:8], v[7:8], v[11:12], v[13:14]
	s_and_saveexec_b32 s1, s0
	s_xor_b32 s0, exec_lo, s1
	s_cbranch_execz .LBB236_11
; %bb.10:
	v_add_co_u32 v0, vcc_lo, s6, v9
	v_add_co_ci_u32_e64 v1, null, s7, v10, vcc_lo
                                        ; implicit-def: $vgpr9_vgpr10
	global_store_dwordx4 v[0:1], v[5:8], off
                                        ; implicit-def: $vgpr1_vgpr2
                                        ; implicit-def: $vgpr5_vgpr6
.LBB236_11:
	s_andn2_saveexec_b32 s0, s0
	s_cbranch_execz .LBB236_13
; %bb.12:
	v_add_co_u32 v13, vcc_lo, s6, v9
	v_add_co_ci_u32_e64 v14, null, s7, v10, vcc_lo
	global_load_dwordx4 v[9:12], v[13:14], off
	s_waitcnt vmcnt(0)
	v_fma_f64 v[5:6], v[1:2], v[9:10], v[5:6]
	v_fma_f64 v[7:8], v[3:4], v[9:10], v[7:8]
	v_fma_f64 v[3:4], -v[3:4], v[11:12], v[5:6]
	v_fma_f64 v[5:6], v[1:2], v[11:12], v[7:8]
	global_store_dwordx4 v[13:14], v[3:6], off
.LBB236_13:
	s_endpgm
	.section	.rodata,"a",@progbits
	.p2align	6, 0x0
	.amdhsa_kernel _ZN9rocsparseL19gebsrmvn_1xn_kernelILj128ELj3ELj32E21rocsparse_complex_numIdEEEvi20rocsparse_direction_NS_24const_host_device_scalarIT2_EEPKiS8_PKS5_SA_S6_PS5_21rocsparse_index_base_b
		.amdhsa_group_segment_fixed_size 0
		.amdhsa_private_segment_fixed_size 0
		.amdhsa_kernarg_size 88
		.amdhsa_user_sgpr_count 6
		.amdhsa_user_sgpr_private_segment_buffer 1
		.amdhsa_user_sgpr_dispatch_ptr 0
		.amdhsa_user_sgpr_queue_ptr 0
		.amdhsa_user_sgpr_kernarg_segment_ptr 1
		.amdhsa_user_sgpr_dispatch_id 0
		.amdhsa_user_sgpr_flat_scratch_init 0
		.amdhsa_user_sgpr_private_segment_size 0
		.amdhsa_wavefront_size32 1
		.amdhsa_uses_dynamic_stack 0
		.amdhsa_system_sgpr_private_segment_wavefront_offset 0
		.amdhsa_system_sgpr_workgroup_id_x 1
		.amdhsa_system_sgpr_workgroup_id_y 0
		.amdhsa_system_sgpr_workgroup_id_z 0
		.amdhsa_system_sgpr_workgroup_info 0
		.amdhsa_system_vgpr_workitem_id 0
		.amdhsa_next_free_vgpr 44
		.amdhsa_next_free_sgpr 13
		.amdhsa_reserve_vcc 1
		.amdhsa_reserve_flat_scratch 0
		.amdhsa_float_round_mode_32 0
		.amdhsa_float_round_mode_16_64 0
		.amdhsa_float_denorm_mode_32 3
		.amdhsa_float_denorm_mode_16_64 3
		.amdhsa_dx10_clamp 1
		.amdhsa_ieee_mode 1
		.amdhsa_fp16_overflow 0
		.amdhsa_workgroup_processor_mode 1
		.amdhsa_memory_ordered 1
		.amdhsa_forward_progress 1
		.amdhsa_shared_vgpr_count 0
		.amdhsa_exception_fp_ieee_invalid_op 0
		.amdhsa_exception_fp_denorm_src 0
		.amdhsa_exception_fp_ieee_div_zero 0
		.amdhsa_exception_fp_ieee_overflow 0
		.amdhsa_exception_fp_ieee_underflow 0
		.amdhsa_exception_fp_ieee_inexact 0
		.amdhsa_exception_int_div_zero 0
	.end_amdhsa_kernel
	.section	.text._ZN9rocsparseL19gebsrmvn_1xn_kernelILj128ELj3ELj32E21rocsparse_complex_numIdEEEvi20rocsparse_direction_NS_24const_host_device_scalarIT2_EEPKiS8_PKS5_SA_S6_PS5_21rocsparse_index_base_b,"axG",@progbits,_ZN9rocsparseL19gebsrmvn_1xn_kernelILj128ELj3ELj32E21rocsparse_complex_numIdEEEvi20rocsparse_direction_NS_24const_host_device_scalarIT2_EEPKiS8_PKS5_SA_S6_PS5_21rocsparse_index_base_b,comdat
.Lfunc_end236:
	.size	_ZN9rocsparseL19gebsrmvn_1xn_kernelILj128ELj3ELj32E21rocsparse_complex_numIdEEEvi20rocsparse_direction_NS_24const_host_device_scalarIT2_EEPKiS8_PKS5_SA_S6_PS5_21rocsparse_index_base_b, .Lfunc_end236-_ZN9rocsparseL19gebsrmvn_1xn_kernelILj128ELj3ELj32E21rocsparse_complex_numIdEEEvi20rocsparse_direction_NS_24const_host_device_scalarIT2_EEPKiS8_PKS5_SA_S6_PS5_21rocsparse_index_base_b
                                        ; -- End function
	.set _ZN9rocsparseL19gebsrmvn_1xn_kernelILj128ELj3ELj32E21rocsparse_complex_numIdEEEvi20rocsparse_direction_NS_24const_host_device_scalarIT2_EEPKiS8_PKS5_SA_S6_PS5_21rocsparse_index_base_b.num_vgpr, 44
	.set _ZN9rocsparseL19gebsrmvn_1xn_kernelILj128ELj3ELj32E21rocsparse_complex_numIdEEEvi20rocsparse_direction_NS_24const_host_device_scalarIT2_EEPKiS8_PKS5_SA_S6_PS5_21rocsparse_index_base_b.num_agpr, 0
	.set _ZN9rocsparseL19gebsrmvn_1xn_kernelILj128ELj3ELj32E21rocsparse_complex_numIdEEEvi20rocsparse_direction_NS_24const_host_device_scalarIT2_EEPKiS8_PKS5_SA_S6_PS5_21rocsparse_index_base_b.numbered_sgpr, 13
	.set _ZN9rocsparseL19gebsrmvn_1xn_kernelILj128ELj3ELj32E21rocsparse_complex_numIdEEEvi20rocsparse_direction_NS_24const_host_device_scalarIT2_EEPKiS8_PKS5_SA_S6_PS5_21rocsparse_index_base_b.num_named_barrier, 0
	.set _ZN9rocsparseL19gebsrmvn_1xn_kernelILj128ELj3ELj32E21rocsparse_complex_numIdEEEvi20rocsparse_direction_NS_24const_host_device_scalarIT2_EEPKiS8_PKS5_SA_S6_PS5_21rocsparse_index_base_b.private_seg_size, 0
	.set _ZN9rocsparseL19gebsrmvn_1xn_kernelILj128ELj3ELj32E21rocsparse_complex_numIdEEEvi20rocsparse_direction_NS_24const_host_device_scalarIT2_EEPKiS8_PKS5_SA_S6_PS5_21rocsparse_index_base_b.uses_vcc, 1
	.set _ZN9rocsparseL19gebsrmvn_1xn_kernelILj128ELj3ELj32E21rocsparse_complex_numIdEEEvi20rocsparse_direction_NS_24const_host_device_scalarIT2_EEPKiS8_PKS5_SA_S6_PS5_21rocsparse_index_base_b.uses_flat_scratch, 0
	.set _ZN9rocsparseL19gebsrmvn_1xn_kernelILj128ELj3ELj32E21rocsparse_complex_numIdEEEvi20rocsparse_direction_NS_24const_host_device_scalarIT2_EEPKiS8_PKS5_SA_S6_PS5_21rocsparse_index_base_b.has_dyn_sized_stack, 0
	.set _ZN9rocsparseL19gebsrmvn_1xn_kernelILj128ELj3ELj32E21rocsparse_complex_numIdEEEvi20rocsparse_direction_NS_24const_host_device_scalarIT2_EEPKiS8_PKS5_SA_S6_PS5_21rocsparse_index_base_b.has_recursion, 0
	.set _ZN9rocsparseL19gebsrmvn_1xn_kernelILj128ELj3ELj32E21rocsparse_complex_numIdEEEvi20rocsparse_direction_NS_24const_host_device_scalarIT2_EEPKiS8_PKS5_SA_S6_PS5_21rocsparse_index_base_b.has_indirect_call, 0
	.section	.AMDGPU.csdata,"",@progbits
; Kernel info:
; codeLenInByte = 1344
; TotalNumSgprs: 15
; NumVgprs: 44
; ScratchSize: 0
; MemoryBound: 0
; FloatMode: 240
; IeeeMode: 1
; LDSByteSize: 0 bytes/workgroup (compile time only)
; SGPRBlocks: 0
; VGPRBlocks: 5
; NumSGPRsForWavesPerEU: 15
; NumVGPRsForWavesPerEU: 44
; Occupancy: 16
; WaveLimiterHint : 1
; COMPUTE_PGM_RSRC2:SCRATCH_EN: 0
; COMPUTE_PGM_RSRC2:USER_SGPR: 6
; COMPUTE_PGM_RSRC2:TRAP_HANDLER: 0
; COMPUTE_PGM_RSRC2:TGID_X_EN: 1
; COMPUTE_PGM_RSRC2:TGID_Y_EN: 0
; COMPUTE_PGM_RSRC2:TGID_Z_EN: 0
; COMPUTE_PGM_RSRC2:TIDIG_COMP_CNT: 0
	.section	.text._ZN9rocsparseL19gebsrmvn_1xn_kernelILj128ELj3ELj64E21rocsparse_complex_numIdEEEvi20rocsparse_direction_NS_24const_host_device_scalarIT2_EEPKiS8_PKS5_SA_S6_PS5_21rocsparse_index_base_b,"axG",@progbits,_ZN9rocsparseL19gebsrmvn_1xn_kernelILj128ELj3ELj64E21rocsparse_complex_numIdEEEvi20rocsparse_direction_NS_24const_host_device_scalarIT2_EEPKiS8_PKS5_SA_S6_PS5_21rocsparse_index_base_b,comdat
	.globl	_ZN9rocsparseL19gebsrmvn_1xn_kernelILj128ELj3ELj64E21rocsparse_complex_numIdEEEvi20rocsparse_direction_NS_24const_host_device_scalarIT2_EEPKiS8_PKS5_SA_S6_PS5_21rocsparse_index_base_b ; -- Begin function _ZN9rocsparseL19gebsrmvn_1xn_kernelILj128ELj3ELj64E21rocsparse_complex_numIdEEEvi20rocsparse_direction_NS_24const_host_device_scalarIT2_EEPKiS8_PKS5_SA_S6_PS5_21rocsparse_index_base_b
	.p2align	8
	.type	_ZN9rocsparseL19gebsrmvn_1xn_kernelILj128ELj3ELj64E21rocsparse_complex_numIdEEEvi20rocsparse_direction_NS_24const_host_device_scalarIT2_EEPKiS8_PKS5_SA_S6_PS5_21rocsparse_index_base_b,@function
_ZN9rocsparseL19gebsrmvn_1xn_kernelILj128ELj3ELj64E21rocsparse_complex_numIdEEEvi20rocsparse_direction_NS_24const_host_device_scalarIT2_EEPKiS8_PKS5_SA_S6_PS5_21rocsparse_index_base_b: ; @_ZN9rocsparseL19gebsrmvn_1xn_kernelILj128ELj3ELj64E21rocsparse_complex_numIdEEEvi20rocsparse_direction_NS_24const_host_device_scalarIT2_EEPKiS8_PKS5_SA_S6_PS5_21rocsparse_index_base_b
; %bb.0:
	s_clause 0x1
	s_load_dwordx2 s[8:9], s[4:5], 0x50
	s_load_dwordx2 s[0:1], s[4:5], 0x8
	s_add_u32 s7, s4, 8
	s_addc_u32 s10, s5, 0
	s_add_u32 s11, s4, 56
	s_addc_u32 s12, s5, 0
	s_load_dwordx2 s[2:3], s[4:5], 0x38
	s_waitcnt lgkmcnt(0)
	s_bitcmp1_b32 s9, 0
	s_cselect_b32 s0, s7, s0
	s_cselect_b32 s1, s10, s1
	v_mov_b32_e32 v1, s0
	v_mov_b32_e32 v2, s1
	s_cselect_b32 s0, s11, s2
	s_cselect_b32 s1, s12, s3
	flat_load_dwordx4 v[5:8], v[1:2]
	v_mov_b32_e32 v1, s0
	v_mov_b32_e32 v2, s1
	flat_load_dwordx4 v[1:4], v[1:2]
	s_waitcnt vmcnt(1) lgkmcnt(1)
	v_cmp_eq_f64_e32 vcc_lo, 0, v[5:6]
	v_cmp_eq_f64_e64 s0, 0, v[7:8]
	s_and_b32 s2, vcc_lo, s0
	s_mov_b32 s0, -1
	s_and_saveexec_b32 s1, s2
	s_cbranch_execz .LBB237_2
; %bb.1:
	s_waitcnt vmcnt(0) lgkmcnt(0)
	v_cmp_neq_f64_e32 vcc_lo, 1.0, v[1:2]
	v_cmp_neq_f64_e64 s0, 0, v[3:4]
	s_or_b32 s0, vcc_lo, s0
	s_orn2_b32 s0, s0, exec_lo
.LBB237_2:
	s_or_b32 exec_lo, exec_lo, s1
	s_and_saveexec_b32 s1, s0
	s_cbranch_execz .LBB237_13
; %bb.3:
	s_load_dword s0, s[4:5], 0x0
	v_lshrrev_b32_e32 v9, 6, v0
	v_lshl_or_b32 v9, s6, 1, v9
	s_waitcnt lgkmcnt(0)
	v_cmp_gt_i32_e32 vcc_lo, s0, v9
	s_and_b32 exec_lo, exec_lo, vcc_lo
	s_cbranch_execz .LBB237_13
; %bb.4:
	s_clause 0x1
	s_load_dwordx2 s[0:1], s[4:5], 0x18
	s_load_dwordx2 s[6:7], s[4:5], 0x48
	v_ashrrev_i32_e32 v10, 31, v9
	v_and_b32_e32 v0, 63, v0
	s_mov_b32 s9, exec_lo
	v_lshlrev_b64 v[11:12], 2, v[9:10]
	v_subrev_nc_u32_e32 v13, s8, v0
	s_waitcnt lgkmcnt(0)
	v_add_co_u32 v11, vcc_lo, s0, v11
	v_add_co_ci_u32_e64 v12, null, s1, v12, vcc_lo
	global_load_dwordx2 v[11:12], v[11:12], off
	s_waitcnt vmcnt(0)
	v_subrev_nc_u32_e32 v19, s8, v12
	v_add_nc_u32_e32 v15, v11, v13
	v_mov_b32_e32 v11, 0
	v_mov_b32_e32 v13, 0
	;; [unrolled: 1-line block ×4, first 2 shown]
	v_cmpx_lt_i32_e64 v15, v19
	s_cbranch_execz .LBB237_8
; %bb.5:
	s_clause 0x1
	s_load_dwordx4 s[0:3], s[4:5], 0x20
	s_load_dwordx2 s[4:5], s[4:5], 0x30
	v_mov_b32_e32 v11, 0
	v_mov_b32_e32 v13, 0
	v_lshl_add_u32 v17, v15, 1, v15
	v_mov_b32_e32 v12, 0
	v_mov_b32_e32 v14, 0
	;; [unrolled: 1-line block ×3, first 2 shown]
	s_mov_b32 s10, 0
.LBB237_6:                              ; =>This Inner Loop Header: Depth=1
	v_ashrrev_i32_e32 v16, 31, v15
	v_mov_b32_e32 v37, v18
	v_add_nc_u32_e32 v28, 1, v17
	v_mov_b32_e32 v29, v18
	v_mov_b32_e32 v30, v18
	v_lshlrev_b64 v[20:21], 2, v[15:16]
	v_mov_b32_e32 v38, v18
	v_mov_b32_e32 v39, v18
	v_lshlrev_b64 v[31:32], 4, v[28:29]
	v_add_nc_u32_e32 v15, 64, v15
	s_waitcnt lgkmcnt(0)
	v_add_co_u32 v20, vcc_lo, s0, v20
	v_add_co_ci_u32_e64 v21, null, s1, v21, vcc_lo
	global_load_dword v16, v[20:21], off
	v_lshlrev_b64 v[20:21], 4, v[17:18]
	v_add_co_u32 v20, vcc_lo, s2, v20
	v_add_co_ci_u32_e64 v21, null, s3, v21, vcc_lo
	s_waitcnt vmcnt(0)
	v_subrev_nc_u32_e32 v16, s8, v16
	v_lshl_add_u32 v36, v16, 1, v16
	v_lshlrev_b64 v[22:23], 4, v[36:37]
	v_add_nc_u32_e32 v29, 1, v36
	v_add_nc_u32_e32 v37, 2, v17
	;; [unrolled: 1-line block ×3, first 2 shown]
	v_add_co_u32 v24, vcc_lo, s4, v22
	v_add_co_ci_u32_e64 v25, null, s5, v23, vcc_lo
	v_add_co_u32 v28, vcc_lo, s2, v31
	global_load_dwordx4 v[20:23], v[20:21], off
	global_load_dwordx4 v[24:27], v[24:25], off
	v_lshlrev_b64 v[30:31], 4, v[29:30]
	v_add_co_ci_u32_e64 v29, null, s3, v32, vcc_lo
	v_lshlrev_b64 v[40:41], 4, v[37:38]
	v_add_nc_u32_e32 v38, 2, v36
	v_add_co_u32 v32, vcc_lo, s4, v30
	v_add_co_ci_u32_e64 v33, null, s5, v31, vcc_lo
	global_load_dwordx4 v[28:31], v[28:29], off
	global_load_dwordx4 v[32:35], v[32:33], off
	v_lshlrev_b64 v[38:39], 4, v[38:39]
	v_add_co_u32 v36, vcc_lo, s2, v40
	v_add_co_ci_u32_e64 v37, null, s3, v41, vcc_lo
	v_add_co_u32 v40, vcc_lo, s4, v38
	v_add_co_ci_u32_e64 v41, null, s5, v39, vcc_lo
	global_load_dwordx4 v[36:39], v[36:37], off
	global_load_dwordx4 v[40:43], v[40:41], off
	v_cmp_ge_i32_e32 vcc_lo, v15, v19
	s_or_b32 s10, vcc_lo, s10
	s_waitcnt vmcnt(4)
	v_fma_f64 v[13:14], v[20:21], v[24:25], v[13:14]
	v_fma_f64 v[11:12], v[22:23], v[24:25], v[11:12]
	v_fma_f64 v[13:14], -v[22:23], v[26:27], v[13:14]
	v_fma_f64 v[11:12], v[20:21], v[26:27], v[11:12]
	s_waitcnt vmcnt(2)
	v_fma_f64 v[13:14], v[28:29], v[32:33], v[13:14]
	v_fma_f64 v[11:12], v[30:31], v[32:33], v[11:12]
	v_fma_f64 v[13:14], -v[30:31], v[34:35], v[13:14]
	v_fma_f64 v[11:12], v[28:29], v[34:35], v[11:12]
	;; [unrolled: 5-line block ×3, first 2 shown]
	s_andn2_b32 exec_lo, exec_lo, s10
	s_cbranch_execnz .LBB237_6
; %bb.7:
	s_or_b32 exec_lo, exec_lo, s10
.LBB237_8:
	s_or_b32 exec_lo, exec_lo, s9
	v_mbcnt_lo_u32_b32 v19, -1, 0
	v_or_b32_e32 v15, 32, v19
	v_cmp_gt_i32_e32 vcc_lo, 32, v15
	v_cndmask_b32_e32 v15, v19, v15, vcc_lo
	v_lshlrev_b32_e32 v18, 2, v15
	ds_bpermute_b32 v15, v18, v13
	ds_bpermute_b32 v16, v18, v14
	ds_bpermute_b32 v17, v18, v11
	ds_bpermute_b32 v18, v18, v12
	s_waitcnt lgkmcnt(2)
	v_add_f64 v[13:14], v[13:14], v[15:16]
	v_xor_b32_e32 v15, 16, v19
	s_waitcnt lgkmcnt(0)
	v_add_f64 v[11:12], v[11:12], v[17:18]
	v_cmp_gt_i32_e32 vcc_lo, 32, v15
	v_cndmask_b32_e32 v15, v19, v15, vcc_lo
	v_lshlrev_b32_e32 v18, 2, v15
	ds_bpermute_b32 v15, v18, v13
	ds_bpermute_b32 v16, v18, v14
	ds_bpermute_b32 v17, v18, v11
	ds_bpermute_b32 v18, v18, v12
	s_waitcnt lgkmcnt(2)
	v_add_f64 v[13:14], v[13:14], v[15:16]
	v_xor_b32_e32 v15, 8, v19
	s_waitcnt lgkmcnt(0)
	v_add_f64 v[11:12], v[11:12], v[17:18]
	;; [unrolled: 12-line block ×3, first 2 shown]
	v_cmp_gt_i32_e32 vcc_lo, 32, v15
	v_cndmask_b32_e32 v15, v19, v15, vcc_lo
	v_lshlrev_b32_e32 v18, 2, v15
	ds_bpermute_b32 v15, v18, v13
	ds_bpermute_b32 v16, v18, v14
	;; [unrolled: 1-line block ×4, first 2 shown]
	s_waitcnt lgkmcnt(2)
	v_add_f64 v[13:14], v[13:14], v[15:16]
	s_waitcnt lgkmcnt(0)
	v_add_f64 v[15:16], v[11:12], v[17:18]
	v_xor_b32_e32 v11, 2, v19
	v_cmp_gt_i32_e32 vcc_lo, 32, v11
	v_cndmask_b32_e32 v11, v19, v11, vcc_lo
	v_lshlrev_b32_e32 v18, 2, v11
	ds_bpermute_b32 v11, v18, v13
	ds_bpermute_b32 v12, v18, v14
	;; [unrolled: 1-line block ×4, first 2 shown]
	s_waitcnt lgkmcnt(2)
	v_add_f64 v[11:12], v[13:14], v[11:12]
	s_waitcnt lgkmcnt(0)
	v_add_f64 v[13:14], v[15:16], v[17:18]
	v_xor_b32_e32 v15, 1, v19
	v_cmp_gt_i32_e32 vcc_lo, 32, v15
	v_cndmask_b32_e32 v15, v19, v15, vcc_lo
	v_cmp_eq_u32_e32 vcc_lo, 63, v0
	v_lshlrev_b32_e32 v18, 2, v15
	ds_bpermute_b32 v15, v18, v11
	ds_bpermute_b32 v16, v18, v12
	;; [unrolled: 1-line block ×4, first 2 shown]
	s_and_b32 exec_lo, exec_lo, vcc_lo
	s_cbranch_execz .LBB237_13
; %bb.9:
	s_waitcnt lgkmcnt(0)
	v_add_f64 v[13:14], v[13:14], v[17:18]
	v_add_f64 v[11:12], v[11:12], v[15:16]
	v_cmp_eq_f64_e32 vcc_lo, 0, v[1:2]
	v_cmp_eq_f64_e64 s0, 0, v[3:4]
	v_lshlrev_b64 v[9:10], 4, v[9:10]
	v_mul_f64 v[15:16], v[13:14], -v[7:8]
	v_mul_f64 v[13:14], v[5:6], v[13:14]
	s_and_b32 s0, vcc_lo, s0
	v_fma_f64 v[5:6], v[5:6], v[11:12], v[15:16]
	v_fma_f64 v[7:8], v[7:8], v[11:12], v[13:14]
	s_and_saveexec_b32 s1, s0
	s_xor_b32 s0, exec_lo, s1
	s_cbranch_execz .LBB237_11
; %bb.10:
	v_add_co_u32 v0, vcc_lo, s6, v9
	v_add_co_ci_u32_e64 v1, null, s7, v10, vcc_lo
                                        ; implicit-def: $vgpr9_vgpr10
	global_store_dwordx4 v[0:1], v[5:8], off
                                        ; implicit-def: $vgpr1_vgpr2
                                        ; implicit-def: $vgpr5_vgpr6
.LBB237_11:
	s_andn2_saveexec_b32 s0, s0
	s_cbranch_execz .LBB237_13
; %bb.12:
	v_add_co_u32 v13, vcc_lo, s6, v9
	v_add_co_ci_u32_e64 v14, null, s7, v10, vcc_lo
	global_load_dwordx4 v[9:12], v[13:14], off
	s_waitcnt vmcnt(0)
	v_fma_f64 v[5:6], v[1:2], v[9:10], v[5:6]
	v_fma_f64 v[7:8], v[3:4], v[9:10], v[7:8]
	v_fma_f64 v[3:4], -v[3:4], v[11:12], v[5:6]
	v_fma_f64 v[5:6], v[1:2], v[11:12], v[7:8]
	global_store_dwordx4 v[13:14], v[3:6], off
.LBB237_13:
	s_endpgm
	.section	.rodata,"a",@progbits
	.p2align	6, 0x0
	.amdhsa_kernel _ZN9rocsparseL19gebsrmvn_1xn_kernelILj128ELj3ELj64E21rocsparse_complex_numIdEEEvi20rocsparse_direction_NS_24const_host_device_scalarIT2_EEPKiS8_PKS5_SA_S6_PS5_21rocsparse_index_base_b
		.amdhsa_group_segment_fixed_size 0
		.amdhsa_private_segment_fixed_size 0
		.amdhsa_kernarg_size 88
		.amdhsa_user_sgpr_count 6
		.amdhsa_user_sgpr_private_segment_buffer 1
		.amdhsa_user_sgpr_dispatch_ptr 0
		.amdhsa_user_sgpr_queue_ptr 0
		.amdhsa_user_sgpr_kernarg_segment_ptr 1
		.amdhsa_user_sgpr_dispatch_id 0
		.amdhsa_user_sgpr_flat_scratch_init 0
		.amdhsa_user_sgpr_private_segment_size 0
		.amdhsa_wavefront_size32 1
		.amdhsa_uses_dynamic_stack 0
		.amdhsa_system_sgpr_private_segment_wavefront_offset 0
		.amdhsa_system_sgpr_workgroup_id_x 1
		.amdhsa_system_sgpr_workgroup_id_y 0
		.amdhsa_system_sgpr_workgroup_id_z 0
		.amdhsa_system_sgpr_workgroup_info 0
		.amdhsa_system_vgpr_workitem_id 0
		.amdhsa_next_free_vgpr 44
		.amdhsa_next_free_sgpr 13
		.amdhsa_reserve_vcc 1
		.amdhsa_reserve_flat_scratch 0
		.amdhsa_float_round_mode_32 0
		.amdhsa_float_round_mode_16_64 0
		.amdhsa_float_denorm_mode_32 3
		.amdhsa_float_denorm_mode_16_64 3
		.amdhsa_dx10_clamp 1
		.amdhsa_ieee_mode 1
		.amdhsa_fp16_overflow 0
		.amdhsa_workgroup_processor_mode 1
		.amdhsa_memory_ordered 1
		.amdhsa_forward_progress 1
		.amdhsa_shared_vgpr_count 0
		.amdhsa_exception_fp_ieee_invalid_op 0
		.amdhsa_exception_fp_denorm_src 0
		.amdhsa_exception_fp_ieee_div_zero 0
		.amdhsa_exception_fp_ieee_overflow 0
		.amdhsa_exception_fp_ieee_underflow 0
		.amdhsa_exception_fp_ieee_inexact 0
		.amdhsa_exception_int_div_zero 0
	.end_amdhsa_kernel
	.section	.text._ZN9rocsparseL19gebsrmvn_1xn_kernelILj128ELj3ELj64E21rocsparse_complex_numIdEEEvi20rocsparse_direction_NS_24const_host_device_scalarIT2_EEPKiS8_PKS5_SA_S6_PS5_21rocsparse_index_base_b,"axG",@progbits,_ZN9rocsparseL19gebsrmvn_1xn_kernelILj128ELj3ELj64E21rocsparse_complex_numIdEEEvi20rocsparse_direction_NS_24const_host_device_scalarIT2_EEPKiS8_PKS5_SA_S6_PS5_21rocsparse_index_base_b,comdat
.Lfunc_end237:
	.size	_ZN9rocsparseL19gebsrmvn_1xn_kernelILj128ELj3ELj64E21rocsparse_complex_numIdEEEvi20rocsparse_direction_NS_24const_host_device_scalarIT2_EEPKiS8_PKS5_SA_S6_PS5_21rocsparse_index_base_b, .Lfunc_end237-_ZN9rocsparseL19gebsrmvn_1xn_kernelILj128ELj3ELj64E21rocsparse_complex_numIdEEEvi20rocsparse_direction_NS_24const_host_device_scalarIT2_EEPKiS8_PKS5_SA_S6_PS5_21rocsparse_index_base_b
                                        ; -- End function
	.set _ZN9rocsparseL19gebsrmvn_1xn_kernelILj128ELj3ELj64E21rocsparse_complex_numIdEEEvi20rocsparse_direction_NS_24const_host_device_scalarIT2_EEPKiS8_PKS5_SA_S6_PS5_21rocsparse_index_base_b.num_vgpr, 44
	.set _ZN9rocsparseL19gebsrmvn_1xn_kernelILj128ELj3ELj64E21rocsparse_complex_numIdEEEvi20rocsparse_direction_NS_24const_host_device_scalarIT2_EEPKiS8_PKS5_SA_S6_PS5_21rocsparse_index_base_b.num_agpr, 0
	.set _ZN9rocsparseL19gebsrmvn_1xn_kernelILj128ELj3ELj64E21rocsparse_complex_numIdEEEvi20rocsparse_direction_NS_24const_host_device_scalarIT2_EEPKiS8_PKS5_SA_S6_PS5_21rocsparse_index_base_b.numbered_sgpr, 13
	.set _ZN9rocsparseL19gebsrmvn_1xn_kernelILj128ELj3ELj64E21rocsparse_complex_numIdEEEvi20rocsparse_direction_NS_24const_host_device_scalarIT2_EEPKiS8_PKS5_SA_S6_PS5_21rocsparse_index_base_b.num_named_barrier, 0
	.set _ZN9rocsparseL19gebsrmvn_1xn_kernelILj128ELj3ELj64E21rocsparse_complex_numIdEEEvi20rocsparse_direction_NS_24const_host_device_scalarIT2_EEPKiS8_PKS5_SA_S6_PS5_21rocsparse_index_base_b.private_seg_size, 0
	.set _ZN9rocsparseL19gebsrmvn_1xn_kernelILj128ELj3ELj64E21rocsparse_complex_numIdEEEvi20rocsparse_direction_NS_24const_host_device_scalarIT2_EEPKiS8_PKS5_SA_S6_PS5_21rocsparse_index_base_b.uses_vcc, 1
	.set _ZN9rocsparseL19gebsrmvn_1xn_kernelILj128ELj3ELj64E21rocsparse_complex_numIdEEEvi20rocsparse_direction_NS_24const_host_device_scalarIT2_EEPKiS8_PKS5_SA_S6_PS5_21rocsparse_index_base_b.uses_flat_scratch, 0
	.set _ZN9rocsparseL19gebsrmvn_1xn_kernelILj128ELj3ELj64E21rocsparse_complex_numIdEEEvi20rocsparse_direction_NS_24const_host_device_scalarIT2_EEPKiS8_PKS5_SA_S6_PS5_21rocsparse_index_base_b.has_dyn_sized_stack, 0
	.set _ZN9rocsparseL19gebsrmvn_1xn_kernelILj128ELj3ELj64E21rocsparse_complex_numIdEEEvi20rocsparse_direction_NS_24const_host_device_scalarIT2_EEPKiS8_PKS5_SA_S6_PS5_21rocsparse_index_base_b.has_recursion, 0
	.set _ZN9rocsparseL19gebsrmvn_1xn_kernelILj128ELj3ELj64E21rocsparse_complex_numIdEEEvi20rocsparse_direction_NS_24const_host_device_scalarIT2_EEPKiS8_PKS5_SA_S6_PS5_21rocsparse_index_base_b.has_indirect_call, 0
	.section	.AMDGPU.csdata,"",@progbits
; Kernel info:
; codeLenInByte = 1416
; TotalNumSgprs: 15
; NumVgprs: 44
; ScratchSize: 0
; MemoryBound: 0
; FloatMode: 240
; IeeeMode: 1
; LDSByteSize: 0 bytes/workgroup (compile time only)
; SGPRBlocks: 0
; VGPRBlocks: 5
; NumSGPRsForWavesPerEU: 15
; NumVGPRsForWavesPerEU: 44
; Occupancy: 16
; WaveLimiterHint : 1
; COMPUTE_PGM_RSRC2:SCRATCH_EN: 0
; COMPUTE_PGM_RSRC2:USER_SGPR: 6
; COMPUTE_PGM_RSRC2:TRAP_HANDLER: 0
; COMPUTE_PGM_RSRC2:TGID_X_EN: 1
; COMPUTE_PGM_RSRC2:TGID_Y_EN: 0
; COMPUTE_PGM_RSRC2:TGID_Z_EN: 0
; COMPUTE_PGM_RSRC2:TIDIG_COMP_CNT: 0
	.section	.text._ZN9rocsparseL19gebsrmvn_1xn_kernelILj128ELj4ELj4E21rocsparse_complex_numIdEEEvi20rocsparse_direction_NS_24const_host_device_scalarIT2_EEPKiS8_PKS5_SA_S6_PS5_21rocsparse_index_base_b,"axG",@progbits,_ZN9rocsparseL19gebsrmvn_1xn_kernelILj128ELj4ELj4E21rocsparse_complex_numIdEEEvi20rocsparse_direction_NS_24const_host_device_scalarIT2_EEPKiS8_PKS5_SA_S6_PS5_21rocsparse_index_base_b,comdat
	.globl	_ZN9rocsparseL19gebsrmvn_1xn_kernelILj128ELj4ELj4E21rocsparse_complex_numIdEEEvi20rocsparse_direction_NS_24const_host_device_scalarIT2_EEPKiS8_PKS5_SA_S6_PS5_21rocsparse_index_base_b ; -- Begin function _ZN9rocsparseL19gebsrmvn_1xn_kernelILj128ELj4ELj4E21rocsparse_complex_numIdEEEvi20rocsparse_direction_NS_24const_host_device_scalarIT2_EEPKiS8_PKS5_SA_S6_PS5_21rocsparse_index_base_b
	.p2align	8
	.type	_ZN9rocsparseL19gebsrmvn_1xn_kernelILj128ELj4ELj4E21rocsparse_complex_numIdEEEvi20rocsparse_direction_NS_24const_host_device_scalarIT2_EEPKiS8_PKS5_SA_S6_PS5_21rocsparse_index_base_b,@function
_ZN9rocsparseL19gebsrmvn_1xn_kernelILj128ELj4ELj4E21rocsparse_complex_numIdEEEvi20rocsparse_direction_NS_24const_host_device_scalarIT2_EEPKiS8_PKS5_SA_S6_PS5_21rocsparse_index_base_b: ; @_ZN9rocsparseL19gebsrmvn_1xn_kernelILj128ELj4ELj4E21rocsparse_complex_numIdEEEvi20rocsparse_direction_NS_24const_host_device_scalarIT2_EEPKiS8_PKS5_SA_S6_PS5_21rocsparse_index_base_b
; %bb.0:
	s_clause 0x1
	s_load_dwordx2 s[8:9], s[4:5], 0x50
	s_load_dwordx2 s[0:1], s[4:5], 0x8
	s_add_u32 s7, s4, 8
	s_addc_u32 s10, s5, 0
	s_add_u32 s11, s4, 56
	s_addc_u32 s12, s5, 0
	s_load_dwordx2 s[2:3], s[4:5], 0x38
	s_waitcnt lgkmcnt(0)
	s_bitcmp1_b32 s9, 0
	s_cselect_b32 s0, s7, s0
	s_cselect_b32 s1, s10, s1
	v_mov_b32_e32 v1, s0
	v_mov_b32_e32 v2, s1
	s_cselect_b32 s0, s11, s2
	s_cselect_b32 s1, s12, s3
	flat_load_dwordx4 v[5:8], v[1:2]
	v_mov_b32_e32 v1, s0
	v_mov_b32_e32 v2, s1
	flat_load_dwordx4 v[1:4], v[1:2]
	s_waitcnt vmcnt(1) lgkmcnt(1)
	v_cmp_eq_f64_e32 vcc_lo, 0, v[5:6]
	v_cmp_eq_f64_e64 s0, 0, v[7:8]
	s_and_b32 s2, vcc_lo, s0
	s_mov_b32 s0, -1
	s_and_saveexec_b32 s1, s2
	s_cbranch_execz .LBB238_2
; %bb.1:
	s_waitcnt vmcnt(0) lgkmcnt(0)
	v_cmp_neq_f64_e32 vcc_lo, 1.0, v[1:2]
	v_cmp_neq_f64_e64 s0, 0, v[3:4]
	s_or_b32 s0, vcc_lo, s0
	s_orn2_b32 s0, s0, exec_lo
.LBB238_2:
	s_or_b32 exec_lo, exec_lo, s1
	s_and_saveexec_b32 s1, s0
	s_cbranch_execz .LBB238_13
; %bb.3:
	s_load_dword s0, s[4:5], 0x0
	v_lshrrev_b32_e32 v9, 2, v0
	v_lshl_or_b32 v9, s6, 5, v9
	s_waitcnt lgkmcnt(0)
	v_cmp_gt_i32_e32 vcc_lo, s0, v9
	s_and_b32 exec_lo, exec_lo, vcc_lo
	s_cbranch_execz .LBB238_13
; %bb.4:
	s_clause 0x1
	s_load_dwordx2 s[0:1], s[4:5], 0x18
	s_load_dwordx2 s[6:7], s[4:5], 0x48
	v_ashrrev_i32_e32 v10, 31, v9
	v_and_b32_e32 v0, 3, v0
	v_mov_b32_e32 v15, 0
	v_mov_b32_e32 v16, 0
	s_mov_b32 s9, exec_lo
	v_lshlrev_b64 v[11:12], 2, v[9:10]
	v_subrev_nc_u32_e32 v13, s8, v0
	s_waitcnt lgkmcnt(0)
	v_add_co_u32 v11, vcc_lo, s0, v11
	v_add_co_ci_u32_e64 v12, null, s1, v12, vcc_lo
	global_load_dwordx2 v[11:12], v[11:12], off
	s_waitcnt vmcnt(0)
	v_subrev_nc_u32_e32 v19, s8, v12
	v_add_nc_u32_e32 v13, v11, v13
	v_mov_b32_e32 v11, 0
	v_mov_b32_e32 v12, 0
	v_cmpx_lt_i32_e64 v13, v19
	s_cbranch_execz .LBB238_8
; %bb.5:
	s_clause 0x1
	s_load_dwordx4 s[0:3], s[4:5], 0x20
	s_load_dwordx2 s[4:5], s[4:5], 0x30
	v_mov_b32_e32 v11, 0
	v_mov_b32_e32 v15, 0
	v_lshlrev_b32_e32 v17, 2, v13
	v_mov_b32_e32 v12, 0
	v_mov_b32_e32 v16, 0
	;; [unrolled: 1-line block ×3, first 2 shown]
	s_mov_b32 s10, 0
.LBB238_6:                              ; =>This Inner Loop Header: Depth=1
	v_ashrrev_i32_e32 v14, 31, v13
	v_mov_b32_e32 v23, v18
	v_lshlrev_b64 v[20:21], 2, v[13:14]
	v_add_nc_u32_e32 v13, 4, v13
	s_waitcnt lgkmcnt(0)
	v_add_co_u32 v20, vcc_lo, s0, v20
	v_add_co_ci_u32_e64 v21, null, s1, v21, vcc_lo
	global_load_dword v14, v[20:21], off
	v_lshlrev_b64 v[20:21], 4, v[17:18]
	v_add_nc_u32_e32 v17, 16, v17
	v_add_co_u32 v40, vcc_lo, s2, v20
	v_add_co_ci_u32_e64 v41, null, s3, v21, vcc_lo
	s_waitcnt vmcnt(0)
	v_subrev_nc_u32_e32 v14, s8, v14
	v_lshlrev_b32_e32 v22, 2, v14
	v_lshlrev_b64 v[22:23], 4, v[22:23]
	v_add_co_u32 v48, vcc_lo, s4, v22
	v_add_co_ci_u32_e64 v49, null, s5, v23, vcc_lo
	v_cmp_ge_i32_e32 vcc_lo, v13, v19
	s_clause 0x1
	global_load_dwordx4 v[20:23], v[40:41], off offset:16
	global_load_dwordx4 v[24:27], v[40:41], off
	s_clause 0x1
	global_load_dwordx4 v[28:31], v[48:49], off
	global_load_dwordx4 v[32:35], v[48:49], off offset:16
	s_clause 0x1
	global_load_dwordx4 v[36:39], v[40:41], off offset:48
	global_load_dwordx4 v[40:43], v[40:41], off offset:32
	s_clause 0x1
	global_load_dwordx4 v[44:47], v[48:49], off offset:32
	global_load_dwordx4 v[48:51], v[48:49], off offset:48
	s_or_b32 s10, vcc_lo, s10
	s_waitcnt vmcnt(5)
	v_fma_f64 v[14:15], v[24:25], v[28:29], v[15:16]
	v_fma_f64 v[11:12], v[26:27], v[28:29], v[11:12]
	v_fma_f64 v[14:15], -v[26:27], v[30:31], v[14:15]
	v_fma_f64 v[11:12], v[24:25], v[30:31], v[11:12]
	s_waitcnt vmcnt(4)
	v_fma_f64 v[14:15], v[20:21], v[32:33], v[14:15]
	v_fma_f64 v[11:12], v[22:23], v[32:33], v[11:12]
	v_fma_f64 v[14:15], -v[22:23], v[34:35], v[14:15]
	v_fma_f64 v[11:12], v[20:21], v[34:35], v[11:12]
	;; [unrolled: 5-line block ×4, first 2 shown]
	s_andn2_b32 exec_lo, exec_lo, s10
	s_cbranch_execnz .LBB238_6
; %bb.7:
	s_or_b32 exec_lo, exec_lo, s10
.LBB238_8:
	s_or_b32 exec_lo, exec_lo, s9
	v_mbcnt_lo_u32_b32 v19, -1, 0
	v_xor_b32_e32 v13, 2, v19
	v_cmp_gt_i32_e32 vcc_lo, 32, v13
	v_cndmask_b32_e32 v13, v19, v13, vcc_lo
	v_lshlrev_b32_e32 v18, 2, v13
	ds_bpermute_b32 v13, v18, v15
	ds_bpermute_b32 v14, v18, v16
	;; [unrolled: 1-line block ×4, first 2 shown]
	s_waitcnt lgkmcnt(2)
	v_add_f64 v[13:14], v[15:16], v[13:14]
	v_xor_b32_e32 v15, 1, v19
	s_waitcnt lgkmcnt(0)
	v_add_f64 v[11:12], v[11:12], v[17:18]
	v_cmp_gt_i32_e32 vcc_lo, 32, v15
	v_cndmask_b32_e32 v15, v19, v15, vcc_lo
	v_cmp_eq_u32_e32 vcc_lo, 3, v0
	v_lshlrev_b32_e32 v18, 2, v15
	ds_bpermute_b32 v15, v18, v13
	ds_bpermute_b32 v16, v18, v14
	;; [unrolled: 1-line block ×4, first 2 shown]
	s_and_b32 exec_lo, exec_lo, vcc_lo
	s_cbranch_execz .LBB238_13
; %bb.9:
	s_waitcnt lgkmcnt(0)
	v_add_f64 v[11:12], v[11:12], v[17:18]
	v_add_f64 v[13:14], v[13:14], v[15:16]
	v_cmp_eq_f64_e32 vcc_lo, 0, v[1:2]
	v_cmp_eq_f64_e64 s0, 0, v[3:4]
	v_lshlrev_b64 v[9:10], 4, v[9:10]
	v_mul_f64 v[15:16], v[11:12], -v[7:8]
	v_mul_f64 v[11:12], v[5:6], v[11:12]
	s_and_b32 s0, vcc_lo, s0
	v_fma_f64 v[5:6], v[5:6], v[13:14], v[15:16]
	v_fma_f64 v[7:8], v[7:8], v[13:14], v[11:12]
	s_and_saveexec_b32 s1, s0
	s_xor_b32 s0, exec_lo, s1
	s_cbranch_execz .LBB238_11
; %bb.10:
	v_add_co_u32 v0, vcc_lo, s6, v9
	v_add_co_ci_u32_e64 v1, null, s7, v10, vcc_lo
                                        ; implicit-def: $vgpr9_vgpr10
	global_store_dwordx4 v[0:1], v[5:8], off
                                        ; implicit-def: $vgpr1_vgpr2
                                        ; implicit-def: $vgpr5_vgpr6
.LBB238_11:
	s_andn2_saveexec_b32 s0, s0
	s_cbranch_execz .LBB238_13
; %bb.12:
	v_add_co_u32 v13, vcc_lo, s6, v9
	v_add_co_ci_u32_e64 v14, null, s7, v10, vcc_lo
	global_load_dwordx4 v[9:12], v[13:14], off
	s_waitcnt vmcnt(0)
	v_fma_f64 v[5:6], v[1:2], v[9:10], v[5:6]
	v_fma_f64 v[7:8], v[3:4], v[9:10], v[7:8]
	v_fma_f64 v[3:4], -v[3:4], v[11:12], v[5:6]
	v_fma_f64 v[5:6], v[1:2], v[11:12], v[7:8]
	global_store_dwordx4 v[13:14], v[3:6], off
.LBB238_13:
	s_endpgm
	.section	.rodata,"a",@progbits
	.p2align	6, 0x0
	.amdhsa_kernel _ZN9rocsparseL19gebsrmvn_1xn_kernelILj128ELj4ELj4E21rocsparse_complex_numIdEEEvi20rocsparse_direction_NS_24const_host_device_scalarIT2_EEPKiS8_PKS5_SA_S6_PS5_21rocsparse_index_base_b
		.amdhsa_group_segment_fixed_size 0
		.amdhsa_private_segment_fixed_size 0
		.amdhsa_kernarg_size 88
		.amdhsa_user_sgpr_count 6
		.amdhsa_user_sgpr_private_segment_buffer 1
		.amdhsa_user_sgpr_dispatch_ptr 0
		.amdhsa_user_sgpr_queue_ptr 0
		.amdhsa_user_sgpr_kernarg_segment_ptr 1
		.amdhsa_user_sgpr_dispatch_id 0
		.amdhsa_user_sgpr_flat_scratch_init 0
		.amdhsa_user_sgpr_private_segment_size 0
		.amdhsa_wavefront_size32 1
		.amdhsa_uses_dynamic_stack 0
		.amdhsa_system_sgpr_private_segment_wavefront_offset 0
		.amdhsa_system_sgpr_workgroup_id_x 1
		.amdhsa_system_sgpr_workgroup_id_y 0
		.amdhsa_system_sgpr_workgroup_id_z 0
		.amdhsa_system_sgpr_workgroup_info 0
		.amdhsa_system_vgpr_workitem_id 0
		.amdhsa_next_free_vgpr 52
		.amdhsa_next_free_sgpr 13
		.amdhsa_reserve_vcc 1
		.amdhsa_reserve_flat_scratch 0
		.amdhsa_float_round_mode_32 0
		.amdhsa_float_round_mode_16_64 0
		.amdhsa_float_denorm_mode_32 3
		.amdhsa_float_denorm_mode_16_64 3
		.amdhsa_dx10_clamp 1
		.amdhsa_ieee_mode 1
		.amdhsa_fp16_overflow 0
		.amdhsa_workgroup_processor_mode 1
		.amdhsa_memory_ordered 1
		.amdhsa_forward_progress 1
		.amdhsa_shared_vgpr_count 0
		.amdhsa_exception_fp_ieee_invalid_op 0
		.amdhsa_exception_fp_denorm_src 0
		.amdhsa_exception_fp_ieee_div_zero 0
		.amdhsa_exception_fp_ieee_overflow 0
		.amdhsa_exception_fp_ieee_underflow 0
		.amdhsa_exception_fp_ieee_inexact 0
		.amdhsa_exception_int_div_zero 0
	.end_amdhsa_kernel
	.section	.text._ZN9rocsparseL19gebsrmvn_1xn_kernelILj128ELj4ELj4E21rocsparse_complex_numIdEEEvi20rocsparse_direction_NS_24const_host_device_scalarIT2_EEPKiS8_PKS5_SA_S6_PS5_21rocsparse_index_base_b,"axG",@progbits,_ZN9rocsparseL19gebsrmvn_1xn_kernelILj128ELj4ELj4E21rocsparse_complex_numIdEEEvi20rocsparse_direction_NS_24const_host_device_scalarIT2_EEPKiS8_PKS5_SA_S6_PS5_21rocsparse_index_base_b,comdat
.Lfunc_end238:
	.size	_ZN9rocsparseL19gebsrmvn_1xn_kernelILj128ELj4ELj4E21rocsparse_complex_numIdEEEvi20rocsparse_direction_NS_24const_host_device_scalarIT2_EEPKiS8_PKS5_SA_S6_PS5_21rocsparse_index_base_b, .Lfunc_end238-_ZN9rocsparseL19gebsrmvn_1xn_kernelILj128ELj4ELj4E21rocsparse_complex_numIdEEEvi20rocsparse_direction_NS_24const_host_device_scalarIT2_EEPKiS8_PKS5_SA_S6_PS5_21rocsparse_index_base_b
                                        ; -- End function
	.set _ZN9rocsparseL19gebsrmvn_1xn_kernelILj128ELj4ELj4E21rocsparse_complex_numIdEEEvi20rocsparse_direction_NS_24const_host_device_scalarIT2_EEPKiS8_PKS5_SA_S6_PS5_21rocsparse_index_base_b.num_vgpr, 52
	.set _ZN9rocsparseL19gebsrmvn_1xn_kernelILj128ELj4ELj4E21rocsparse_complex_numIdEEEvi20rocsparse_direction_NS_24const_host_device_scalarIT2_EEPKiS8_PKS5_SA_S6_PS5_21rocsparse_index_base_b.num_agpr, 0
	.set _ZN9rocsparseL19gebsrmvn_1xn_kernelILj128ELj4ELj4E21rocsparse_complex_numIdEEEvi20rocsparse_direction_NS_24const_host_device_scalarIT2_EEPKiS8_PKS5_SA_S6_PS5_21rocsparse_index_base_b.numbered_sgpr, 13
	.set _ZN9rocsparseL19gebsrmvn_1xn_kernelILj128ELj4ELj4E21rocsparse_complex_numIdEEEvi20rocsparse_direction_NS_24const_host_device_scalarIT2_EEPKiS8_PKS5_SA_S6_PS5_21rocsparse_index_base_b.num_named_barrier, 0
	.set _ZN9rocsparseL19gebsrmvn_1xn_kernelILj128ELj4ELj4E21rocsparse_complex_numIdEEEvi20rocsparse_direction_NS_24const_host_device_scalarIT2_EEPKiS8_PKS5_SA_S6_PS5_21rocsparse_index_base_b.private_seg_size, 0
	.set _ZN9rocsparseL19gebsrmvn_1xn_kernelILj128ELj4ELj4E21rocsparse_complex_numIdEEEvi20rocsparse_direction_NS_24const_host_device_scalarIT2_EEPKiS8_PKS5_SA_S6_PS5_21rocsparse_index_base_b.uses_vcc, 1
	.set _ZN9rocsparseL19gebsrmvn_1xn_kernelILj128ELj4ELj4E21rocsparse_complex_numIdEEEvi20rocsparse_direction_NS_24const_host_device_scalarIT2_EEPKiS8_PKS5_SA_S6_PS5_21rocsparse_index_base_b.uses_flat_scratch, 0
	.set _ZN9rocsparseL19gebsrmvn_1xn_kernelILj128ELj4ELj4E21rocsparse_complex_numIdEEEvi20rocsparse_direction_NS_24const_host_device_scalarIT2_EEPKiS8_PKS5_SA_S6_PS5_21rocsparse_index_base_b.has_dyn_sized_stack, 0
	.set _ZN9rocsparseL19gebsrmvn_1xn_kernelILj128ELj4ELj4E21rocsparse_complex_numIdEEEvi20rocsparse_direction_NS_24const_host_device_scalarIT2_EEPKiS8_PKS5_SA_S6_PS5_21rocsparse_index_base_b.has_recursion, 0
	.set _ZN9rocsparseL19gebsrmvn_1xn_kernelILj128ELj4ELj4E21rocsparse_complex_numIdEEEvi20rocsparse_direction_NS_24const_host_device_scalarIT2_EEPKiS8_PKS5_SA_S6_PS5_21rocsparse_index_base_b.has_indirect_call, 0
	.section	.AMDGPU.csdata,"",@progbits
; Kernel info:
; codeLenInByte = 1056
; TotalNumSgprs: 15
; NumVgprs: 52
; ScratchSize: 0
; MemoryBound: 1
; FloatMode: 240
; IeeeMode: 1
; LDSByteSize: 0 bytes/workgroup (compile time only)
; SGPRBlocks: 0
; VGPRBlocks: 6
; NumSGPRsForWavesPerEU: 15
; NumVGPRsForWavesPerEU: 52
; Occupancy: 16
; WaveLimiterHint : 1
; COMPUTE_PGM_RSRC2:SCRATCH_EN: 0
; COMPUTE_PGM_RSRC2:USER_SGPR: 6
; COMPUTE_PGM_RSRC2:TRAP_HANDLER: 0
; COMPUTE_PGM_RSRC2:TGID_X_EN: 1
; COMPUTE_PGM_RSRC2:TGID_Y_EN: 0
; COMPUTE_PGM_RSRC2:TGID_Z_EN: 0
; COMPUTE_PGM_RSRC2:TIDIG_COMP_CNT: 0
	.section	.text._ZN9rocsparseL19gebsrmvn_1xn_kernelILj128ELj4ELj8E21rocsparse_complex_numIdEEEvi20rocsparse_direction_NS_24const_host_device_scalarIT2_EEPKiS8_PKS5_SA_S6_PS5_21rocsparse_index_base_b,"axG",@progbits,_ZN9rocsparseL19gebsrmvn_1xn_kernelILj128ELj4ELj8E21rocsparse_complex_numIdEEEvi20rocsparse_direction_NS_24const_host_device_scalarIT2_EEPKiS8_PKS5_SA_S6_PS5_21rocsparse_index_base_b,comdat
	.globl	_ZN9rocsparseL19gebsrmvn_1xn_kernelILj128ELj4ELj8E21rocsparse_complex_numIdEEEvi20rocsparse_direction_NS_24const_host_device_scalarIT2_EEPKiS8_PKS5_SA_S6_PS5_21rocsparse_index_base_b ; -- Begin function _ZN9rocsparseL19gebsrmvn_1xn_kernelILj128ELj4ELj8E21rocsparse_complex_numIdEEEvi20rocsparse_direction_NS_24const_host_device_scalarIT2_EEPKiS8_PKS5_SA_S6_PS5_21rocsparse_index_base_b
	.p2align	8
	.type	_ZN9rocsparseL19gebsrmvn_1xn_kernelILj128ELj4ELj8E21rocsparse_complex_numIdEEEvi20rocsparse_direction_NS_24const_host_device_scalarIT2_EEPKiS8_PKS5_SA_S6_PS5_21rocsparse_index_base_b,@function
_ZN9rocsparseL19gebsrmvn_1xn_kernelILj128ELj4ELj8E21rocsparse_complex_numIdEEEvi20rocsparse_direction_NS_24const_host_device_scalarIT2_EEPKiS8_PKS5_SA_S6_PS5_21rocsparse_index_base_b: ; @_ZN9rocsparseL19gebsrmvn_1xn_kernelILj128ELj4ELj8E21rocsparse_complex_numIdEEEvi20rocsparse_direction_NS_24const_host_device_scalarIT2_EEPKiS8_PKS5_SA_S6_PS5_21rocsparse_index_base_b
; %bb.0:
	s_clause 0x1
	s_load_dwordx2 s[8:9], s[4:5], 0x50
	s_load_dwordx2 s[0:1], s[4:5], 0x8
	s_add_u32 s7, s4, 8
	s_addc_u32 s10, s5, 0
	s_add_u32 s11, s4, 56
	s_addc_u32 s12, s5, 0
	s_load_dwordx2 s[2:3], s[4:5], 0x38
	s_waitcnt lgkmcnt(0)
	s_bitcmp1_b32 s9, 0
	s_cselect_b32 s0, s7, s0
	s_cselect_b32 s1, s10, s1
	v_mov_b32_e32 v1, s0
	v_mov_b32_e32 v2, s1
	s_cselect_b32 s0, s11, s2
	s_cselect_b32 s1, s12, s3
	flat_load_dwordx4 v[5:8], v[1:2]
	v_mov_b32_e32 v1, s0
	v_mov_b32_e32 v2, s1
	flat_load_dwordx4 v[1:4], v[1:2]
	s_waitcnt vmcnt(1) lgkmcnt(1)
	v_cmp_eq_f64_e32 vcc_lo, 0, v[5:6]
	v_cmp_eq_f64_e64 s0, 0, v[7:8]
	s_and_b32 s2, vcc_lo, s0
	s_mov_b32 s0, -1
	s_and_saveexec_b32 s1, s2
	s_cbranch_execz .LBB239_2
; %bb.1:
	s_waitcnt vmcnt(0) lgkmcnt(0)
	v_cmp_neq_f64_e32 vcc_lo, 1.0, v[1:2]
	v_cmp_neq_f64_e64 s0, 0, v[3:4]
	s_or_b32 s0, vcc_lo, s0
	s_orn2_b32 s0, s0, exec_lo
.LBB239_2:
	s_or_b32 exec_lo, exec_lo, s1
	s_and_saveexec_b32 s1, s0
	s_cbranch_execz .LBB239_13
; %bb.3:
	s_load_dword s0, s[4:5], 0x0
	v_lshrrev_b32_e32 v9, 3, v0
	v_lshl_or_b32 v9, s6, 4, v9
	s_waitcnt lgkmcnt(0)
	v_cmp_gt_i32_e32 vcc_lo, s0, v9
	s_and_b32 exec_lo, exec_lo, vcc_lo
	s_cbranch_execz .LBB239_13
; %bb.4:
	s_clause 0x1
	s_load_dwordx2 s[0:1], s[4:5], 0x18
	s_load_dwordx2 s[6:7], s[4:5], 0x48
	v_ashrrev_i32_e32 v10, 31, v9
	v_and_b32_e32 v0, 7, v0
	s_mov_b32 s9, exec_lo
	v_lshlrev_b64 v[11:12], 2, v[9:10]
	v_subrev_nc_u32_e32 v13, s8, v0
	s_waitcnt lgkmcnt(0)
	v_add_co_u32 v11, vcc_lo, s0, v11
	v_add_co_ci_u32_e64 v12, null, s1, v12, vcc_lo
	global_load_dwordx2 v[11:12], v[11:12], off
	s_waitcnt vmcnt(0)
	v_subrev_nc_u32_e32 v19, s8, v12
	v_add_nc_u32_e32 v15, v11, v13
	v_mov_b32_e32 v11, 0
	v_mov_b32_e32 v13, 0
	;; [unrolled: 1-line block ×4, first 2 shown]
	v_cmpx_lt_i32_e64 v15, v19
	s_cbranch_execz .LBB239_8
; %bb.5:
	s_clause 0x1
	s_load_dwordx4 s[0:3], s[4:5], 0x20
	s_load_dwordx2 s[4:5], s[4:5], 0x30
	v_mov_b32_e32 v11, 0
	v_mov_b32_e32 v13, 0
	v_lshlrev_b32_e32 v17, 2, v15
	v_mov_b32_e32 v12, 0
	v_mov_b32_e32 v14, 0
	;; [unrolled: 1-line block ×3, first 2 shown]
	s_mov_b32 s10, 0
.LBB239_6:                              ; =>This Inner Loop Header: Depth=1
	v_ashrrev_i32_e32 v16, 31, v15
	v_mov_b32_e32 v23, v18
	v_lshlrev_b64 v[20:21], 2, v[15:16]
	v_add_nc_u32_e32 v15, 8, v15
	s_waitcnt lgkmcnt(0)
	v_add_co_u32 v20, vcc_lo, s0, v20
	v_add_co_ci_u32_e64 v21, null, s1, v21, vcc_lo
	global_load_dword v16, v[20:21], off
	v_lshlrev_b64 v[20:21], 4, v[17:18]
	v_add_nc_u32_e32 v17, 32, v17
	v_add_co_u32 v40, vcc_lo, s2, v20
	v_add_co_ci_u32_e64 v41, null, s3, v21, vcc_lo
	s_waitcnt vmcnt(0)
	v_subrev_nc_u32_e32 v16, s8, v16
	v_lshlrev_b32_e32 v22, 2, v16
	v_lshlrev_b64 v[22:23], 4, v[22:23]
	v_add_co_u32 v48, vcc_lo, s4, v22
	v_add_co_ci_u32_e64 v49, null, s5, v23, vcc_lo
	v_cmp_ge_i32_e32 vcc_lo, v15, v19
	s_clause 0x1
	global_load_dwordx4 v[20:23], v[40:41], off offset:16
	global_load_dwordx4 v[24:27], v[40:41], off
	s_clause 0x1
	global_load_dwordx4 v[28:31], v[48:49], off
	global_load_dwordx4 v[32:35], v[48:49], off offset:16
	s_clause 0x1
	global_load_dwordx4 v[36:39], v[40:41], off offset:48
	global_load_dwordx4 v[40:43], v[40:41], off offset:32
	s_clause 0x1
	global_load_dwordx4 v[44:47], v[48:49], off offset:32
	global_load_dwordx4 v[48:51], v[48:49], off offset:48
	s_or_b32 s10, vcc_lo, s10
	s_waitcnt vmcnt(5)
	v_fma_f64 v[13:14], v[24:25], v[28:29], v[13:14]
	v_fma_f64 v[11:12], v[26:27], v[28:29], v[11:12]
	v_fma_f64 v[13:14], -v[26:27], v[30:31], v[13:14]
	v_fma_f64 v[11:12], v[24:25], v[30:31], v[11:12]
	s_waitcnt vmcnt(4)
	v_fma_f64 v[13:14], v[20:21], v[32:33], v[13:14]
	v_fma_f64 v[11:12], v[22:23], v[32:33], v[11:12]
	v_fma_f64 v[13:14], -v[22:23], v[34:35], v[13:14]
	v_fma_f64 v[11:12], v[20:21], v[34:35], v[11:12]
	;; [unrolled: 5-line block ×4, first 2 shown]
	s_andn2_b32 exec_lo, exec_lo, s10
	s_cbranch_execnz .LBB239_6
; %bb.7:
	s_or_b32 exec_lo, exec_lo, s10
.LBB239_8:
	s_or_b32 exec_lo, exec_lo, s9
	v_mbcnt_lo_u32_b32 v19, -1, 0
	v_xor_b32_e32 v15, 4, v19
	v_cmp_gt_i32_e32 vcc_lo, 32, v15
	v_cndmask_b32_e32 v15, v19, v15, vcc_lo
	v_lshlrev_b32_e32 v18, 2, v15
	ds_bpermute_b32 v15, v18, v13
	ds_bpermute_b32 v16, v18, v14
	;; [unrolled: 1-line block ×4, first 2 shown]
	s_waitcnt lgkmcnt(2)
	v_add_f64 v[13:14], v[13:14], v[15:16]
	s_waitcnt lgkmcnt(0)
	v_add_f64 v[15:16], v[11:12], v[17:18]
	v_xor_b32_e32 v11, 2, v19
	v_cmp_gt_i32_e32 vcc_lo, 32, v11
	v_cndmask_b32_e32 v11, v19, v11, vcc_lo
	v_lshlrev_b32_e32 v18, 2, v11
	ds_bpermute_b32 v11, v18, v13
	ds_bpermute_b32 v12, v18, v14
	;; [unrolled: 1-line block ×4, first 2 shown]
	s_waitcnt lgkmcnt(2)
	v_add_f64 v[11:12], v[13:14], v[11:12]
	s_waitcnt lgkmcnt(0)
	v_add_f64 v[13:14], v[15:16], v[17:18]
	v_xor_b32_e32 v15, 1, v19
	v_cmp_gt_i32_e32 vcc_lo, 32, v15
	v_cndmask_b32_e32 v15, v19, v15, vcc_lo
	v_cmp_eq_u32_e32 vcc_lo, 7, v0
	v_lshlrev_b32_e32 v18, 2, v15
	ds_bpermute_b32 v15, v18, v11
	ds_bpermute_b32 v16, v18, v12
	;; [unrolled: 1-line block ×4, first 2 shown]
	s_and_b32 exec_lo, exec_lo, vcc_lo
	s_cbranch_execz .LBB239_13
; %bb.9:
	s_waitcnt lgkmcnt(0)
	v_add_f64 v[13:14], v[13:14], v[17:18]
	v_add_f64 v[11:12], v[11:12], v[15:16]
	v_cmp_eq_f64_e32 vcc_lo, 0, v[1:2]
	v_cmp_eq_f64_e64 s0, 0, v[3:4]
	v_lshlrev_b64 v[9:10], 4, v[9:10]
	v_mul_f64 v[15:16], v[13:14], -v[7:8]
	v_mul_f64 v[13:14], v[5:6], v[13:14]
	s_and_b32 s0, vcc_lo, s0
	v_fma_f64 v[5:6], v[5:6], v[11:12], v[15:16]
	v_fma_f64 v[7:8], v[7:8], v[11:12], v[13:14]
	s_and_saveexec_b32 s1, s0
	s_xor_b32 s0, exec_lo, s1
	s_cbranch_execz .LBB239_11
; %bb.10:
	v_add_co_u32 v0, vcc_lo, s6, v9
	v_add_co_ci_u32_e64 v1, null, s7, v10, vcc_lo
                                        ; implicit-def: $vgpr9_vgpr10
	global_store_dwordx4 v[0:1], v[5:8], off
                                        ; implicit-def: $vgpr1_vgpr2
                                        ; implicit-def: $vgpr5_vgpr6
.LBB239_11:
	s_andn2_saveexec_b32 s0, s0
	s_cbranch_execz .LBB239_13
; %bb.12:
	v_add_co_u32 v13, vcc_lo, s6, v9
	v_add_co_ci_u32_e64 v14, null, s7, v10, vcc_lo
	global_load_dwordx4 v[9:12], v[13:14], off
	s_waitcnt vmcnt(0)
	v_fma_f64 v[5:6], v[1:2], v[9:10], v[5:6]
	v_fma_f64 v[7:8], v[3:4], v[9:10], v[7:8]
	v_fma_f64 v[3:4], -v[3:4], v[11:12], v[5:6]
	v_fma_f64 v[5:6], v[1:2], v[11:12], v[7:8]
	global_store_dwordx4 v[13:14], v[3:6], off
.LBB239_13:
	s_endpgm
	.section	.rodata,"a",@progbits
	.p2align	6, 0x0
	.amdhsa_kernel _ZN9rocsparseL19gebsrmvn_1xn_kernelILj128ELj4ELj8E21rocsparse_complex_numIdEEEvi20rocsparse_direction_NS_24const_host_device_scalarIT2_EEPKiS8_PKS5_SA_S6_PS5_21rocsparse_index_base_b
		.amdhsa_group_segment_fixed_size 0
		.amdhsa_private_segment_fixed_size 0
		.amdhsa_kernarg_size 88
		.amdhsa_user_sgpr_count 6
		.amdhsa_user_sgpr_private_segment_buffer 1
		.amdhsa_user_sgpr_dispatch_ptr 0
		.amdhsa_user_sgpr_queue_ptr 0
		.amdhsa_user_sgpr_kernarg_segment_ptr 1
		.amdhsa_user_sgpr_dispatch_id 0
		.amdhsa_user_sgpr_flat_scratch_init 0
		.amdhsa_user_sgpr_private_segment_size 0
		.amdhsa_wavefront_size32 1
		.amdhsa_uses_dynamic_stack 0
		.amdhsa_system_sgpr_private_segment_wavefront_offset 0
		.amdhsa_system_sgpr_workgroup_id_x 1
		.amdhsa_system_sgpr_workgroup_id_y 0
		.amdhsa_system_sgpr_workgroup_id_z 0
		.amdhsa_system_sgpr_workgroup_info 0
		.amdhsa_system_vgpr_workitem_id 0
		.amdhsa_next_free_vgpr 52
		.amdhsa_next_free_sgpr 13
		.amdhsa_reserve_vcc 1
		.amdhsa_reserve_flat_scratch 0
		.amdhsa_float_round_mode_32 0
		.amdhsa_float_round_mode_16_64 0
		.amdhsa_float_denorm_mode_32 3
		.amdhsa_float_denorm_mode_16_64 3
		.amdhsa_dx10_clamp 1
		.amdhsa_ieee_mode 1
		.amdhsa_fp16_overflow 0
		.amdhsa_workgroup_processor_mode 1
		.amdhsa_memory_ordered 1
		.amdhsa_forward_progress 1
		.amdhsa_shared_vgpr_count 0
		.amdhsa_exception_fp_ieee_invalid_op 0
		.amdhsa_exception_fp_denorm_src 0
		.amdhsa_exception_fp_ieee_div_zero 0
		.amdhsa_exception_fp_ieee_overflow 0
		.amdhsa_exception_fp_ieee_underflow 0
		.amdhsa_exception_fp_ieee_inexact 0
		.amdhsa_exception_int_div_zero 0
	.end_amdhsa_kernel
	.section	.text._ZN9rocsparseL19gebsrmvn_1xn_kernelILj128ELj4ELj8E21rocsparse_complex_numIdEEEvi20rocsparse_direction_NS_24const_host_device_scalarIT2_EEPKiS8_PKS5_SA_S6_PS5_21rocsparse_index_base_b,"axG",@progbits,_ZN9rocsparseL19gebsrmvn_1xn_kernelILj128ELj4ELj8E21rocsparse_complex_numIdEEEvi20rocsparse_direction_NS_24const_host_device_scalarIT2_EEPKiS8_PKS5_SA_S6_PS5_21rocsparse_index_base_b,comdat
.Lfunc_end239:
	.size	_ZN9rocsparseL19gebsrmvn_1xn_kernelILj128ELj4ELj8E21rocsparse_complex_numIdEEEvi20rocsparse_direction_NS_24const_host_device_scalarIT2_EEPKiS8_PKS5_SA_S6_PS5_21rocsparse_index_base_b, .Lfunc_end239-_ZN9rocsparseL19gebsrmvn_1xn_kernelILj128ELj4ELj8E21rocsparse_complex_numIdEEEvi20rocsparse_direction_NS_24const_host_device_scalarIT2_EEPKiS8_PKS5_SA_S6_PS5_21rocsparse_index_base_b
                                        ; -- End function
	.set _ZN9rocsparseL19gebsrmvn_1xn_kernelILj128ELj4ELj8E21rocsparse_complex_numIdEEEvi20rocsparse_direction_NS_24const_host_device_scalarIT2_EEPKiS8_PKS5_SA_S6_PS5_21rocsparse_index_base_b.num_vgpr, 52
	.set _ZN9rocsparseL19gebsrmvn_1xn_kernelILj128ELj4ELj8E21rocsparse_complex_numIdEEEvi20rocsparse_direction_NS_24const_host_device_scalarIT2_EEPKiS8_PKS5_SA_S6_PS5_21rocsparse_index_base_b.num_agpr, 0
	.set _ZN9rocsparseL19gebsrmvn_1xn_kernelILj128ELj4ELj8E21rocsparse_complex_numIdEEEvi20rocsparse_direction_NS_24const_host_device_scalarIT2_EEPKiS8_PKS5_SA_S6_PS5_21rocsparse_index_base_b.numbered_sgpr, 13
	.set _ZN9rocsparseL19gebsrmvn_1xn_kernelILj128ELj4ELj8E21rocsparse_complex_numIdEEEvi20rocsparse_direction_NS_24const_host_device_scalarIT2_EEPKiS8_PKS5_SA_S6_PS5_21rocsparse_index_base_b.num_named_barrier, 0
	.set _ZN9rocsparseL19gebsrmvn_1xn_kernelILj128ELj4ELj8E21rocsparse_complex_numIdEEEvi20rocsparse_direction_NS_24const_host_device_scalarIT2_EEPKiS8_PKS5_SA_S6_PS5_21rocsparse_index_base_b.private_seg_size, 0
	.set _ZN9rocsparseL19gebsrmvn_1xn_kernelILj128ELj4ELj8E21rocsparse_complex_numIdEEEvi20rocsparse_direction_NS_24const_host_device_scalarIT2_EEPKiS8_PKS5_SA_S6_PS5_21rocsparse_index_base_b.uses_vcc, 1
	.set _ZN9rocsparseL19gebsrmvn_1xn_kernelILj128ELj4ELj8E21rocsparse_complex_numIdEEEvi20rocsparse_direction_NS_24const_host_device_scalarIT2_EEPKiS8_PKS5_SA_S6_PS5_21rocsparse_index_base_b.uses_flat_scratch, 0
	.set _ZN9rocsparseL19gebsrmvn_1xn_kernelILj128ELj4ELj8E21rocsparse_complex_numIdEEEvi20rocsparse_direction_NS_24const_host_device_scalarIT2_EEPKiS8_PKS5_SA_S6_PS5_21rocsparse_index_base_b.has_dyn_sized_stack, 0
	.set _ZN9rocsparseL19gebsrmvn_1xn_kernelILj128ELj4ELj8E21rocsparse_complex_numIdEEEvi20rocsparse_direction_NS_24const_host_device_scalarIT2_EEPKiS8_PKS5_SA_S6_PS5_21rocsparse_index_base_b.has_recursion, 0
	.set _ZN9rocsparseL19gebsrmvn_1xn_kernelILj128ELj4ELj8E21rocsparse_complex_numIdEEEvi20rocsparse_direction_NS_24const_host_device_scalarIT2_EEPKiS8_PKS5_SA_S6_PS5_21rocsparse_index_base_b.has_indirect_call, 0
	.section	.AMDGPU.csdata,"",@progbits
; Kernel info:
; codeLenInByte = 1128
; TotalNumSgprs: 15
; NumVgprs: 52
; ScratchSize: 0
; MemoryBound: 1
; FloatMode: 240
; IeeeMode: 1
; LDSByteSize: 0 bytes/workgroup (compile time only)
; SGPRBlocks: 0
; VGPRBlocks: 6
; NumSGPRsForWavesPerEU: 15
; NumVGPRsForWavesPerEU: 52
; Occupancy: 16
; WaveLimiterHint : 1
; COMPUTE_PGM_RSRC2:SCRATCH_EN: 0
; COMPUTE_PGM_RSRC2:USER_SGPR: 6
; COMPUTE_PGM_RSRC2:TRAP_HANDLER: 0
; COMPUTE_PGM_RSRC2:TGID_X_EN: 1
; COMPUTE_PGM_RSRC2:TGID_Y_EN: 0
; COMPUTE_PGM_RSRC2:TGID_Z_EN: 0
; COMPUTE_PGM_RSRC2:TIDIG_COMP_CNT: 0
	.section	.text._ZN9rocsparseL19gebsrmvn_1xn_kernelILj128ELj4ELj16E21rocsparse_complex_numIdEEEvi20rocsparse_direction_NS_24const_host_device_scalarIT2_EEPKiS8_PKS5_SA_S6_PS5_21rocsparse_index_base_b,"axG",@progbits,_ZN9rocsparseL19gebsrmvn_1xn_kernelILj128ELj4ELj16E21rocsparse_complex_numIdEEEvi20rocsparse_direction_NS_24const_host_device_scalarIT2_EEPKiS8_PKS5_SA_S6_PS5_21rocsparse_index_base_b,comdat
	.globl	_ZN9rocsparseL19gebsrmvn_1xn_kernelILj128ELj4ELj16E21rocsparse_complex_numIdEEEvi20rocsparse_direction_NS_24const_host_device_scalarIT2_EEPKiS8_PKS5_SA_S6_PS5_21rocsparse_index_base_b ; -- Begin function _ZN9rocsparseL19gebsrmvn_1xn_kernelILj128ELj4ELj16E21rocsparse_complex_numIdEEEvi20rocsparse_direction_NS_24const_host_device_scalarIT2_EEPKiS8_PKS5_SA_S6_PS5_21rocsparse_index_base_b
	.p2align	8
	.type	_ZN9rocsparseL19gebsrmvn_1xn_kernelILj128ELj4ELj16E21rocsparse_complex_numIdEEEvi20rocsparse_direction_NS_24const_host_device_scalarIT2_EEPKiS8_PKS5_SA_S6_PS5_21rocsparse_index_base_b,@function
_ZN9rocsparseL19gebsrmvn_1xn_kernelILj128ELj4ELj16E21rocsparse_complex_numIdEEEvi20rocsparse_direction_NS_24const_host_device_scalarIT2_EEPKiS8_PKS5_SA_S6_PS5_21rocsparse_index_base_b: ; @_ZN9rocsparseL19gebsrmvn_1xn_kernelILj128ELj4ELj16E21rocsparse_complex_numIdEEEvi20rocsparse_direction_NS_24const_host_device_scalarIT2_EEPKiS8_PKS5_SA_S6_PS5_21rocsparse_index_base_b
; %bb.0:
	s_clause 0x1
	s_load_dwordx2 s[8:9], s[4:5], 0x50
	s_load_dwordx2 s[0:1], s[4:5], 0x8
	s_add_u32 s7, s4, 8
	s_addc_u32 s10, s5, 0
	s_add_u32 s11, s4, 56
	s_addc_u32 s12, s5, 0
	s_load_dwordx2 s[2:3], s[4:5], 0x38
	s_waitcnt lgkmcnt(0)
	s_bitcmp1_b32 s9, 0
	s_cselect_b32 s0, s7, s0
	s_cselect_b32 s1, s10, s1
	v_mov_b32_e32 v1, s0
	v_mov_b32_e32 v2, s1
	s_cselect_b32 s0, s11, s2
	s_cselect_b32 s1, s12, s3
	flat_load_dwordx4 v[5:8], v[1:2]
	v_mov_b32_e32 v1, s0
	v_mov_b32_e32 v2, s1
	flat_load_dwordx4 v[1:4], v[1:2]
	s_waitcnt vmcnt(1) lgkmcnt(1)
	v_cmp_eq_f64_e32 vcc_lo, 0, v[5:6]
	v_cmp_eq_f64_e64 s0, 0, v[7:8]
	s_and_b32 s2, vcc_lo, s0
	s_mov_b32 s0, -1
	s_and_saveexec_b32 s1, s2
	s_cbranch_execz .LBB240_2
; %bb.1:
	s_waitcnt vmcnt(0) lgkmcnt(0)
	v_cmp_neq_f64_e32 vcc_lo, 1.0, v[1:2]
	v_cmp_neq_f64_e64 s0, 0, v[3:4]
	s_or_b32 s0, vcc_lo, s0
	s_orn2_b32 s0, s0, exec_lo
.LBB240_2:
	s_or_b32 exec_lo, exec_lo, s1
	s_and_saveexec_b32 s1, s0
	s_cbranch_execz .LBB240_13
; %bb.3:
	s_load_dword s0, s[4:5], 0x0
	v_lshrrev_b32_e32 v9, 4, v0
	v_lshl_or_b32 v9, s6, 3, v9
	s_waitcnt lgkmcnt(0)
	v_cmp_gt_i32_e32 vcc_lo, s0, v9
	s_and_b32 exec_lo, exec_lo, vcc_lo
	s_cbranch_execz .LBB240_13
; %bb.4:
	s_clause 0x1
	s_load_dwordx2 s[0:1], s[4:5], 0x18
	s_load_dwordx2 s[6:7], s[4:5], 0x48
	v_ashrrev_i32_e32 v10, 31, v9
	v_and_b32_e32 v0, 15, v0
	s_mov_b32 s9, exec_lo
	v_lshlrev_b64 v[11:12], 2, v[9:10]
	v_subrev_nc_u32_e32 v13, s8, v0
	s_waitcnt lgkmcnt(0)
	v_add_co_u32 v11, vcc_lo, s0, v11
	v_add_co_ci_u32_e64 v12, null, s1, v12, vcc_lo
	global_load_dwordx2 v[11:12], v[11:12], off
	s_waitcnt vmcnt(0)
	v_subrev_nc_u32_e32 v19, s8, v12
	v_add_nc_u32_e32 v15, v11, v13
	v_mov_b32_e32 v11, 0
	v_mov_b32_e32 v13, 0
	;; [unrolled: 1-line block ×4, first 2 shown]
	v_cmpx_lt_i32_e64 v15, v19
	s_cbranch_execz .LBB240_8
; %bb.5:
	s_clause 0x1
	s_load_dwordx4 s[0:3], s[4:5], 0x20
	s_load_dwordx2 s[4:5], s[4:5], 0x30
	v_mov_b32_e32 v11, 0
	v_mov_b32_e32 v13, 0
	v_lshlrev_b32_e32 v17, 2, v15
	v_mov_b32_e32 v12, 0
	v_mov_b32_e32 v14, 0
	;; [unrolled: 1-line block ×3, first 2 shown]
	s_mov_b32 s10, 0
.LBB240_6:                              ; =>This Inner Loop Header: Depth=1
	v_ashrrev_i32_e32 v16, 31, v15
	v_mov_b32_e32 v23, v18
	v_lshlrev_b64 v[20:21], 2, v[15:16]
	v_add_nc_u32_e32 v15, 16, v15
	s_waitcnt lgkmcnt(0)
	v_add_co_u32 v20, vcc_lo, s0, v20
	v_add_co_ci_u32_e64 v21, null, s1, v21, vcc_lo
	global_load_dword v16, v[20:21], off
	v_lshlrev_b64 v[20:21], 4, v[17:18]
	v_add_nc_u32_e32 v17, 64, v17
	v_add_co_u32 v40, vcc_lo, s2, v20
	v_add_co_ci_u32_e64 v41, null, s3, v21, vcc_lo
	s_waitcnt vmcnt(0)
	v_subrev_nc_u32_e32 v16, s8, v16
	v_lshlrev_b32_e32 v22, 2, v16
	v_lshlrev_b64 v[22:23], 4, v[22:23]
	v_add_co_u32 v48, vcc_lo, s4, v22
	v_add_co_ci_u32_e64 v49, null, s5, v23, vcc_lo
	v_cmp_ge_i32_e32 vcc_lo, v15, v19
	s_clause 0x1
	global_load_dwordx4 v[20:23], v[40:41], off offset:16
	global_load_dwordx4 v[24:27], v[40:41], off
	s_clause 0x1
	global_load_dwordx4 v[28:31], v[48:49], off
	global_load_dwordx4 v[32:35], v[48:49], off offset:16
	s_clause 0x1
	global_load_dwordx4 v[36:39], v[40:41], off offset:48
	global_load_dwordx4 v[40:43], v[40:41], off offset:32
	s_clause 0x1
	global_load_dwordx4 v[44:47], v[48:49], off offset:32
	global_load_dwordx4 v[48:51], v[48:49], off offset:48
	s_or_b32 s10, vcc_lo, s10
	s_waitcnt vmcnt(5)
	v_fma_f64 v[13:14], v[24:25], v[28:29], v[13:14]
	v_fma_f64 v[11:12], v[26:27], v[28:29], v[11:12]
	v_fma_f64 v[13:14], -v[26:27], v[30:31], v[13:14]
	v_fma_f64 v[11:12], v[24:25], v[30:31], v[11:12]
	s_waitcnt vmcnt(4)
	v_fma_f64 v[13:14], v[20:21], v[32:33], v[13:14]
	v_fma_f64 v[11:12], v[22:23], v[32:33], v[11:12]
	v_fma_f64 v[13:14], -v[22:23], v[34:35], v[13:14]
	v_fma_f64 v[11:12], v[20:21], v[34:35], v[11:12]
	;; [unrolled: 5-line block ×4, first 2 shown]
	s_andn2_b32 exec_lo, exec_lo, s10
	s_cbranch_execnz .LBB240_6
; %bb.7:
	s_or_b32 exec_lo, exec_lo, s10
.LBB240_8:
	s_or_b32 exec_lo, exec_lo, s9
	v_mbcnt_lo_u32_b32 v19, -1, 0
	v_xor_b32_e32 v15, 8, v19
	v_cmp_gt_i32_e32 vcc_lo, 32, v15
	v_cndmask_b32_e32 v15, v19, v15, vcc_lo
	v_lshlrev_b32_e32 v18, 2, v15
	ds_bpermute_b32 v15, v18, v13
	ds_bpermute_b32 v16, v18, v14
	;; [unrolled: 1-line block ×4, first 2 shown]
	s_waitcnt lgkmcnt(2)
	v_add_f64 v[13:14], v[13:14], v[15:16]
	v_xor_b32_e32 v15, 4, v19
	s_waitcnt lgkmcnt(0)
	v_add_f64 v[11:12], v[11:12], v[17:18]
	v_cmp_gt_i32_e32 vcc_lo, 32, v15
	v_cndmask_b32_e32 v15, v19, v15, vcc_lo
	v_lshlrev_b32_e32 v18, 2, v15
	ds_bpermute_b32 v15, v18, v13
	ds_bpermute_b32 v16, v18, v14
	;; [unrolled: 1-line block ×4, first 2 shown]
	s_waitcnt lgkmcnt(2)
	v_add_f64 v[13:14], v[13:14], v[15:16]
	s_waitcnt lgkmcnt(0)
	v_add_f64 v[15:16], v[11:12], v[17:18]
	v_xor_b32_e32 v11, 2, v19
	v_cmp_gt_i32_e32 vcc_lo, 32, v11
	v_cndmask_b32_e32 v11, v19, v11, vcc_lo
	v_lshlrev_b32_e32 v18, 2, v11
	ds_bpermute_b32 v11, v18, v13
	ds_bpermute_b32 v12, v18, v14
	;; [unrolled: 1-line block ×4, first 2 shown]
	s_waitcnt lgkmcnt(2)
	v_add_f64 v[11:12], v[13:14], v[11:12]
	s_waitcnt lgkmcnt(0)
	v_add_f64 v[13:14], v[15:16], v[17:18]
	v_xor_b32_e32 v15, 1, v19
	v_cmp_gt_i32_e32 vcc_lo, 32, v15
	v_cndmask_b32_e32 v15, v19, v15, vcc_lo
	v_cmp_eq_u32_e32 vcc_lo, 15, v0
	v_lshlrev_b32_e32 v18, 2, v15
	ds_bpermute_b32 v15, v18, v11
	ds_bpermute_b32 v16, v18, v12
	;; [unrolled: 1-line block ×4, first 2 shown]
	s_and_b32 exec_lo, exec_lo, vcc_lo
	s_cbranch_execz .LBB240_13
; %bb.9:
	s_waitcnt lgkmcnt(0)
	v_add_f64 v[13:14], v[13:14], v[17:18]
	v_add_f64 v[11:12], v[11:12], v[15:16]
	v_cmp_eq_f64_e32 vcc_lo, 0, v[1:2]
	v_cmp_eq_f64_e64 s0, 0, v[3:4]
	v_lshlrev_b64 v[9:10], 4, v[9:10]
	v_mul_f64 v[15:16], v[13:14], -v[7:8]
	v_mul_f64 v[13:14], v[5:6], v[13:14]
	s_and_b32 s0, vcc_lo, s0
	v_fma_f64 v[5:6], v[5:6], v[11:12], v[15:16]
	v_fma_f64 v[7:8], v[7:8], v[11:12], v[13:14]
	s_and_saveexec_b32 s1, s0
	s_xor_b32 s0, exec_lo, s1
	s_cbranch_execz .LBB240_11
; %bb.10:
	v_add_co_u32 v0, vcc_lo, s6, v9
	v_add_co_ci_u32_e64 v1, null, s7, v10, vcc_lo
                                        ; implicit-def: $vgpr9_vgpr10
	global_store_dwordx4 v[0:1], v[5:8], off
                                        ; implicit-def: $vgpr1_vgpr2
                                        ; implicit-def: $vgpr5_vgpr6
.LBB240_11:
	s_andn2_saveexec_b32 s0, s0
	s_cbranch_execz .LBB240_13
; %bb.12:
	v_add_co_u32 v13, vcc_lo, s6, v9
	v_add_co_ci_u32_e64 v14, null, s7, v10, vcc_lo
	global_load_dwordx4 v[9:12], v[13:14], off
	s_waitcnt vmcnt(0)
	v_fma_f64 v[5:6], v[1:2], v[9:10], v[5:6]
	v_fma_f64 v[7:8], v[3:4], v[9:10], v[7:8]
	v_fma_f64 v[3:4], -v[3:4], v[11:12], v[5:6]
	v_fma_f64 v[5:6], v[1:2], v[11:12], v[7:8]
	global_store_dwordx4 v[13:14], v[3:6], off
.LBB240_13:
	s_endpgm
	.section	.rodata,"a",@progbits
	.p2align	6, 0x0
	.amdhsa_kernel _ZN9rocsparseL19gebsrmvn_1xn_kernelILj128ELj4ELj16E21rocsparse_complex_numIdEEEvi20rocsparse_direction_NS_24const_host_device_scalarIT2_EEPKiS8_PKS5_SA_S6_PS5_21rocsparse_index_base_b
		.amdhsa_group_segment_fixed_size 0
		.amdhsa_private_segment_fixed_size 0
		.amdhsa_kernarg_size 88
		.amdhsa_user_sgpr_count 6
		.amdhsa_user_sgpr_private_segment_buffer 1
		.amdhsa_user_sgpr_dispatch_ptr 0
		.amdhsa_user_sgpr_queue_ptr 0
		.amdhsa_user_sgpr_kernarg_segment_ptr 1
		.amdhsa_user_sgpr_dispatch_id 0
		.amdhsa_user_sgpr_flat_scratch_init 0
		.amdhsa_user_sgpr_private_segment_size 0
		.amdhsa_wavefront_size32 1
		.amdhsa_uses_dynamic_stack 0
		.amdhsa_system_sgpr_private_segment_wavefront_offset 0
		.amdhsa_system_sgpr_workgroup_id_x 1
		.amdhsa_system_sgpr_workgroup_id_y 0
		.amdhsa_system_sgpr_workgroup_id_z 0
		.amdhsa_system_sgpr_workgroup_info 0
		.amdhsa_system_vgpr_workitem_id 0
		.amdhsa_next_free_vgpr 52
		.amdhsa_next_free_sgpr 13
		.amdhsa_reserve_vcc 1
		.amdhsa_reserve_flat_scratch 0
		.amdhsa_float_round_mode_32 0
		.amdhsa_float_round_mode_16_64 0
		.amdhsa_float_denorm_mode_32 3
		.amdhsa_float_denorm_mode_16_64 3
		.amdhsa_dx10_clamp 1
		.amdhsa_ieee_mode 1
		.amdhsa_fp16_overflow 0
		.amdhsa_workgroup_processor_mode 1
		.amdhsa_memory_ordered 1
		.amdhsa_forward_progress 1
		.amdhsa_shared_vgpr_count 0
		.amdhsa_exception_fp_ieee_invalid_op 0
		.amdhsa_exception_fp_denorm_src 0
		.amdhsa_exception_fp_ieee_div_zero 0
		.amdhsa_exception_fp_ieee_overflow 0
		.amdhsa_exception_fp_ieee_underflow 0
		.amdhsa_exception_fp_ieee_inexact 0
		.amdhsa_exception_int_div_zero 0
	.end_amdhsa_kernel
	.section	.text._ZN9rocsparseL19gebsrmvn_1xn_kernelILj128ELj4ELj16E21rocsparse_complex_numIdEEEvi20rocsparse_direction_NS_24const_host_device_scalarIT2_EEPKiS8_PKS5_SA_S6_PS5_21rocsparse_index_base_b,"axG",@progbits,_ZN9rocsparseL19gebsrmvn_1xn_kernelILj128ELj4ELj16E21rocsparse_complex_numIdEEEvi20rocsparse_direction_NS_24const_host_device_scalarIT2_EEPKiS8_PKS5_SA_S6_PS5_21rocsparse_index_base_b,comdat
.Lfunc_end240:
	.size	_ZN9rocsparseL19gebsrmvn_1xn_kernelILj128ELj4ELj16E21rocsparse_complex_numIdEEEvi20rocsparse_direction_NS_24const_host_device_scalarIT2_EEPKiS8_PKS5_SA_S6_PS5_21rocsparse_index_base_b, .Lfunc_end240-_ZN9rocsparseL19gebsrmvn_1xn_kernelILj128ELj4ELj16E21rocsparse_complex_numIdEEEvi20rocsparse_direction_NS_24const_host_device_scalarIT2_EEPKiS8_PKS5_SA_S6_PS5_21rocsparse_index_base_b
                                        ; -- End function
	.set _ZN9rocsparseL19gebsrmvn_1xn_kernelILj128ELj4ELj16E21rocsparse_complex_numIdEEEvi20rocsparse_direction_NS_24const_host_device_scalarIT2_EEPKiS8_PKS5_SA_S6_PS5_21rocsparse_index_base_b.num_vgpr, 52
	.set _ZN9rocsparseL19gebsrmvn_1xn_kernelILj128ELj4ELj16E21rocsparse_complex_numIdEEEvi20rocsparse_direction_NS_24const_host_device_scalarIT2_EEPKiS8_PKS5_SA_S6_PS5_21rocsparse_index_base_b.num_agpr, 0
	.set _ZN9rocsparseL19gebsrmvn_1xn_kernelILj128ELj4ELj16E21rocsparse_complex_numIdEEEvi20rocsparse_direction_NS_24const_host_device_scalarIT2_EEPKiS8_PKS5_SA_S6_PS5_21rocsparse_index_base_b.numbered_sgpr, 13
	.set _ZN9rocsparseL19gebsrmvn_1xn_kernelILj128ELj4ELj16E21rocsparse_complex_numIdEEEvi20rocsparse_direction_NS_24const_host_device_scalarIT2_EEPKiS8_PKS5_SA_S6_PS5_21rocsparse_index_base_b.num_named_barrier, 0
	.set _ZN9rocsparseL19gebsrmvn_1xn_kernelILj128ELj4ELj16E21rocsparse_complex_numIdEEEvi20rocsparse_direction_NS_24const_host_device_scalarIT2_EEPKiS8_PKS5_SA_S6_PS5_21rocsparse_index_base_b.private_seg_size, 0
	.set _ZN9rocsparseL19gebsrmvn_1xn_kernelILj128ELj4ELj16E21rocsparse_complex_numIdEEEvi20rocsparse_direction_NS_24const_host_device_scalarIT2_EEPKiS8_PKS5_SA_S6_PS5_21rocsparse_index_base_b.uses_vcc, 1
	.set _ZN9rocsparseL19gebsrmvn_1xn_kernelILj128ELj4ELj16E21rocsparse_complex_numIdEEEvi20rocsparse_direction_NS_24const_host_device_scalarIT2_EEPKiS8_PKS5_SA_S6_PS5_21rocsparse_index_base_b.uses_flat_scratch, 0
	.set _ZN9rocsparseL19gebsrmvn_1xn_kernelILj128ELj4ELj16E21rocsparse_complex_numIdEEEvi20rocsparse_direction_NS_24const_host_device_scalarIT2_EEPKiS8_PKS5_SA_S6_PS5_21rocsparse_index_base_b.has_dyn_sized_stack, 0
	.set _ZN9rocsparseL19gebsrmvn_1xn_kernelILj128ELj4ELj16E21rocsparse_complex_numIdEEEvi20rocsparse_direction_NS_24const_host_device_scalarIT2_EEPKiS8_PKS5_SA_S6_PS5_21rocsparse_index_base_b.has_recursion, 0
	.set _ZN9rocsparseL19gebsrmvn_1xn_kernelILj128ELj4ELj16E21rocsparse_complex_numIdEEEvi20rocsparse_direction_NS_24const_host_device_scalarIT2_EEPKiS8_PKS5_SA_S6_PS5_21rocsparse_index_base_b.has_indirect_call, 0
	.section	.AMDGPU.csdata,"",@progbits
; Kernel info:
; codeLenInByte = 1200
; TotalNumSgprs: 15
; NumVgprs: 52
; ScratchSize: 0
; MemoryBound: 1
; FloatMode: 240
; IeeeMode: 1
; LDSByteSize: 0 bytes/workgroup (compile time only)
; SGPRBlocks: 0
; VGPRBlocks: 6
; NumSGPRsForWavesPerEU: 15
; NumVGPRsForWavesPerEU: 52
; Occupancy: 16
; WaveLimiterHint : 1
; COMPUTE_PGM_RSRC2:SCRATCH_EN: 0
; COMPUTE_PGM_RSRC2:USER_SGPR: 6
; COMPUTE_PGM_RSRC2:TRAP_HANDLER: 0
; COMPUTE_PGM_RSRC2:TGID_X_EN: 1
; COMPUTE_PGM_RSRC2:TGID_Y_EN: 0
; COMPUTE_PGM_RSRC2:TGID_Z_EN: 0
; COMPUTE_PGM_RSRC2:TIDIG_COMP_CNT: 0
	.section	.text._ZN9rocsparseL19gebsrmvn_1xn_kernelILj128ELj4ELj32E21rocsparse_complex_numIdEEEvi20rocsparse_direction_NS_24const_host_device_scalarIT2_EEPKiS8_PKS5_SA_S6_PS5_21rocsparse_index_base_b,"axG",@progbits,_ZN9rocsparseL19gebsrmvn_1xn_kernelILj128ELj4ELj32E21rocsparse_complex_numIdEEEvi20rocsparse_direction_NS_24const_host_device_scalarIT2_EEPKiS8_PKS5_SA_S6_PS5_21rocsparse_index_base_b,comdat
	.globl	_ZN9rocsparseL19gebsrmvn_1xn_kernelILj128ELj4ELj32E21rocsparse_complex_numIdEEEvi20rocsparse_direction_NS_24const_host_device_scalarIT2_EEPKiS8_PKS5_SA_S6_PS5_21rocsparse_index_base_b ; -- Begin function _ZN9rocsparseL19gebsrmvn_1xn_kernelILj128ELj4ELj32E21rocsparse_complex_numIdEEEvi20rocsparse_direction_NS_24const_host_device_scalarIT2_EEPKiS8_PKS5_SA_S6_PS5_21rocsparse_index_base_b
	.p2align	8
	.type	_ZN9rocsparseL19gebsrmvn_1xn_kernelILj128ELj4ELj32E21rocsparse_complex_numIdEEEvi20rocsparse_direction_NS_24const_host_device_scalarIT2_EEPKiS8_PKS5_SA_S6_PS5_21rocsparse_index_base_b,@function
_ZN9rocsparseL19gebsrmvn_1xn_kernelILj128ELj4ELj32E21rocsparse_complex_numIdEEEvi20rocsparse_direction_NS_24const_host_device_scalarIT2_EEPKiS8_PKS5_SA_S6_PS5_21rocsparse_index_base_b: ; @_ZN9rocsparseL19gebsrmvn_1xn_kernelILj128ELj4ELj32E21rocsparse_complex_numIdEEEvi20rocsparse_direction_NS_24const_host_device_scalarIT2_EEPKiS8_PKS5_SA_S6_PS5_21rocsparse_index_base_b
; %bb.0:
	s_clause 0x1
	s_load_dwordx2 s[8:9], s[4:5], 0x50
	s_load_dwordx2 s[0:1], s[4:5], 0x8
	s_add_u32 s7, s4, 8
	s_addc_u32 s10, s5, 0
	s_add_u32 s11, s4, 56
	s_addc_u32 s12, s5, 0
	s_load_dwordx2 s[2:3], s[4:5], 0x38
	s_waitcnt lgkmcnt(0)
	s_bitcmp1_b32 s9, 0
	s_cselect_b32 s0, s7, s0
	s_cselect_b32 s1, s10, s1
	v_mov_b32_e32 v1, s0
	v_mov_b32_e32 v2, s1
	s_cselect_b32 s0, s11, s2
	s_cselect_b32 s1, s12, s3
	flat_load_dwordx4 v[5:8], v[1:2]
	v_mov_b32_e32 v1, s0
	v_mov_b32_e32 v2, s1
	flat_load_dwordx4 v[1:4], v[1:2]
	s_waitcnt vmcnt(1) lgkmcnt(1)
	v_cmp_eq_f64_e32 vcc_lo, 0, v[5:6]
	v_cmp_eq_f64_e64 s0, 0, v[7:8]
	s_and_b32 s2, vcc_lo, s0
	s_mov_b32 s0, -1
	s_and_saveexec_b32 s1, s2
	s_cbranch_execz .LBB241_2
; %bb.1:
	s_waitcnt vmcnt(0) lgkmcnt(0)
	v_cmp_neq_f64_e32 vcc_lo, 1.0, v[1:2]
	v_cmp_neq_f64_e64 s0, 0, v[3:4]
	s_or_b32 s0, vcc_lo, s0
	s_orn2_b32 s0, s0, exec_lo
.LBB241_2:
	s_or_b32 exec_lo, exec_lo, s1
	s_and_saveexec_b32 s1, s0
	s_cbranch_execz .LBB241_13
; %bb.3:
	s_load_dword s0, s[4:5], 0x0
	v_lshrrev_b32_e32 v9, 5, v0
	v_lshl_or_b32 v9, s6, 2, v9
	s_waitcnt lgkmcnt(0)
	v_cmp_gt_i32_e32 vcc_lo, s0, v9
	s_and_b32 exec_lo, exec_lo, vcc_lo
	s_cbranch_execz .LBB241_13
; %bb.4:
	s_clause 0x1
	s_load_dwordx2 s[0:1], s[4:5], 0x18
	s_load_dwordx2 s[6:7], s[4:5], 0x48
	v_ashrrev_i32_e32 v10, 31, v9
	v_and_b32_e32 v0, 31, v0
	s_mov_b32 s9, exec_lo
	v_lshlrev_b64 v[11:12], 2, v[9:10]
	v_subrev_nc_u32_e32 v13, s8, v0
	s_waitcnt lgkmcnt(0)
	v_add_co_u32 v11, vcc_lo, s0, v11
	v_add_co_ci_u32_e64 v12, null, s1, v12, vcc_lo
	global_load_dwordx2 v[11:12], v[11:12], off
	s_waitcnt vmcnt(0)
	v_subrev_nc_u32_e32 v19, s8, v12
	v_add_nc_u32_e32 v15, v11, v13
	v_mov_b32_e32 v11, 0
	v_mov_b32_e32 v13, 0
	;; [unrolled: 1-line block ×4, first 2 shown]
	v_cmpx_lt_i32_e64 v15, v19
	s_cbranch_execz .LBB241_8
; %bb.5:
	s_clause 0x1
	s_load_dwordx4 s[0:3], s[4:5], 0x20
	s_load_dwordx2 s[4:5], s[4:5], 0x30
	v_mov_b32_e32 v11, 0
	v_mov_b32_e32 v13, 0
	v_lshlrev_b32_e32 v17, 2, v15
	v_mov_b32_e32 v12, 0
	v_mov_b32_e32 v14, 0
	;; [unrolled: 1-line block ×3, first 2 shown]
	s_mov_b32 s10, 0
.LBB241_6:                              ; =>This Inner Loop Header: Depth=1
	v_ashrrev_i32_e32 v16, 31, v15
	v_mov_b32_e32 v23, v18
	v_lshlrev_b64 v[20:21], 2, v[15:16]
	v_add_nc_u32_e32 v15, 32, v15
	s_waitcnt lgkmcnt(0)
	v_add_co_u32 v20, vcc_lo, s0, v20
	v_add_co_ci_u32_e64 v21, null, s1, v21, vcc_lo
	global_load_dword v16, v[20:21], off
	v_lshlrev_b64 v[20:21], 4, v[17:18]
	v_add_nc_u32_e32 v17, 0x80, v17
	v_add_co_u32 v40, vcc_lo, s2, v20
	v_add_co_ci_u32_e64 v41, null, s3, v21, vcc_lo
	s_waitcnt vmcnt(0)
	v_subrev_nc_u32_e32 v16, s8, v16
	v_lshlrev_b32_e32 v22, 2, v16
	v_lshlrev_b64 v[22:23], 4, v[22:23]
	v_add_co_u32 v48, vcc_lo, s4, v22
	v_add_co_ci_u32_e64 v49, null, s5, v23, vcc_lo
	v_cmp_ge_i32_e32 vcc_lo, v15, v19
	s_clause 0x1
	global_load_dwordx4 v[20:23], v[40:41], off offset:16
	global_load_dwordx4 v[24:27], v[40:41], off
	s_clause 0x1
	global_load_dwordx4 v[28:31], v[48:49], off
	global_load_dwordx4 v[32:35], v[48:49], off offset:16
	s_clause 0x1
	global_load_dwordx4 v[36:39], v[40:41], off offset:48
	global_load_dwordx4 v[40:43], v[40:41], off offset:32
	s_clause 0x1
	global_load_dwordx4 v[44:47], v[48:49], off offset:32
	global_load_dwordx4 v[48:51], v[48:49], off offset:48
	s_or_b32 s10, vcc_lo, s10
	s_waitcnt vmcnt(5)
	v_fma_f64 v[13:14], v[24:25], v[28:29], v[13:14]
	v_fma_f64 v[11:12], v[26:27], v[28:29], v[11:12]
	v_fma_f64 v[13:14], -v[26:27], v[30:31], v[13:14]
	v_fma_f64 v[11:12], v[24:25], v[30:31], v[11:12]
	s_waitcnt vmcnt(4)
	v_fma_f64 v[13:14], v[20:21], v[32:33], v[13:14]
	v_fma_f64 v[11:12], v[22:23], v[32:33], v[11:12]
	v_fma_f64 v[13:14], -v[22:23], v[34:35], v[13:14]
	v_fma_f64 v[11:12], v[20:21], v[34:35], v[11:12]
	;; [unrolled: 5-line block ×4, first 2 shown]
	s_andn2_b32 exec_lo, exec_lo, s10
	s_cbranch_execnz .LBB241_6
; %bb.7:
	s_or_b32 exec_lo, exec_lo, s10
.LBB241_8:
	s_or_b32 exec_lo, exec_lo, s9
	v_mbcnt_lo_u32_b32 v19, -1, 0
	v_xor_b32_e32 v15, 16, v19
	v_cmp_gt_i32_e32 vcc_lo, 32, v15
	v_cndmask_b32_e32 v15, v19, v15, vcc_lo
	v_lshlrev_b32_e32 v18, 2, v15
	ds_bpermute_b32 v15, v18, v13
	ds_bpermute_b32 v16, v18, v14
	;; [unrolled: 1-line block ×4, first 2 shown]
	s_waitcnt lgkmcnt(2)
	v_add_f64 v[13:14], v[13:14], v[15:16]
	v_xor_b32_e32 v15, 8, v19
	s_waitcnt lgkmcnt(0)
	v_add_f64 v[11:12], v[11:12], v[17:18]
	v_cmp_gt_i32_e32 vcc_lo, 32, v15
	v_cndmask_b32_e32 v15, v19, v15, vcc_lo
	v_lshlrev_b32_e32 v18, 2, v15
	ds_bpermute_b32 v15, v18, v13
	ds_bpermute_b32 v16, v18, v14
	;; [unrolled: 1-line block ×4, first 2 shown]
	s_waitcnt lgkmcnt(2)
	v_add_f64 v[13:14], v[13:14], v[15:16]
	v_xor_b32_e32 v15, 4, v19
	s_waitcnt lgkmcnt(0)
	v_add_f64 v[11:12], v[11:12], v[17:18]
	v_cmp_gt_i32_e32 vcc_lo, 32, v15
	v_cndmask_b32_e32 v15, v19, v15, vcc_lo
	v_lshlrev_b32_e32 v18, 2, v15
	ds_bpermute_b32 v15, v18, v13
	ds_bpermute_b32 v16, v18, v14
	;; [unrolled: 1-line block ×4, first 2 shown]
	s_waitcnt lgkmcnt(2)
	v_add_f64 v[13:14], v[13:14], v[15:16]
	s_waitcnt lgkmcnt(0)
	v_add_f64 v[15:16], v[11:12], v[17:18]
	v_xor_b32_e32 v11, 2, v19
	v_cmp_gt_i32_e32 vcc_lo, 32, v11
	v_cndmask_b32_e32 v11, v19, v11, vcc_lo
	v_lshlrev_b32_e32 v18, 2, v11
	ds_bpermute_b32 v11, v18, v13
	ds_bpermute_b32 v12, v18, v14
	;; [unrolled: 1-line block ×4, first 2 shown]
	s_waitcnt lgkmcnt(2)
	v_add_f64 v[11:12], v[13:14], v[11:12]
	s_waitcnt lgkmcnt(0)
	v_add_f64 v[13:14], v[15:16], v[17:18]
	v_xor_b32_e32 v15, 1, v19
	v_cmp_gt_i32_e32 vcc_lo, 32, v15
	v_cndmask_b32_e32 v15, v19, v15, vcc_lo
	v_cmp_eq_u32_e32 vcc_lo, 31, v0
	v_lshlrev_b32_e32 v18, 2, v15
	ds_bpermute_b32 v15, v18, v11
	ds_bpermute_b32 v16, v18, v12
	;; [unrolled: 1-line block ×4, first 2 shown]
	s_and_b32 exec_lo, exec_lo, vcc_lo
	s_cbranch_execz .LBB241_13
; %bb.9:
	s_waitcnt lgkmcnt(0)
	v_add_f64 v[13:14], v[13:14], v[17:18]
	v_add_f64 v[11:12], v[11:12], v[15:16]
	v_cmp_eq_f64_e32 vcc_lo, 0, v[1:2]
	v_cmp_eq_f64_e64 s0, 0, v[3:4]
	v_lshlrev_b64 v[9:10], 4, v[9:10]
	v_mul_f64 v[15:16], v[13:14], -v[7:8]
	v_mul_f64 v[13:14], v[5:6], v[13:14]
	s_and_b32 s0, vcc_lo, s0
	v_fma_f64 v[5:6], v[5:6], v[11:12], v[15:16]
	v_fma_f64 v[7:8], v[7:8], v[11:12], v[13:14]
	s_and_saveexec_b32 s1, s0
	s_xor_b32 s0, exec_lo, s1
	s_cbranch_execz .LBB241_11
; %bb.10:
	v_add_co_u32 v0, vcc_lo, s6, v9
	v_add_co_ci_u32_e64 v1, null, s7, v10, vcc_lo
                                        ; implicit-def: $vgpr9_vgpr10
	global_store_dwordx4 v[0:1], v[5:8], off
                                        ; implicit-def: $vgpr1_vgpr2
                                        ; implicit-def: $vgpr5_vgpr6
.LBB241_11:
	s_andn2_saveexec_b32 s0, s0
	s_cbranch_execz .LBB241_13
; %bb.12:
	v_add_co_u32 v13, vcc_lo, s6, v9
	v_add_co_ci_u32_e64 v14, null, s7, v10, vcc_lo
	global_load_dwordx4 v[9:12], v[13:14], off
	s_waitcnt vmcnt(0)
	v_fma_f64 v[5:6], v[1:2], v[9:10], v[5:6]
	v_fma_f64 v[7:8], v[3:4], v[9:10], v[7:8]
	v_fma_f64 v[3:4], -v[3:4], v[11:12], v[5:6]
	v_fma_f64 v[5:6], v[1:2], v[11:12], v[7:8]
	global_store_dwordx4 v[13:14], v[3:6], off
.LBB241_13:
	s_endpgm
	.section	.rodata,"a",@progbits
	.p2align	6, 0x0
	.amdhsa_kernel _ZN9rocsparseL19gebsrmvn_1xn_kernelILj128ELj4ELj32E21rocsparse_complex_numIdEEEvi20rocsparse_direction_NS_24const_host_device_scalarIT2_EEPKiS8_PKS5_SA_S6_PS5_21rocsparse_index_base_b
		.amdhsa_group_segment_fixed_size 0
		.amdhsa_private_segment_fixed_size 0
		.amdhsa_kernarg_size 88
		.amdhsa_user_sgpr_count 6
		.amdhsa_user_sgpr_private_segment_buffer 1
		.amdhsa_user_sgpr_dispatch_ptr 0
		.amdhsa_user_sgpr_queue_ptr 0
		.amdhsa_user_sgpr_kernarg_segment_ptr 1
		.amdhsa_user_sgpr_dispatch_id 0
		.amdhsa_user_sgpr_flat_scratch_init 0
		.amdhsa_user_sgpr_private_segment_size 0
		.amdhsa_wavefront_size32 1
		.amdhsa_uses_dynamic_stack 0
		.amdhsa_system_sgpr_private_segment_wavefront_offset 0
		.amdhsa_system_sgpr_workgroup_id_x 1
		.amdhsa_system_sgpr_workgroup_id_y 0
		.amdhsa_system_sgpr_workgroup_id_z 0
		.amdhsa_system_sgpr_workgroup_info 0
		.amdhsa_system_vgpr_workitem_id 0
		.amdhsa_next_free_vgpr 52
		.amdhsa_next_free_sgpr 13
		.amdhsa_reserve_vcc 1
		.amdhsa_reserve_flat_scratch 0
		.amdhsa_float_round_mode_32 0
		.amdhsa_float_round_mode_16_64 0
		.amdhsa_float_denorm_mode_32 3
		.amdhsa_float_denorm_mode_16_64 3
		.amdhsa_dx10_clamp 1
		.amdhsa_ieee_mode 1
		.amdhsa_fp16_overflow 0
		.amdhsa_workgroup_processor_mode 1
		.amdhsa_memory_ordered 1
		.amdhsa_forward_progress 1
		.amdhsa_shared_vgpr_count 0
		.amdhsa_exception_fp_ieee_invalid_op 0
		.amdhsa_exception_fp_denorm_src 0
		.amdhsa_exception_fp_ieee_div_zero 0
		.amdhsa_exception_fp_ieee_overflow 0
		.amdhsa_exception_fp_ieee_underflow 0
		.amdhsa_exception_fp_ieee_inexact 0
		.amdhsa_exception_int_div_zero 0
	.end_amdhsa_kernel
	.section	.text._ZN9rocsparseL19gebsrmvn_1xn_kernelILj128ELj4ELj32E21rocsparse_complex_numIdEEEvi20rocsparse_direction_NS_24const_host_device_scalarIT2_EEPKiS8_PKS5_SA_S6_PS5_21rocsparse_index_base_b,"axG",@progbits,_ZN9rocsparseL19gebsrmvn_1xn_kernelILj128ELj4ELj32E21rocsparse_complex_numIdEEEvi20rocsparse_direction_NS_24const_host_device_scalarIT2_EEPKiS8_PKS5_SA_S6_PS5_21rocsparse_index_base_b,comdat
.Lfunc_end241:
	.size	_ZN9rocsparseL19gebsrmvn_1xn_kernelILj128ELj4ELj32E21rocsparse_complex_numIdEEEvi20rocsparse_direction_NS_24const_host_device_scalarIT2_EEPKiS8_PKS5_SA_S6_PS5_21rocsparse_index_base_b, .Lfunc_end241-_ZN9rocsparseL19gebsrmvn_1xn_kernelILj128ELj4ELj32E21rocsparse_complex_numIdEEEvi20rocsparse_direction_NS_24const_host_device_scalarIT2_EEPKiS8_PKS5_SA_S6_PS5_21rocsparse_index_base_b
                                        ; -- End function
	.set _ZN9rocsparseL19gebsrmvn_1xn_kernelILj128ELj4ELj32E21rocsparse_complex_numIdEEEvi20rocsparse_direction_NS_24const_host_device_scalarIT2_EEPKiS8_PKS5_SA_S6_PS5_21rocsparse_index_base_b.num_vgpr, 52
	.set _ZN9rocsparseL19gebsrmvn_1xn_kernelILj128ELj4ELj32E21rocsparse_complex_numIdEEEvi20rocsparse_direction_NS_24const_host_device_scalarIT2_EEPKiS8_PKS5_SA_S6_PS5_21rocsparse_index_base_b.num_agpr, 0
	.set _ZN9rocsparseL19gebsrmvn_1xn_kernelILj128ELj4ELj32E21rocsparse_complex_numIdEEEvi20rocsparse_direction_NS_24const_host_device_scalarIT2_EEPKiS8_PKS5_SA_S6_PS5_21rocsparse_index_base_b.numbered_sgpr, 13
	.set _ZN9rocsparseL19gebsrmvn_1xn_kernelILj128ELj4ELj32E21rocsparse_complex_numIdEEEvi20rocsparse_direction_NS_24const_host_device_scalarIT2_EEPKiS8_PKS5_SA_S6_PS5_21rocsparse_index_base_b.num_named_barrier, 0
	.set _ZN9rocsparseL19gebsrmvn_1xn_kernelILj128ELj4ELj32E21rocsparse_complex_numIdEEEvi20rocsparse_direction_NS_24const_host_device_scalarIT2_EEPKiS8_PKS5_SA_S6_PS5_21rocsparse_index_base_b.private_seg_size, 0
	.set _ZN9rocsparseL19gebsrmvn_1xn_kernelILj128ELj4ELj32E21rocsparse_complex_numIdEEEvi20rocsparse_direction_NS_24const_host_device_scalarIT2_EEPKiS8_PKS5_SA_S6_PS5_21rocsparse_index_base_b.uses_vcc, 1
	.set _ZN9rocsparseL19gebsrmvn_1xn_kernelILj128ELj4ELj32E21rocsparse_complex_numIdEEEvi20rocsparse_direction_NS_24const_host_device_scalarIT2_EEPKiS8_PKS5_SA_S6_PS5_21rocsparse_index_base_b.uses_flat_scratch, 0
	.set _ZN9rocsparseL19gebsrmvn_1xn_kernelILj128ELj4ELj32E21rocsparse_complex_numIdEEEvi20rocsparse_direction_NS_24const_host_device_scalarIT2_EEPKiS8_PKS5_SA_S6_PS5_21rocsparse_index_base_b.has_dyn_sized_stack, 0
	.set _ZN9rocsparseL19gebsrmvn_1xn_kernelILj128ELj4ELj32E21rocsparse_complex_numIdEEEvi20rocsparse_direction_NS_24const_host_device_scalarIT2_EEPKiS8_PKS5_SA_S6_PS5_21rocsparse_index_base_b.has_recursion, 0
	.set _ZN9rocsparseL19gebsrmvn_1xn_kernelILj128ELj4ELj32E21rocsparse_complex_numIdEEEvi20rocsparse_direction_NS_24const_host_device_scalarIT2_EEPKiS8_PKS5_SA_S6_PS5_21rocsparse_index_base_b.has_indirect_call, 0
	.section	.AMDGPU.csdata,"",@progbits
; Kernel info:
; codeLenInByte = 1276
; TotalNumSgprs: 15
; NumVgprs: 52
; ScratchSize: 0
; MemoryBound: 1
; FloatMode: 240
; IeeeMode: 1
; LDSByteSize: 0 bytes/workgroup (compile time only)
; SGPRBlocks: 0
; VGPRBlocks: 6
; NumSGPRsForWavesPerEU: 15
; NumVGPRsForWavesPerEU: 52
; Occupancy: 16
; WaveLimiterHint : 1
; COMPUTE_PGM_RSRC2:SCRATCH_EN: 0
; COMPUTE_PGM_RSRC2:USER_SGPR: 6
; COMPUTE_PGM_RSRC2:TRAP_HANDLER: 0
; COMPUTE_PGM_RSRC2:TGID_X_EN: 1
; COMPUTE_PGM_RSRC2:TGID_Y_EN: 0
; COMPUTE_PGM_RSRC2:TGID_Z_EN: 0
; COMPUTE_PGM_RSRC2:TIDIG_COMP_CNT: 0
	.section	.text._ZN9rocsparseL19gebsrmvn_1xn_kernelILj128ELj4ELj64E21rocsparse_complex_numIdEEEvi20rocsparse_direction_NS_24const_host_device_scalarIT2_EEPKiS8_PKS5_SA_S6_PS5_21rocsparse_index_base_b,"axG",@progbits,_ZN9rocsparseL19gebsrmvn_1xn_kernelILj128ELj4ELj64E21rocsparse_complex_numIdEEEvi20rocsparse_direction_NS_24const_host_device_scalarIT2_EEPKiS8_PKS5_SA_S6_PS5_21rocsparse_index_base_b,comdat
	.globl	_ZN9rocsparseL19gebsrmvn_1xn_kernelILj128ELj4ELj64E21rocsparse_complex_numIdEEEvi20rocsparse_direction_NS_24const_host_device_scalarIT2_EEPKiS8_PKS5_SA_S6_PS5_21rocsparse_index_base_b ; -- Begin function _ZN9rocsparseL19gebsrmvn_1xn_kernelILj128ELj4ELj64E21rocsparse_complex_numIdEEEvi20rocsparse_direction_NS_24const_host_device_scalarIT2_EEPKiS8_PKS5_SA_S6_PS5_21rocsparse_index_base_b
	.p2align	8
	.type	_ZN9rocsparseL19gebsrmvn_1xn_kernelILj128ELj4ELj64E21rocsparse_complex_numIdEEEvi20rocsparse_direction_NS_24const_host_device_scalarIT2_EEPKiS8_PKS5_SA_S6_PS5_21rocsparse_index_base_b,@function
_ZN9rocsparseL19gebsrmvn_1xn_kernelILj128ELj4ELj64E21rocsparse_complex_numIdEEEvi20rocsparse_direction_NS_24const_host_device_scalarIT2_EEPKiS8_PKS5_SA_S6_PS5_21rocsparse_index_base_b: ; @_ZN9rocsparseL19gebsrmvn_1xn_kernelILj128ELj4ELj64E21rocsparse_complex_numIdEEEvi20rocsparse_direction_NS_24const_host_device_scalarIT2_EEPKiS8_PKS5_SA_S6_PS5_21rocsparse_index_base_b
; %bb.0:
	s_clause 0x1
	s_load_dwordx2 s[8:9], s[4:5], 0x50
	s_load_dwordx2 s[0:1], s[4:5], 0x8
	s_add_u32 s7, s4, 8
	s_addc_u32 s10, s5, 0
	s_add_u32 s11, s4, 56
	s_addc_u32 s12, s5, 0
	s_load_dwordx2 s[2:3], s[4:5], 0x38
	s_waitcnt lgkmcnt(0)
	s_bitcmp1_b32 s9, 0
	s_cselect_b32 s0, s7, s0
	s_cselect_b32 s1, s10, s1
	v_mov_b32_e32 v1, s0
	v_mov_b32_e32 v2, s1
	s_cselect_b32 s0, s11, s2
	s_cselect_b32 s1, s12, s3
	flat_load_dwordx4 v[5:8], v[1:2]
	v_mov_b32_e32 v1, s0
	v_mov_b32_e32 v2, s1
	flat_load_dwordx4 v[1:4], v[1:2]
	s_waitcnt vmcnt(1) lgkmcnt(1)
	v_cmp_eq_f64_e32 vcc_lo, 0, v[5:6]
	v_cmp_eq_f64_e64 s0, 0, v[7:8]
	s_and_b32 s2, vcc_lo, s0
	s_mov_b32 s0, -1
	s_and_saveexec_b32 s1, s2
	s_cbranch_execz .LBB242_2
; %bb.1:
	s_waitcnt vmcnt(0) lgkmcnt(0)
	v_cmp_neq_f64_e32 vcc_lo, 1.0, v[1:2]
	v_cmp_neq_f64_e64 s0, 0, v[3:4]
	s_or_b32 s0, vcc_lo, s0
	s_orn2_b32 s0, s0, exec_lo
.LBB242_2:
	s_or_b32 exec_lo, exec_lo, s1
	s_and_saveexec_b32 s1, s0
	s_cbranch_execz .LBB242_13
; %bb.3:
	s_load_dword s0, s[4:5], 0x0
	v_lshrrev_b32_e32 v9, 6, v0
	v_lshl_or_b32 v9, s6, 1, v9
	s_waitcnt lgkmcnt(0)
	v_cmp_gt_i32_e32 vcc_lo, s0, v9
	s_and_b32 exec_lo, exec_lo, vcc_lo
	s_cbranch_execz .LBB242_13
; %bb.4:
	s_clause 0x1
	s_load_dwordx2 s[0:1], s[4:5], 0x18
	s_load_dwordx2 s[6:7], s[4:5], 0x48
	v_ashrrev_i32_e32 v10, 31, v9
	v_and_b32_e32 v0, 63, v0
	s_mov_b32 s9, exec_lo
	v_lshlrev_b64 v[11:12], 2, v[9:10]
	v_subrev_nc_u32_e32 v13, s8, v0
	s_waitcnt lgkmcnt(0)
	v_add_co_u32 v11, vcc_lo, s0, v11
	v_add_co_ci_u32_e64 v12, null, s1, v12, vcc_lo
	global_load_dwordx2 v[11:12], v[11:12], off
	s_waitcnt vmcnt(0)
	v_subrev_nc_u32_e32 v19, s8, v12
	v_add_nc_u32_e32 v15, v11, v13
	v_mov_b32_e32 v11, 0
	v_mov_b32_e32 v13, 0
	;; [unrolled: 1-line block ×4, first 2 shown]
	v_cmpx_lt_i32_e64 v15, v19
	s_cbranch_execz .LBB242_8
; %bb.5:
	s_clause 0x1
	s_load_dwordx4 s[0:3], s[4:5], 0x20
	s_load_dwordx2 s[4:5], s[4:5], 0x30
	v_mov_b32_e32 v11, 0
	v_mov_b32_e32 v13, 0
	v_lshlrev_b32_e32 v17, 2, v15
	v_mov_b32_e32 v12, 0
	v_mov_b32_e32 v14, 0
	;; [unrolled: 1-line block ×3, first 2 shown]
	s_mov_b32 s10, 0
.LBB242_6:                              ; =>This Inner Loop Header: Depth=1
	v_ashrrev_i32_e32 v16, 31, v15
	v_mov_b32_e32 v23, v18
	v_lshlrev_b64 v[20:21], 2, v[15:16]
	v_add_nc_u32_e32 v15, 64, v15
	s_waitcnt lgkmcnt(0)
	v_add_co_u32 v20, vcc_lo, s0, v20
	v_add_co_ci_u32_e64 v21, null, s1, v21, vcc_lo
	global_load_dword v16, v[20:21], off
	v_lshlrev_b64 v[20:21], 4, v[17:18]
	v_add_nc_u32_e32 v17, 0x100, v17
	v_add_co_u32 v40, vcc_lo, s2, v20
	v_add_co_ci_u32_e64 v41, null, s3, v21, vcc_lo
	s_waitcnt vmcnt(0)
	v_subrev_nc_u32_e32 v16, s8, v16
	v_lshlrev_b32_e32 v22, 2, v16
	v_lshlrev_b64 v[22:23], 4, v[22:23]
	v_add_co_u32 v48, vcc_lo, s4, v22
	v_add_co_ci_u32_e64 v49, null, s5, v23, vcc_lo
	v_cmp_ge_i32_e32 vcc_lo, v15, v19
	s_clause 0x1
	global_load_dwordx4 v[20:23], v[40:41], off offset:16
	global_load_dwordx4 v[24:27], v[40:41], off
	s_clause 0x1
	global_load_dwordx4 v[28:31], v[48:49], off
	global_load_dwordx4 v[32:35], v[48:49], off offset:16
	s_clause 0x1
	global_load_dwordx4 v[36:39], v[40:41], off offset:48
	global_load_dwordx4 v[40:43], v[40:41], off offset:32
	s_clause 0x1
	global_load_dwordx4 v[44:47], v[48:49], off offset:32
	global_load_dwordx4 v[48:51], v[48:49], off offset:48
	s_or_b32 s10, vcc_lo, s10
	s_waitcnt vmcnt(5)
	v_fma_f64 v[13:14], v[24:25], v[28:29], v[13:14]
	v_fma_f64 v[11:12], v[26:27], v[28:29], v[11:12]
	v_fma_f64 v[13:14], -v[26:27], v[30:31], v[13:14]
	v_fma_f64 v[11:12], v[24:25], v[30:31], v[11:12]
	s_waitcnt vmcnt(4)
	v_fma_f64 v[13:14], v[20:21], v[32:33], v[13:14]
	v_fma_f64 v[11:12], v[22:23], v[32:33], v[11:12]
	v_fma_f64 v[13:14], -v[22:23], v[34:35], v[13:14]
	v_fma_f64 v[11:12], v[20:21], v[34:35], v[11:12]
	;; [unrolled: 5-line block ×4, first 2 shown]
	s_andn2_b32 exec_lo, exec_lo, s10
	s_cbranch_execnz .LBB242_6
; %bb.7:
	s_or_b32 exec_lo, exec_lo, s10
.LBB242_8:
	s_or_b32 exec_lo, exec_lo, s9
	v_mbcnt_lo_u32_b32 v19, -1, 0
	v_or_b32_e32 v15, 32, v19
	v_cmp_gt_i32_e32 vcc_lo, 32, v15
	v_cndmask_b32_e32 v15, v19, v15, vcc_lo
	v_lshlrev_b32_e32 v18, 2, v15
	ds_bpermute_b32 v15, v18, v13
	ds_bpermute_b32 v16, v18, v14
	ds_bpermute_b32 v17, v18, v11
	ds_bpermute_b32 v18, v18, v12
	s_waitcnt lgkmcnt(2)
	v_add_f64 v[13:14], v[13:14], v[15:16]
	v_xor_b32_e32 v15, 16, v19
	s_waitcnt lgkmcnt(0)
	v_add_f64 v[11:12], v[11:12], v[17:18]
	v_cmp_gt_i32_e32 vcc_lo, 32, v15
	v_cndmask_b32_e32 v15, v19, v15, vcc_lo
	v_lshlrev_b32_e32 v18, 2, v15
	ds_bpermute_b32 v15, v18, v13
	ds_bpermute_b32 v16, v18, v14
	ds_bpermute_b32 v17, v18, v11
	ds_bpermute_b32 v18, v18, v12
	s_waitcnt lgkmcnt(2)
	v_add_f64 v[13:14], v[13:14], v[15:16]
	v_xor_b32_e32 v15, 8, v19
	s_waitcnt lgkmcnt(0)
	v_add_f64 v[11:12], v[11:12], v[17:18]
	;; [unrolled: 12-line block ×3, first 2 shown]
	v_cmp_gt_i32_e32 vcc_lo, 32, v15
	v_cndmask_b32_e32 v15, v19, v15, vcc_lo
	v_lshlrev_b32_e32 v18, 2, v15
	ds_bpermute_b32 v15, v18, v13
	ds_bpermute_b32 v16, v18, v14
	;; [unrolled: 1-line block ×4, first 2 shown]
	s_waitcnt lgkmcnt(2)
	v_add_f64 v[13:14], v[13:14], v[15:16]
	s_waitcnt lgkmcnt(0)
	v_add_f64 v[15:16], v[11:12], v[17:18]
	v_xor_b32_e32 v11, 2, v19
	v_cmp_gt_i32_e32 vcc_lo, 32, v11
	v_cndmask_b32_e32 v11, v19, v11, vcc_lo
	v_lshlrev_b32_e32 v18, 2, v11
	ds_bpermute_b32 v11, v18, v13
	ds_bpermute_b32 v12, v18, v14
	;; [unrolled: 1-line block ×4, first 2 shown]
	s_waitcnt lgkmcnt(2)
	v_add_f64 v[11:12], v[13:14], v[11:12]
	s_waitcnt lgkmcnt(0)
	v_add_f64 v[13:14], v[15:16], v[17:18]
	v_xor_b32_e32 v15, 1, v19
	v_cmp_gt_i32_e32 vcc_lo, 32, v15
	v_cndmask_b32_e32 v15, v19, v15, vcc_lo
	v_cmp_eq_u32_e32 vcc_lo, 63, v0
	v_lshlrev_b32_e32 v18, 2, v15
	ds_bpermute_b32 v15, v18, v11
	ds_bpermute_b32 v16, v18, v12
	;; [unrolled: 1-line block ×4, first 2 shown]
	s_and_b32 exec_lo, exec_lo, vcc_lo
	s_cbranch_execz .LBB242_13
; %bb.9:
	s_waitcnt lgkmcnt(0)
	v_add_f64 v[13:14], v[13:14], v[17:18]
	v_add_f64 v[11:12], v[11:12], v[15:16]
	v_cmp_eq_f64_e32 vcc_lo, 0, v[1:2]
	v_cmp_eq_f64_e64 s0, 0, v[3:4]
	v_lshlrev_b64 v[9:10], 4, v[9:10]
	v_mul_f64 v[15:16], v[13:14], -v[7:8]
	v_mul_f64 v[13:14], v[5:6], v[13:14]
	s_and_b32 s0, vcc_lo, s0
	v_fma_f64 v[5:6], v[5:6], v[11:12], v[15:16]
	v_fma_f64 v[7:8], v[7:8], v[11:12], v[13:14]
	s_and_saveexec_b32 s1, s0
	s_xor_b32 s0, exec_lo, s1
	s_cbranch_execz .LBB242_11
; %bb.10:
	v_add_co_u32 v0, vcc_lo, s6, v9
	v_add_co_ci_u32_e64 v1, null, s7, v10, vcc_lo
                                        ; implicit-def: $vgpr9_vgpr10
	global_store_dwordx4 v[0:1], v[5:8], off
                                        ; implicit-def: $vgpr1_vgpr2
                                        ; implicit-def: $vgpr5_vgpr6
.LBB242_11:
	s_andn2_saveexec_b32 s0, s0
	s_cbranch_execz .LBB242_13
; %bb.12:
	v_add_co_u32 v13, vcc_lo, s6, v9
	v_add_co_ci_u32_e64 v14, null, s7, v10, vcc_lo
	global_load_dwordx4 v[9:12], v[13:14], off
	s_waitcnt vmcnt(0)
	v_fma_f64 v[5:6], v[1:2], v[9:10], v[5:6]
	v_fma_f64 v[7:8], v[3:4], v[9:10], v[7:8]
	v_fma_f64 v[3:4], -v[3:4], v[11:12], v[5:6]
	v_fma_f64 v[5:6], v[1:2], v[11:12], v[7:8]
	global_store_dwordx4 v[13:14], v[3:6], off
.LBB242_13:
	s_endpgm
	.section	.rodata,"a",@progbits
	.p2align	6, 0x0
	.amdhsa_kernel _ZN9rocsparseL19gebsrmvn_1xn_kernelILj128ELj4ELj64E21rocsparse_complex_numIdEEEvi20rocsparse_direction_NS_24const_host_device_scalarIT2_EEPKiS8_PKS5_SA_S6_PS5_21rocsparse_index_base_b
		.amdhsa_group_segment_fixed_size 0
		.amdhsa_private_segment_fixed_size 0
		.amdhsa_kernarg_size 88
		.amdhsa_user_sgpr_count 6
		.amdhsa_user_sgpr_private_segment_buffer 1
		.amdhsa_user_sgpr_dispatch_ptr 0
		.amdhsa_user_sgpr_queue_ptr 0
		.amdhsa_user_sgpr_kernarg_segment_ptr 1
		.amdhsa_user_sgpr_dispatch_id 0
		.amdhsa_user_sgpr_flat_scratch_init 0
		.amdhsa_user_sgpr_private_segment_size 0
		.amdhsa_wavefront_size32 1
		.amdhsa_uses_dynamic_stack 0
		.amdhsa_system_sgpr_private_segment_wavefront_offset 0
		.amdhsa_system_sgpr_workgroup_id_x 1
		.amdhsa_system_sgpr_workgroup_id_y 0
		.amdhsa_system_sgpr_workgroup_id_z 0
		.amdhsa_system_sgpr_workgroup_info 0
		.amdhsa_system_vgpr_workitem_id 0
		.amdhsa_next_free_vgpr 52
		.amdhsa_next_free_sgpr 13
		.amdhsa_reserve_vcc 1
		.amdhsa_reserve_flat_scratch 0
		.amdhsa_float_round_mode_32 0
		.amdhsa_float_round_mode_16_64 0
		.amdhsa_float_denorm_mode_32 3
		.amdhsa_float_denorm_mode_16_64 3
		.amdhsa_dx10_clamp 1
		.amdhsa_ieee_mode 1
		.amdhsa_fp16_overflow 0
		.amdhsa_workgroup_processor_mode 1
		.amdhsa_memory_ordered 1
		.amdhsa_forward_progress 1
		.amdhsa_shared_vgpr_count 0
		.amdhsa_exception_fp_ieee_invalid_op 0
		.amdhsa_exception_fp_denorm_src 0
		.amdhsa_exception_fp_ieee_div_zero 0
		.amdhsa_exception_fp_ieee_overflow 0
		.amdhsa_exception_fp_ieee_underflow 0
		.amdhsa_exception_fp_ieee_inexact 0
		.amdhsa_exception_int_div_zero 0
	.end_amdhsa_kernel
	.section	.text._ZN9rocsparseL19gebsrmvn_1xn_kernelILj128ELj4ELj64E21rocsparse_complex_numIdEEEvi20rocsparse_direction_NS_24const_host_device_scalarIT2_EEPKiS8_PKS5_SA_S6_PS5_21rocsparse_index_base_b,"axG",@progbits,_ZN9rocsparseL19gebsrmvn_1xn_kernelILj128ELj4ELj64E21rocsparse_complex_numIdEEEvi20rocsparse_direction_NS_24const_host_device_scalarIT2_EEPKiS8_PKS5_SA_S6_PS5_21rocsparse_index_base_b,comdat
.Lfunc_end242:
	.size	_ZN9rocsparseL19gebsrmvn_1xn_kernelILj128ELj4ELj64E21rocsparse_complex_numIdEEEvi20rocsparse_direction_NS_24const_host_device_scalarIT2_EEPKiS8_PKS5_SA_S6_PS5_21rocsparse_index_base_b, .Lfunc_end242-_ZN9rocsparseL19gebsrmvn_1xn_kernelILj128ELj4ELj64E21rocsparse_complex_numIdEEEvi20rocsparse_direction_NS_24const_host_device_scalarIT2_EEPKiS8_PKS5_SA_S6_PS5_21rocsparse_index_base_b
                                        ; -- End function
	.set _ZN9rocsparseL19gebsrmvn_1xn_kernelILj128ELj4ELj64E21rocsparse_complex_numIdEEEvi20rocsparse_direction_NS_24const_host_device_scalarIT2_EEPKiS8_PKS5_SA_S6_PS5_21rocsparse_index_base_b.num_vgpr, 52
	.set _ZN9rocsparseL19gebsrmvn_1xn_kernelILj128ELj4ELj64E21rocsparse_complex_numIdEEEvi20rocsparse_direction_NS_24const_host_device_scalarIT2_EEPKiS8_PKS5_SA_S6_PS5_21rocsparse_index_base_b.num_agpr, 0
	.set _ZN9rocsparseL19gebsrmvn_1xn_kernelILj128ELj4ELj64E21rocsparse_complex_numIdEEEvi20rocsparse_direction_NS_24const_host_device_scalarIT2_EEPKiS8_PKS5_SA_S6_PS5_21rocsparse_index_base_b.numbered_sgpr, 13
	.set _ZN9rocsparseL19gebsrmvn_1xn_kernelILj128ELj4ELj64E21rocsparse_complex_numIdEEEvi20rocsparse_direction_NS_24const_host_device_scalarIT2_EEPKiS8_PKS5_SA_S6_PS5_21rocsparse_index_base_b.num_named_barrier, 0
	.set _ZN9rocsparseL19gebsrmvn_1xn_kernelILj128ELj4ELj64E21rocsparse_complex_numIdEEEvi20rocsparse_direction_NS_24const_host_device_scalarIT2_EEPKiS8_PKS5_SA_S6_PS5_21rocsparse_index_base_b.private_seg_size, 0
	.set _ZN9rocsparseL19gebsrmvn_1xn_kernelILj128ELj4ELj64E21rocsparse_complex_numIdEEEvi20rocsparse_direction_NS_24const_host_device_scalarIT2_EEPKiS8_PKS5_SA_S6_PS5_21rocsparse_index_base_b.uses_vcc, 1
	.set _ZN9rocsparseL19gebsrmvn_1xn_kernelILj128ELj4ELj64E21rocsparse_complex_numIdEEEvi20rocsparse_direction_NS_24const_host_device_scalarIT2_EEPKiS8_PKS5_SA_S6_PS5_21rocsparse_index_base_b.uses_flat_scratch, 0
	.set _ZN9rocsparseL19gebsrmvn_1xn_kernelILj128ELj4ELj64E21rocsparse_complex_numIdEEEvi20rocsparse_direction_NS_24const_host_device_scalarIT2_EEPKiS8_PKS5_SA_S6_PS5_21rocsparse_index_base_b.has_dyn_sized_stack, 0
	.set _ZN9rocsparseL19gebsrmvn_1xn_kernelILj128ELj4ELj64E21rocsparse_complex_numIdEEEvi20rocsparse_direction_NS_24const_host_device_scalarIT2_EEPKiS8_PKS5_SA_S6_PS5_21rocsparse_index_base_b.has_recursion, 0
	.set _ZN9rocsparseL19gebsrmvn_1xn_kernelILj128ELj4ELj64E21rocsparse_complex_numIdEEEvi20rocsparse_direction_NS_24const_host_device_scalarIT2_EEPKiS8_PKS5_SA_S6_PS5_21rocsparse_index_base_b.has_indirect_call, 0
	.section	.AMDGPU.csdata,"",@progbits
; Kernel info:
; codeLenInByte = 1348
; TotalNumSgprs: 15
; NumVgprs: 52
; ScratchSize: 0
; MemoryBound: 1
; FloatMode: 240
; IeeeMode: 1
; LDSByteSize: 0 bytes/workgroup (compile time only)
; SGPRBlocks: 0
; VGPRBlocks: 6
; NumSGPRsForWavesPerEU: 15
; NumVGPRsForWavesPerEU: 52
; Occupancy: 16
; WaveLimiterHint : 1
; COMPUTE_PGM_RSRC2:SCRATCH_EN: 0
; COMPUTE_PGM_RSRC2:USER_SGPR: 6
; COMPUTE_PGM_RSRC2:TRAP_HANDLER: 0
; COMPUTE_PGM_RSRC2:TGID_X_EN: 1
; COMPUTE_PGM_RSRC2:TGID_Y_EN: 0
; COMPUTE_PGM_RSRC2:TGID_Z_EN: 0
; COMPUTE_PGM_RSRC2:TIDIG_COMP_CNT: 0
	.section	.text._ZN9rocsparseL19gebsrmvn_1xn_kernelILj128ELj5ELj4E21rocsparse_complex_numIdEEEvi20rocsparse_direction_NS_24const_host_device_scalarIT2_EEPKiS8_PKS5_SA_S6_PS5_21rocsparse_index_base_b,"axG",@progbits,_ZN9rocsparseL19gebsrmvn_1xn_kernelILj128ELj5ELj4E21rocsparse_complex_numIdEEEvi20rocsparse_direction_NS_24const_host_device_scalarIT2_EEPKiS8_PKS5_SA_S6_PS5_21rocsparse_index_base_b,comdat
	.globl	_ZN9rocsparseL19gebsrmvn_1xn_kernelILj128ELj5ELj4E21rocsparse_complex_numIdEEEvi20rocsparse_direction_NS_24const_host_device_scalarIT2_EEPKiS8_PKS5_SA_S6_PS5_21rocsparse_index_base_b ; -- Begin function _ZN9rocsparseL19gebsrmvn_1xn_kernelILj128ELj5ELj4E21rocsparse_complex_numIdEEEvi20rocsparse_direction_NS_24const_host_device_scalarIT2_EEPKiS8_PKS5_SA_S6_PS5_21rocsparse_index_base_b
	.p2align	8
	.type	_ZN9rocsparseL19gebsrmvn_1xn_kernelILj128ELj5ELj4E21rocsparse_complex_numIdEEEvi20rocsparse_direction_NS_24const_host_device_scalarIT2_EEPKiS8_PKS5_SA_S6_PS5_21rocsparse_index_base_b,@function
_ZN9rocsparseL19gebsrmvn_1xn_kernelILj128ELj5ELj4E21rocsparse_complex_numIdEEEvi20rocsparse_direction_NS_24const_host_device_scalarIT2_EEPKiS8_PKS5_SA_S6_PS5_21rocsparse_index_base_b: ; @_ZN9rocsparseL19gebsrmvn_1xn_kernelILj128ELj5ELj4E21rocsparse_complex_numIdEEEvi20rocsparse_direction_NS_24const_host_device_scalarIT2_EEPKiS8_PKS5_SA_S6_PS5_21rocsparse_index_base_b
; %bb.0:
	s_clause 0x1
	s_load_dwordx2 s[8:9], s[4:5], 0x50
	s_load_dwordx2 s[0:1], s[4:5], 0x8
	s_add_u32 s7, s4, 8
	s_addc_u32 s10, s5, 0
	s_add_u32 s11, s4, 56
	s_addc_u32 s12, s5, 0
	s_load_dwordx2 s[2:3], s[4:5], 0x38
	s_waitcnt lgkmcnt(0)
	s_bitcmp1_b32 s9, 0
	s_cselect_b32 s0, s7, s0
	s_cselect_b32 s1, s10, s1
	v_mov_b32_e32 v1, s0
	v_mov_b32_e32 v2, s1
	s_cselect_b32 s0, s11, s2
	s_cselect_b32 s1, s12, s3
	flat_load_dwordx4 v[5:8], v[1:2]
	v_mov_b32_e32 v1, s0
	v_mov_b32_e32 v2, s1
	flat_load_dwordx4 v[1:4], v[1:2]
	s_waitcnt vmcnt(1) lgkmcnt(1)
	v_cmp_eq_f64_e32 vcc_lo, 0, v[5:6]
	v_cmp_eq_f64_e64 s0, 0, v[7:8]
	s_and_b32 s2, vcc_lo, s0
	s_mov_b32 s0, -1
	s_and_saveexec_b32 s1, s2
	s_cbranch_execz .LBB243_2
; %bb.1:
	s_waitcnt vmcnt(0) lgkmcnt(0)
	v_cmp_neq_f64_e32 vcc_lo, 1.0, v[1:2]
	v_cmp_neq_f64_e64 s0, 0, v[3:4]
	s_or_b32 s0, vcc_lo, s0
	s_orn2_b32 s0, s0, exec_lo
.LBB243_2:
	s_or_b32 exec_lo, exec_lo, s1
	s_and_saveexec_b32 s1, s0
	s_cbranch_execz .LBB243_13
; %bb.3:
	s_load_dword s0, s[4:5], 0x0
	v_lshrrev_b32_e32 v9, 2, v0
	v_lshl_or_b32 v9, s6, 5, v9
	s_waitcnt lgkmcnt(0)
	v_cmp_gt_i32_e32 vcc_lo, s0, v9
	s_and_b32 exec_lo, exec_lo, vcc_lo
	s_cbranch_execz .LBB243_13
; %bb.4:
	s_clause 0x1
	s_load_dwordx2 s[0:1], s[4:5], 0x18
	s_load_dwordx2 s[6:7], s[4:5], 0x48
	v_ashrrev_i32_e32 v10, 31, v9
	v_and_b32_e32 v0, 3, v0
	v_mov_b32_e32 v15, 0
	v_mov_b32_e32 v16, 0
	s_mov_b32 s9, exec_lo
	v_lshlrev_b64 v[11:12], 2, v[9:10]
	v_subrev_nc_u32_e32 v13, s8, v0
	s_waitcnt lgkmcnt(0)
	v_add_co_u32 v11, vcc_lo, s0, v11
	v_add_co_ci_u32_e64 v12, null, s1, v12, vcc_lo
	global_load_dwordx2 v[11:12], v[11:12], off
	s_waitcnt vmcnt(0)
	v_add_nc_u32_e32 v11, v11, v13
	v_mov_b32_e32 v13, 0
	v_subrev_nc_u32_e32 v20, s8, v12
	v_mov_b32_e32 v14, 0
	v_cmpx_lt_i32_e64 v11, v20
	s_cbranch_execz .LBB243_8
; %bb.5:
	s_clause 0x1
	s_load_dwordx4 s[0:3], s[4:5], 0x20
	s_load_dwordx2 s[4:5], s[4:5], 0x30
	v_mad_u64_u32 v[17:18], null, v11, 5, 4
	v_mov_b32_e32 v13, 0
	v_mov_b32_e32 v15, 0
	;; [unrolled: 1-line block ×5, first 2 shown]
	s_mov_b32 s10, 0
.LBB243_6:                              ; =>This Inner Loop Header: Depth=1
	v_ashrrev_i32_e32 v12, 31, v11
	v_add_nc_u32_e32 v18, -4, v17
	v_mov_b32_e32 v54, v19
	v_lshlrev_b64 v[21:22], 2, v[11:12]
	v_add_nc_u32_e32 v11, 4, v11
	s_waitcnt lgkmcnt(0)
	v_add_co_u32 v21, vcc_lo, s0, v21
	v_add_co_ci_u32_e64 v22, null, s1, v22, vcc_lo
	global_load_dword v12, v[21:22], off
	v_lshlrev_b64 v[21:22], 4, v[18:19]
	v_add_nc_u32_e32 v18, -3, v17
	v_lshlrev_b64 v[29:30], 4, v[18:19]
	v_add_co_u32 v21, vcc_lo, s2, v21
	v_add_co_ci_u32_e64 v22, null, s3, v22, vcc_lo
	s_waitcnt vmcnt(0)
	v_subrev_nc_u32_e32 v12, s8, v12
	v_lshl_add_u32 v53, v12, 2, v12
	v_lshlrev_b64 v[23:24], 4, v[53:54]
	v_add_nc_u32_e32 v18, 1, v53
	v_lshlrev_b64 v[31:32], 4, v[18:19]
	v_add_co_u32 v25, vcc_lo, s4, v23
	v_add_co_ci_u32_e64 v26, null, s5, v24, vcc_lo
	v_add_co_u32 v29, vcc_lo, s2, v29
	global_load_dwordx4 v[21:24], v[21:22], off
	global_load_dwordx4 v[25:28], v[25:26], off
	v_add_co_ci_u32_e64 v30, null, s3, v30, vcc_lo
	v_add_co_u32 v33, vcc_lo, s4, v31
	v_add_co_ci_u32_e64 v34, null, s5, v32, vcc_lo
	global_load_dwordx4 v[29:32], v[29:30], off
	global_load_dwordx4 v[33:36], v[33:34], off
	v_add_nc_u32_e32 v18, -2, v17
	v_lshlrev_b64 v[37:38], 4, v[18:19]
	v_add_nc_u32_e32 v18, 2, v53
	v_lshlrev_b64 v[39:40], 4, v[18:19]
	v_add_co_u32 v37, vcc_lo, s2, v37
	v_add_co_ci_u32_e64 v38, null, s3, v38, vcc_lo
	v_add_nc_u32_e32 v18, -1, v17
	v_add_co_u32 v41, vcc_lo, s4, v39
	v_add_co_ci_u32_e64 v42, null, s5, v40, vcc_lo
	global_load_dwordx4 v[37:40], v[37:38], off
	global_load_dwordx4 v[41:44], v[41:42], off
	v_lshlrev_b64 v[45:46], 4, v[18:19]
	v_add_nc_u32_e32 v18, 3, v53
	v_lshlrev_b64 v[47:48], 4, v[18:19]
	v_add_co_u32 v45, vcc_lo, s2, v45
	v_add_co_ci_u32_e64 v46, null, s3, v46, vcc_lo
	v_mov_b32_e32 v18, v19
	v_add_co_u32 v49, vcc_lo, s4, v47
	v_add_co_ci_u32_e64 v50, null, s5, v48, vcc_lo
	global_load_dwordx4 v[45:48], v[45:46], off
	global_load_dwordx4 v[49:52], v[49:50], off
	v_lshlrev_b64 v[54:55], 4, v[17:18]
	v_add_nc_u32_e32 v18, 4, v53
	v_add_nc_u32_e32 v17, 20, v17
	v_lshlrev_b64 v[56:57], 4, v[18:19]
	v_add_co_u32 v53, vcc_lo, s2, v54
	v_add_co_ci_u32_e64 v54, null, s3, v55, vcc_lo
	v_add_co_u32 v58, vcc_lo, s4, v56
	v_add_co_ci_u32_e64 v59, null, s5, v57, vcc_lo
	global_load_dwordx4 v[53:56], v[53:54], off
	global_load_dwordx4 v[57:60], v[58:59], off
	v_cmp_ge_i32_e32 vcc_lo, v11, v20
	s_or_b32 s10, vcc_lo, s10
	s_waitcnt vmcnt(8)
	v_fma_f64 v[15:16], v[21:22], v[25:26], v[15:16]
	v_fma_f64 v[12:13], v[23:24], v[25:26], v[13:14]
	v_fma_f64 v[14:15], -v[23:24], v[27:28], v[15:16]
	v_fma_f64 v[12:13], v[21:22], v[27:28], v[12:13]
	s_waitcnt vmcnt(6)
	v_fma_f64 v[14:15], v[29:30], v[33:34], v[14:15]
	v_fma_f64 v[12:13], v[31:32], v[33:34], v[12:13]
	v_fma_f64 v[14:15], -v[31:32], v[35:36], v[14:15]
	v_fma_f64 v[12:13], v[29:30], v[35:36], v[12:13]
	s_waitcnt vmcnt(4)
	v_fma_f64 v[14:15], v[37:38], v[41:42], v[14:15]
	v_fma_f64 v[12:13], v[39:40], v[41:42], v[12:13]
	v_fma_f64 v[14:15], -v[39:40], v[43:44], v[14:15]
	v_fma_f64 v[12:13], v[37:38], v[43:44], v[12:13]
	s_waitcnt vmcnt(2)
	v_fma_f64 v[14:15], v[45:46], v[49:50], v[14:15]
	v_fma_f64 v[12:13], v[47:48], v[49:50], v[12:13]
	v_fma_f64 v[14:15], -v[47:48], v[51:52], v[14:15]
	v_fma_f64 v[12:13], v[45:46], v[51:52], v[12:13]
	s_waitcnt vmcnt(0)
	v_fma_f64 v[14:15], v[53:54], v[57:58], v[14:15]
	v_fma_f64 v[12:13], v[55:56], v[57:58], v[12:13]
	v_fma_f64 v[15:16], -v[55:56], v[59:60], v[14:15]
	v_fma_f64 v[13:14], v[53:54], v[59:60], v[12:13]
	s_andn2_b32 exec_lo, exec_lo, s10
	s_cbranch_execnz .LBB243_6
; %bb.7:
	s_or_b32 exec_lo, exec_lo, s10
.LBB243_8:
	s_or_b32 exec_lo, exec_lo, s9
	v_mbcnt_lo_u32_b32 v19, -1, 0
	v_xor_b32_e32 v11, 2, v19
	v_cmp_gt_i32_e32 vcc_lo, 32, v11
	v_cndmask_b32_e32 v11, v19, v11, vcc_lo
	v_lshlrev_b32_e32 v18, 2, v11
	ds_bpermute_b32 v11, v18, v15
	ds_bpermute_b32 v12, v18, v16
	;; [unrolled: 1-line block ×4, first 2 shown]
	s_waitcnt lgkmcnt(2)
	v_add_f64 v[11:12], v[15:16], v[11:12]
	v_xor_b32_e32 v15, 1, v19
	s_waitcnt lgkmcnt(0)
	v_add_f64 v[13:14], v[13:14], v[17:18]
	v_cmp_gt_i32_e32 vcc_lo, 32, v15
	v_cndmask_b32_e32 v15, v19, v15, vcc_lo
	v_cmp_eq_u32_e32 vcc_lo, 3, v0
	v_lshlrev_b32_e32 v18, 2, v15
	ds_bpermute_b32 v15, v18, v11
	ds_bpermute_b32 v16, v18, v12
	;; [unrolled: 1-line block ×4, first 2 shown]
	s_and_b32 exec_lo, exec_lo, vcc_lo
	s_cbranch_execz .LBB243_13
; %bb.9:
	s_waitcnt lgkmcnt(0)
	v_add_f64 v[13:14], v[13:14], v[17:18]
	v_add_f64 v[11:12], v[11:12], v[15:16]
	v_cmp_eq_f64_e32 vcc_lo, 0, v[1:2]
	v_cmp_eq_f64_e64 s0, 0, v[3:4]
	v_lshlrev_b64 v[9:10], 4, v[9:10]
	v_mul_f64 v[15:16], v[13:14], -v[7:8]
	v_mul_f64 v[13:14], v[5:6], v[13:14]
	s_and_b32 s0, vcc_lo, s0
	v_fma_f64 v[5:6], v[5:6], v[11:12], v[15:16]
	v_fma_f64 v[7:8], v[7:8], v[11:12], v[13:14]
	s_and_saveexec_b32 s1, s0
	s_xor_b32 s0, exec_lo, s1
	s_cbranch_execz .LBB243_11
; %bb.10:
	v_add_co_u32 v0, vcc_lo, s6, v9
	v_add_co_ci_u32_e64 v1, null, s7, v10, vcc_lo
                                        ; implicit-def: $vgpr9_vgpr10
	global_store_dwordx4 v[0:1], v[5:8], off
                                        ; implicit-def: $vgpr1_vgpr2
                                        ; implicit-def: $vgpr5_vgpr6
.LBB243_11:
	s_andn2_saveexec_b32 s0, s0
	s_cbranch_execz .LBB243_13
; %bb.12:
	v_add_co_u32 v13, vcc_lo, s6, v9
	v_add_co_ci_u32_e64 v14, null, s7, v10, vcc_lo
	global_load_dwordx4 v[9:12], v[13:14], off
	s_waitcnt vmcnt(0)
	v_fma_f64 v[5:6], v[1:2], v[9:10], v[5:6]
	v_fma_f64 v[7:8], v[3:4], v[9:10], v[7:8]
	v_fma_f64 v[3:4], -v[3:4], v[11:12], v[5:6]
	v_fma_f64 v[5:6], v[1:2], v[11:12], v[7:8]
	global_store_dwordx4 v[13:14], v[3:6], off
.LBB243_13:
	s_endpgm
	.section	.rodata,"a",@progbits
	.p2align	6, 0x0
	.amdhsa_kernel _ZN9rocsparseL19gebsrmvn_1xn_kernelILj128ELj5ELj4E21rocsparse_complex_numIdEEEvi20rocsparse_direction_NS_24const_host_device_scalarIT2_EEPKiS8_PKS5_SA_S6_PS5_21rocsparse_index_base_b
		.amdhsa_group_segment_fixed_size 0
		.amdhsa_private_segment_fixed_size 0
		.amdhsa_kernarg_size 88
		.amdhsa_user_sgpr_count 6
		.amdhsa_user_sgpr_private_segment_buffer 1
		.amdhsa_user_sgpr_dispatch_ptr 0
		.amdhsa_user_sgpr_queue_ptr 0
		.amdhsa_user_sgpr_kernarg_segment_ptr 1
		.amdhsa_user_sgpr_dispatch_id 0
		.amdhsa_user_sgpr_flat_scratch_init 0
		.amdhsa_user_sgpr_private_segment_size 0
		.amdhsa_wavefront_size32 1
		.amdhsa_uses_dynamic_stack 0
		.amdhsa_system_sgpr_private_segment_wavefront_offset 0
		.amdhsa_system_sgpr_workgroup_id_x 1
		.amdhsa_system_sgpr_workgroup_id_y 0
		.amdhsa_system_sgpr_workgroup_id_z 0
		.amdhsa_system_sgpr_workgroup_info 0
		.amdhsa_system_vgpr_workitem_id 0
		.amdhsa_next_free_vgpr 61
		.amdhsa_next_free_sgpr 13
		.amdhsa_reserve_vcc 1
		.amdhsa_reserve_flat_scratch 0
		.amdhsa_float_round_mode_32 0
		.amdhsa_float_round_mode_16_64 0
		.amdhsa_float_denorm_mode_32 3
		.amdhsa_float_denorm_mode_16_64 3
		.amdhsa_dx10_clamp 1
		.amdhsa_ieee_mode 1
		.amdhsa_fp16_overflow 0
		.amdhsa_workgroup_processor_mode 1
		.amdhsa_memory_ordered 1
		.amdhsa_forward_progress 1
		.amdhsa_shared_vgpr_count 0
		.amdhsa_exception_fp_ieee_invalid_op 0
		.amdhsa_exception_fp_denorm_src 0
		.amdhsa_exception_fp_ieee_div_zero 0
		.amdhsa_exception_fp_ieee_overflow 0
		.amdhsa_exception_fp_ieee_underflow 0
		.amdhsa_exception_fp_ieee_inexact 0
		.amdhsa_exception_int_div_zero 0
	.end_amdhsa_kernel
	.section	.text._ZN9rocsparseL19gebsrmvn_1xn_kernelILj128ELj5ELj4E21rocsparse_complex_numIdEEEvi20rocsparse_direction_NS_24const_host_device_scalarIT2_EEPKiS8_PKS5_SA_S6_PS5_21rocsparse_index_base_b,"axG",@progbits,_ZN9rocsparseL19gebsrmvn_1xn_kernelILj128ELj5ELj4E21rocsparse_complex_numIdEEEvi20rocsparse_direction_NS_24const_host_device_scalarIT2_EEPKiS8_PKS5_SA_S6_PS5_21rocsparse_index_base_b,comdat
.Lfunc_end243:
	.size	_ZN9rocsparseL19gebsrmvn_1xn_kernelILj128ELj5ELj4E21rocsparse_complex_numIdEEEvi20rocsparse_direction_NS_24const_host_device_scalarIT2_EEPKiS8_PKS5_SA_S6_PS5_21rocsparse_index_base_b, .Lfunc_end243-_ZN9rocsparseL19gebsrmvn_1xn_kernelILj128ELj5ELj4E21rocsparse_complex_numIdEEEvi20rocsparse_direction_NS_24const_host_device_scalarIT2_EEPKiS8_PKS5_SA_S6_PS5_21rocsparse_index_base_b
                                        ; -- End function
	.set _ZN9rocsparseL19gebsrmvn_1xn_kernelILj128ELj5ELj4E21rocsparse_complex_numIdEEEvi20rocsparse_direction_NS_24const_host_device_scalarIT2_EEPKiS8_PKS5_SA_S6_PS5_21rocsparse_index_base_b.num_vgpr, 61
	.set _ZN9rocsparseL19gebsrmvn_1xn_kernelILj128ELj5ELj4E21rocsparse_complex_numIdEEEvi20rocsparse_direction_NS_24const_host_device_scalarIT2_EEPKiS8_PKS5_SA_S6_PS5_21rocsparse_index_base_b.num_agpr, 0
	.set _ZN9rocsparseL19gebsrmvn_1xn_kernelILj128ELj5ELj4E21rocsparse_complex_numIdEEEvi20rocsparse_direction_NS_24const_host_device_scalarIT2_EEPKiS8_PKS5_SA_S6_PS5_21rocsparse_index_base_b.numbered_sgpr, 13
	.set _ZN9rocsparseL19gebsrmvn_1xn_kernelILj128ELj5ELj4E21rocsparse_complex_numIdEEEvi20rocsparse_direction_NS_24const_host_device_scalarIT2_EEPKiS8_PKS5_SA_S6_PS5_21rocsparse_index_base_b.num_named_barrier, 0
	.set _ZN9rocsparseL19gebsrmvn_1xn_kernelILj128ELj5ELj4E21rocsparse_complex_numIdEEEvi20rocsparse_direction_NS_24const_host_device_scalarIT2_EEPKiS8_PKS5_SA_S6_PS5_21rocsparse_index_base_b.private_seg_size, 0
	.set _ZN9rocsparseL19gebsrmvn_1xn_kernelILj128ELj5ELj4E21rocsparse_complex_numIdEEEvi20rocsparse_direction_NS_24const_host_device_scalarIT2_EEPKiS8_PKS5_SA_S6_PS5_21rocsparse_index_base_b.uses_vcc, 1
	.set _ZN9rocsparseL19gebsrmvn_1xn_kernelILj128ELj5ELj4E21rocsparse_complex_numIdEEEvi20rocsparse_direction_NS_24const_host_device_scalarIT2_EEPKiS8_PKS5_SA_S6_PS5_21rocsparse_index_base_b.uses_flat_scratch, 0
	.set _ZN9rocsparseL19gebsrmvn_1xn_kernelILj128ELj5ELj4E21rocsparse_complex_numIdEEEvi20rocsparse_direction_NS_24const_host_device_scalarIT2_EEPKiS8_PKS5_SA_S6_PS5_21rocsparse_index_base_b.has_dyn_sized_stack, 0
	.set _ZN9rocsparseL19gebsrmvn_1xn_kernelILj128ELj5ELj4E21rocsparse_complex_numIdEEEvi20rocsparse_direction_NS_24const_host_device_scalarIT2_EEPKiS8_PKS5_SA_S6_PS5_21rocsparse_index_base_b.has_recursion, 0
	.set _ZN9rocsparseL19gebsrmvn_1xn_kernelILj128ELj5ELj4E21rocsparse_complex_numIdEEEvi20rocsparse_direction_NS_24const_host_device_scalarIT2_EEPKiS8_PKS5_SA_S6_PS5_21rocsparse_index_base_b.has_indirect_call, 0
	.section	.AMDGPU.csdata,"",@progbits
; Kernel info:
; codeLenInByte = 1328
; TotalNumSgprs: 15
; NumVgprs: 61
; ScratchSize: 0
; MemoryBound: 0
; FloatMode: 240
; IeeeMode: 1
; LDSByteSize: 0 bytes/workgroup (compile time only)
; SGPRBlocks: 0
; VGPRBlocks: 7
; NumSGPRsForWavesPerEU: 15
; NumVGPRsForWavesPerEU: 61
; Occupancy: 16
; WaveLimiterHint : 1
; COMPUTE_PGM_RSRC2:SCRATCH_EN: 0
; COMPUTE_PGM_RSRC2:USER_SGPR: 6
; COMPUTE_PGM_RSRC2:TRAP_HANDLER: 0
; COMPUTE_PGM_RSRC2:TGID_X_EN: 1
; COMPUTE_PGM_RSRC2:TGID_Y_EN: 0
; COMPUTE_PGM_RSRC2:TGID_Z_EN: 0
; COMPUTE_PGM_RSRC2:TIDIG_COMP_CNT: 0
	.section	.text._ZN9rocsparseL19gebsrmvn_1xn_kernelILj128ELj5ELj8E21rocsparse_complex_numIdEEEvi20rocsparse_direction_NS_24const_host_device_scalarIT2_EEPKiS8_PKS5_SA_S6_PS5_21rocsparse_index_base_b,"axG",@progbits,_ZN9rocsparseL19gebsrmvn_1xn_kernelILj128ELj5ELj8E21rocsparse_complex_numIdEEEvi20rocsparse_direction_NS_24const_host_device_scalarIT2_EEPKiS8_PKS5_SA_S6_PS5_21rocsparse_index_base_b,comdat
	.globl	_ZN9rocsparseL19gebsrmvn_1xn_kernelILj128ELj5ELj8E21rocsparse_complex_numIdEEEvi20rocsparse_direction_NS_24const_host_device_scalarIT2_EEPKiS8_PKS5_SA_S6_PS5_21rocsparse_index_base_b ; -- Begin function _ZN9rocsparseL19gebsrmvn_1xn_kernelILj128ELj5ELj8E21rocsparse_complex_numIdEEEvi20rocsparse_direction_NS_24const_host_device_scalarIT2_EEPKiS8_PKS5_SA_S6_PS5_21rocsparse_index_base_b
	.p2align	8
	.type	_ZN9rocsparseL19gebsrmvn_1xn_kernelILj128ELj5ELj8E21rocsparse_complex_numIdEEEvi20rocsparse_direction_NS_24const_host_device_scalarIT2_EEPKiS8_PKS5_SA_S6_PS5_21rocsparse_index_base_b,@function
_ZN9rocsparseL19gebsrmvn_1xn_kernelILj128ELj5ELj8E21rocsparse_complex_numIdEEEvi20rocsparse_direction_NS_24const_host_device_scalarIT2_EEPKiS8_PKS5_SA_S6_PS5_21rocsparse_index_base_b: ; @_ZN9rocsparseL19gebsrmvn_1xn_kernelILj128ELj5ELj8E21rocsparse_complex_numIdEEEvi20rocsparse_direction_NS_24const_host_device_scalarIT2_EEPKiS8_PKS5_SA_S6_PS5_21rocsparse_index_base_b
; %bb.0:
	s_clause 0x1
	s_load_dwordx2 s[8:9], s[4:5], 0x50
	s_load_dwordx2 s[0:1], s[4:5], 0x8
	s_add_u32 s7, s4, 8
	s_addc_u32 s10, s5, 0
	s_add_u32 s11, s4, 56
	s_addc_u32 s12, s5, 0
	s_load_dwordx2 s[2:3], s[4:5], 0x38
	s_waitcnt lgkmcnt(0)
	s_bitcmp1_b32 s9, 0
	s_cselect_b32 s0, s7, s0
	s_cselect_b32 s1, s10, s1
	v_mov_b32_e32 v1, s0
	v_mov_b32_e32 v2, s1
	s_cselect_b32 s0, s11, s2
	s_cselect_b32 s1, s12, s3
	flat_load_dwordx4 v[5:8], v[1:2]
	v_mov_b32_e32 v1, s0
	v_mov_b32_e32 v2, s1
	flat_load_dwordx4 v[1:4], v[1:2]
	s_waitcnt vmcnt(1) lgkmcnt(1)
	v_cmp_eq_f64_e32 vcc_lo, 0, v[5:6]
	v_cmp_eq_f64_e64 s0, 0, v[7:8]
	s_and_b32 s2, vcc_lo, s0
	s_mov_b32 s0, -1
	s_and_saveexec_b32 s1, s2
	s_cbranch_execz .LBB244_2
; %bb.1:
	s_waitcnt vmcnt(0) lgkmcnt(0)
	v_cmp_neq_f64_e32 vcc_lo, 1.0, v[1:2]
	v_cmp_neq_f64_e64 s0, 0, v[3:4]
	s_or_b32 s0, vcc_lo, s0
	s_orn2_b32 s0, s0, exec_lo
.LBB244_2:
	s_or_b32 exec_lo, exec_lo, s1
	s_and_saveexec_b32 s1, s0
	s_cbranch_execz .LBB244_13
; %bb.3:
	s_load_dword s0, s[4:5], 0x0
	v_lshrrev_b32_e32 v9, 3, v0
	v_lshl_or_b32 v9, s6, 4, v9
	s_waitcnt lgkmcnt(0)
	v_cmp_gt_i32_e32 vcc_lo, s0, v9
	s_and_b32 exec_lo, exec_lo, vcc_lo
	s_cbranch_execz .LBB244_13
; %bb.4:
	s_clause 0x1
	s_load_dwordx2 s[0:1], s[4:5], 0x18
	s_load_dwordx2 s[6:7], s[4:5], 0x48
	v_ashrrev_i32_e32 v10, 31, v9
	v_and_b32_e32 v0, 7, v0
	v_mov_b32_e32 v15, 0
	v_mov_b32_e32 v16, 0
	s_mov_b32 s9, exec_lo
	v_lshlrev_b64 v[11:12], 2, v[9:10]
	v_subrev_nc_u32_e32 v13, s8, v0
	s_waitcnt lgkmcnt(0)
	v_add_co_u32 v11, vcc_lo, s0, v11
	v_add_co_ci_u32_e64 v12, null, s1, v12, vcc_lo
	global_load_dwordx2 v[11:12], v[11:12], off
	s_waitcnt vmcnt(0)
	v_subrev_nc_u32_e32 v20, s8, v12
	v_add_nc_u32_e32 v13, v11, v13
	v_mov_b32_e32 v11, 0
	v_mov_b32_e32 v12, 0
	v_cmpx_lt_i32_e64 v13, v20
	s_cbranch_execz .LBB244_8
; %bb.5:
	s_clause 0x1
	s_load_dwordx4 s[0:3], s[4:5], 0x20
	s_load_dwordx2 s[4:5], s[4:5], 0x30
	v_mad_u64_u32 v[17:18], null, v13, 5, 4
	v_mov_b32_e32 v11, 0
	v_mov_b32_e32 v15, 0
	;; [unrolled: 1-line block ×5, first 2 shown]
	s_mov_b32 s10, 0
.LBB244_6:                              ; =>This Inner Loop Header: Depth=1
	v_ashrrev_i32_e32 v14, 31, v13
	v_add_nc_u32_e32 v18, -4, v17
	v_mov_b32_e32 v54, v19
	v_lshlrev_b64 v[21:22], 2, v[13:14]
	v_add_nc_u32_e32 v13, 8, v13
	s_waitcnt lgkmcnt(0)
	v_add_co_u32 v21, vcc_lo, s0, v21
	v_add_co_ci_u32_e64 v22, null, s1, v22, vcc_lo
	global_load_dword v14, v[21:22], off
	v_lshlrev_b64 v[21:22], 4, v[18:19]
	v_add_nc_u32_e32 v18, -3, v17
	v_lshlrev_b64 v[29:30], 4, v[18:19]
	v_add_co_u32 v21, vcc_lo, s2, v21
	v_add_co_ci_u32_e64 v22, null, s3, v22, vcc_lo
	s_waitcnt vmcnt(0)
	v_subrev_nc_u32_e32 v14, s8, v14
	v_lshl_add_u32 v53, v14, 2, v14
	v_lshlrev_b64 v[23:24], 4, v[53:54]
	v_add_nc_u32_e32 v18, 1, v53
	v_lshlrev_b64 v[31:32], 4, v[18:19]
	v_add_co_u32 v25, vcc_lo, s4, v23
	v_add_co_ci_u32_e64 v26, null, s5, v24, vcc_lo
	v_add_co_u32 v29, vcc_lo, s2, v29
	global_load_dwordx4 v[21:24], v[21:22], off
	global_load_dwordx4 v[25:28], v[25:26], off
	v_add_co_ci_u32_e64 v30, null, s3, v30, vcc_lo
	v_add_co_u32 v33, vcc_lo, s4, v31
	v_add_co_ci_u32_e64 v34, null, s5, v32, vcc_lo
	global_load_dwordx4 v[29:32], v[29:30], off
	global_load_dwordx4 v[33:36], v[33:34], off
	v_add_nc_u32_e32 v18, -2, v17
	v_lshlrev_b64 v[37:38], 4, v[18:19]
	v_add_nc_u32_e32 v18, 2, v53
	v_lshlrev_b64 v[39:40], 4, v[18:19]
	v_add_co_u32 v37, vcc_lo, s2, v37
	v_add_co_ci_u32_e64 v38, null, s3, v38, vcc_lo
	v_add_nc_u32_e32 v18, -1, v17
	v_add_co_u32 v41, vcc_lo, s4, v39
	v_add_co_ci_u32_e64 v42, null, s5, v40, vcc_lo
	global_load_dwordx4 v[37:40], v[37:38], off
	global_load_dwordx4 v[41:44], v[41:42], off
	v_lshlrev_b64 v[45:46], 4, v[18:19]
	v_add_nc_u32_e32 v18, 3, v53
	v_lshlrev_b64 v[47:48], 4, v[18:19]
	v_add_co_u32 v45, vcc_lo, s2, v45
	v_add_co_ci_u32_e64 v46, null, s3, v46, vcc_lo
	v_mov_b32_e32 v18, v19
	v_add_co_u32 v49, vcc_lo, s4, v47
	v_add_co_ci_u32_e64 v50, null, s5, v48, vcc_lo
	global_load_dwordx4 v[45:48], v[45:46], off
	global_load_dwordx4 v[49:52], v[49:50], off
	v_lshlrev_b64 v[54:55], 4, v[17:18]
	v_add_nc_u32_e32 v18, 4, v53
	v_add_nc_u32_e32 v17, 40, v17
	v_lshlrev_b64 v[56:57], 4, v[18:19]
	v_add_co_u32 v53, vcc_lo, s2, v54
	v_add_co_ci_u32_e64 v54, null, s3, v55, vcc_lo
	v_add_co_u32 v58, vcc_lo, s4, v56
	v_add_co_ci_u32_e64 v59, null, s5, v57, vcc_lo
	global_load_dwordx4 v[53:56], v[53:54], off
	global_load_dwordx4 v[57:60], v[58:59], off
	v_cmp_ge_i32_e32 vcc_lo, v13, v20
	s_or_b32 s10, vcc_lo, s10
	s_waitcnt vmcnt(8)
	v_fma_f64 v[14:15], v[21:22], v[25:26], v[15:16]
	v_fma_f64 v[11:12], v[23:24], v[25:26], v[11:12]
	v_fma_f64 v[14:15], -v[23:24], v[27:28], v[14:15]
	v_fma_f64 v[11:12], v[21:22], v[27:28], v[11:12]
	s_waitcnt vmcnt(6)
	v_fma_f64 v[14:15], v[29:30], v[33:34], v[14:15]
	v_fma_f64 v[11:12], v[31:32], v[33:34], v[11:12]
	v_fma_f64 v[14:15], -v[31:32], v[35:36], v[14:15]
	v_fma_f64 v[11:12], v[29:30], v[35:36], v[11:12]
	;; [unrolled: 5-line block ×5, first 2 shown]
	s_andn2_b32 exec_lo, exec_lo, s10
	s_cbranch_execnz .LBB244_6
; %bb.7:
	s_or_b32 exec_lo, exec_lo, s10
.LBB244_8:
	s_or_b32 exec_lo, exec_lo, s9
	v_mbcnt_lo_u32_b32 v19, -1, 0
	v_xor_b32_e32 v13, 4, v19
	v_cmp_gt_i32_e32 vcc_lo, 32, v13
	v_cndmask_b32_e32 v13, v19, v13, vcc_lo
	v_lshlrev_b32_e32 v18, 2, v13
	ds_bpermute_b32 v13, v18, v15
	ds_bpermute_b32 v14, v18, v16
	;; [unrolled: 1-line block ×4, first 2 shown]
	s_waitcnt lgkmcnt(2)
	v_add_f64 v[13:14], v[15:16], v[13:14]
	s_waitcnt lgkmcnt(0)
	v_add_f64 v[15:16], v[11:12], v[17:18]
	v_xor_b32_e32 v11, 2, v19
	v_cmp_gt_i32_e32 vcc_lo, 32, v11
	v_cndmask_b32_e32 v11, v19, v11, vcc_lo
	v_lshlrev_b32_e32 v18, 2, v11
	ds_bpermute_b32 v11, v18, v13
	ds_bpermute_b32 v12, v18, v14
	;; [unrolled: 1-line block ×4, first 2 shown]
	s_waitcnt lgkmcnt(2)
	v_add_f64 v[11:12], v[13:14], v[11:12]
	s_waitcnt lgkmcnt(0)
	v_add_f64 v[13:14], v[15:16], v[17:18]
	v_xor_b32_e32 v15, 1, v19
	v_cmp_gt_i32_e32 vcc_lo, 32, v15
	v_cndmask_b32_e32 v15, v19, v15, vcc_lo
	v_cmp_eq_u32_e32 vcc_lo, 7, v0
	v_lshlrev_b32_e32 v18, 2, v15
	ds_bpermute_b32 v15, v18, v11
	ds_bpermute_b32 v16, v18, v12
	;; [unrolled: 1-line block ×4, first 2 shown]
	s_and_b32 exec_lo, exec_lo, vcc_lo
	s_cbranch_execz .LBB244_13
; %bb.9:
	s_waitcnt lgkmcnt(0)
	v_add_f64 v[13:14], v[13:14], v[17:18]
	v_add_f64 v[11:12], v[11:12], v[15:16]
	v_cmp_eq_f64_e32 vcc_lo, 0, v[1:2]
	v_cmp_eq_f64_e64 s0, 0, v[3:4]
	v_lshlrev_b64 v[9:10], 4, v[9:10]
	v_mul_f64 v[15:16], v[13:14], -v[7:8]
	v_mul_f64 v[13:14], v[5:6], v[13:14]
	s_and_b32 s0, vcc_lo, s0
	v_fma_f64 v[5:6], v[5:6], v[11:12], v[15:16]
	v_fma_f64 v[7:8], v[7:8], v[11:12], v[13:14]
	s_and_saveexec_b32 s1, s0
	s_xor_b32 s0, exec_lo, s1
	s_cbranch_execz .LBB244_11
; %bb.10:
	v_add_co_u32 v0, vcc_lo, s6, v9
	v_add_co_ci_u32_e64 v1, null, s7, v10, vcc_lo
                                        ; implicit-def: $vgpr9_vgpr10
	global_store_dwordx4 v[0:1], v[5:8], off
                                        ; implicit-def: $vgpr1_vgpr2
                                        ; implicit-def: $vgpr5_vgpr6
.LBB244_11:
	s_andn2_saveexec_b32 s0, s0
	s_cbranch_execz .LBB244_13
; %bb.12:
	v_add_co_u32 v13, vcc_lo, s6, v9
	v_add_co_ci_u32_e64 v14, null, s7, v10, vcc_lo
	global_load_dwordx4 v[9:12], v[13:14], off
	s_waitcnt vmcnt(0)
	v_fma_f64 v[5:6], v[1:2], v[9:10], v[5:6]
	v_fma_f64 v[7:8], v[3:4], v[9:10], v[7:8]
	v_fma_f64 v[3:4], -v[3:4], v[11:12], v[5:6]
	v_fma_f64 v[5:6], v[1:2], v[11:12], v[7:8]
	global_store_dwordx4 v[13:14], v[3:6], off
.LBB244_13:
	s_endpgm
	.section	.rodata,"a",@progbits
	.p2align	6, 0x0
	.amdhsa_kernel _ZN9rocsparseL19gebsrmvn_1xn_kernelILj128ELj5ELj8E21rocsparse_complex_numIdEEEvi20rocsparse_direction_NS_24const_host_device_scalarIT2_EEPKiS8_PKS5_SA_S6_PS5_21rocsparse_index_base_b
		.amdhsa_group_segment_fixed_size 0
		.amdhsa_private_segment_fixed_size 0
		.amdhsa_kernarg_size 88
		.amdhsa_user_sgpr_count 6
		.amdhsa_user_sgpr_private_segment_buffer 1
		.amdhsa_user_sgpr_dispatch_ptr 0
		.amdhsa_user_sgpr_queue_ptr 0
		.amdhsa_user_sgpr_kernarg_segment_ptr 1
		.amdhsa_user_sgpr_dispatch_id 0
		.amdhsa_user_sgpr_flat_scratch_init 0
		.amdhsa_user_sgpr_private_segment_size 0
		.amdhsa_wavefront_size32 1
		.amdhsa_uses_dynamic_stack 0
		.amdhsa_system_sgpr_private_segment_wavefront_offset 0
		.amdhsa_system_sgpr_workgroup_id_x 1
		.amdhsa_system_sgpr_workgroup_id_y 0
		.amdhsa_system_sgpr_workgroup_id_z 0
		.amdhsa_system_sgpr_workgroup_info 0
		.amdhsa_system_vgpr_workitem_id 0
		.amdhsa_next_free_vgpr 61
		.amdhsa_next_free_sgpr 13
		.amdhsa_reserve_vcc 1
		.amdhsa_reserve_flat_scratch 0
		.amdhsa_float_round_mode_32 0
		.amdhsa_float_round_mode_16_64 0
		.amdhsa_float_denorm_mode_32 3
		.amdhsa_float_denorm_mode_16_64 3
		.amdhsa_dx10_clamp 1
		.amdhsa_ieee_mode 1
		.amdhsa_fp16_overflow 0
		.amdhsa_workgroup_processor_mode 1
		.amdhsa_memory_ordered 1
		.amdhsa_forward_progress 1
		.amdhsa_shared_vgpr_count 0
		.amdhsa_exception_fp_ieee_invalid_op 0
		.amdhsa_exception_fp_denorm_src 0
		.amdhsa_exception_fp_ieee_div_zero 0
		.amdhsa_exception_fp_ieee_overflow 0
		.amdhsa_exception_fp_ieee_underflow 0
		.amdhsa_exception_fp_ieee_inexact 0
		.amdhsa_exception_int_div_zero 0
	.end_amdhsa_kernel
	.section	.text._ZN9rocsparseL19gebsrmvn_1xn_kernelILj128ELj5ELj8E21rocsparse_complex_numIdEEEvi20rocsparse_direction_NS_24const_host_device_scalarIT2_EEPKiS8_PKS5_SA_S6_PS5_21rocsparse_index_base_b,"axG",@progbits,_ZN9rocsparseL19gebsrmvn_1xn_kernelILj128ELj5ELj8E21rocsparse_complex_numIdEEEvi20rocsparse_direction_NS_24const_host_device_scalarIT2_EEPKiS8_PKS5_SA_S6_PS5_21rocsparse_index_base_b,comdat
.Lfunc_end244:
	.size	_ZN9rocsparseL19gebsrmvn_1xn_kernelILj128ELj5ELj8E21rocsparse_complex_numIdEEEvi20rocsparse_direction_NS_24const_host_device_scalarIT2_EEPKiS8_PKS5_SA_S6_PS5_21rocsparse_index_base_b, .Lfunc_end244-_ZN9rocsparseL19gebsrmvn_1xn_kernelILj128ELj5ELj8E21rocsparse_complex_numIdEEEvi20rocsparse_direction_NS_24const_host_device_scalarIT2_EEPKiS8_PKS5_SA_S6_PS5_21rocsparse_index_base_b
                                        ; -- End function
	.set _ZN9rocsparseL19gebsrmvn_1xn_kernelILj128ELj5ELj8E21rocsparse_complex_numIdEEEvi20rocsparse_direction_NS_24const_host_device_scalarIT2_EEPKiS8_PKS5_SA_S6_PS5_21rocsparse_index_base_b.num_vgpr, 61
	.set _ZN9rocsparseL19gebsrmvn_1xn_kernelILj128ELj5ELj8E21rocsparse_complex_numIdEEEvi20rocsparse_direction_NS_24const_host_device_scalarIT2_EEPKiS8_PKS5_SA_S6_PS5_21rocsparse_index_base_b.num_agpr, 0
	.set _ZN9rocsparseL19gebsrmvn_1xn_kernelILj128ELj5ELj8E21rocsparse_complex_numIdEEEvi20rocsparse_direction_NS_24const_host_device_scalarIT2_EEPKiS8_PKS5_SA_S6_PS5_21rocsparse_index_base_b.numbered_sgpr, 13
	.set _ZN9rocsparseL19gebsrmvn_1xn_kernelILj128ELj5ELj8E21rocsparse_complex_numIdEEEvi20rocsparse_direction_NS_24const_host_device_scalarIT2_EEPKiS8_PKS5_SA_S6_PS5_21rocsparse_index_base_b.num_named_barrier, 0
	.set _ZN9rocsparseL19gebsrmvn_1xn_kernelILj128ELj5ELj8E21rocsparse_complex_numIdEEEvi20rocsparse_direction_NS_24const_host_device_scalarIT2_EEPKiS8_PKS5_SA_S6_PS5_21rocsparse_index_base_b.private_seg_size, 0
	.set _ZN9rocsparseL19gebsrmvn_1xn_kernelILj128ELj5ELj8E21rocsparse_complex_numIdEEEvi20rocsparse_direction_NS_24const_host_device_scalarIT2_EEPKiS8_PKS5_SA_S6_PS5_21rocsparse_index_base_b.uses_vcc, 1
	.set _ZN9rocsparseL19gebsrmvn_1xn_kernelILj128ELj5ELj8E21rocsparse_complex_numIdEEEvi20rocsparse_direction_NS_24const_host_device_scalarIT2_EEPKiS8_PKS5_SA_S6_PS5_21rocsparse_index_base_b.uses_flat_scratch, 0
	.set _ZN9rocsparseL19gebsrmvn_1xn_kernelILj128ELj5ELj8E21rocsparse_complex_numIdEEEvi20rocsparse_direction_NS_24const_host_device_scalarIT2_EEPKiS8_PKS5_SA_S6_PS5_21rocsparse_index_base_b.has_dyn_sized_stack, 0
	.set _ZN9rocsparseL19gebsrmvn_1xn_kernelILj128ELj5ELj8E21rocsparse_complex_numIdEEEvi20rocsparse_direction_NS_24const_host_device_scalarIT2_EEPKiS8_PKS5_SA_S6_PS5_21rocsparse_index_base_b.has_recursion, 0
	.set _ZN9rocsparseL19gebsrmvn_1xn_kernelILj128ELj5ELj8E21rocsparse_complex_numIdEEEvi20rocsparse_direction_NS_24const_host_device_scalarIT2_EEPKiS8_PKS5_SA_S6_PS5_21rocsparse_index_base_b.has_indirect_call, 0
	.section	.AMDGPU.csdata,"",@progbits
; Kernel info:
; codeLenInByte = 1400
; TotalNumSgprs: 15
; NumVgprs: 61
; ScratchSize: 0
; MemoryBound: 0
; FloatMode: 240
; IeeeMode: 1
; LDSByteSize: 0 bytes/workgroup (compile time only)
; SGPRBlocks: 0
; VGPRBlocks: 7
; NumSGPRsForWavesPerEU: 15
; NumVGPRsForWavesPerEU: 61
; Occupancy: 16
; WaveLimiterHint : 1
; COMPUTE_PGM_RSRC2:SCRATCH_EN: 0
; COMPUTE_PGM_RSRC2:USER_SGPR: 6
; COMPUTE_PGM_RSRC2:TRAP_HANDLER: 0
; COMPUTE_PGM_RSRC2:TGID_X_EN: 1
; COMPUTE_PGM_RSRC2:TGID_Y_EN: 0
; COMPUTE_PGM_RSRC2:TGID_Z_EN: 0
; COMPUTE_PGM_RSRC2:TIDIG_COMP_CNT: 0
	.section	.text._ZN9rocsparseL19gebsrmvn_1xn_kernelILj128ELj5ELj16E21rocsparse_complex_numIdEEEvi20rocsparse_direction_NS_24const_host_device_scalarIT2_EEPKiS8_PKS5_SA_S6_PS5_21rocsparse_index_base_b,"axG",@progbits,_ZN9rocsparseL19gebsrmvn_1xn_kernelILj128ELj5ELj16E21rocsparse_complex_numIdEEEvi20rocsparse_direction_NS_24const_host_device_scalarIT2_EEPKiS8_PKS5_SA_S6_PS5_21rocsparse_index_base_b,comdat
	.globl	_ZN9rocsparseL19gebsrmvn_1xn_kernelILj128ELj5ELj16E21rocsparse_complex_numIdEEEvi20rocsparse_direction_NS_24const_host_device_scalarIT2_EEPKiS8_PKS5_SA_S6_PS5_21rocsparse_index_base_b ; -- Begin function _ZN9rocsparseL19gebsrmvn_1xn_kernelILj128ELj5ELj16E21rocsparse_complex_numIdEEEvi20rocsparse_direction_NS_24const_host_device_scalarIT2_EEPKiS8_PKS5_SA_S6_PS5_21rocsparse_index_base_b
	.p2align	8
	.type	_ZN9rocsparseL19gebsrmvn_1xn_kernelILj128ELj5ELj16E21rocsparse_complex_numIdEEEvi20rocsparse_direction_NS_24const_host_device_scalarIT2_EEPKiS8_PKS5_SA_S6_PS5_21rocsparse_index_base_b,@function
_ZN9rocsparseL19gebsrmvn_1xn_kernelILj128ELj5ELj16E21rocsparse_complex_numIdEEEvi20rocsparse_direction_NS_24const_host_device_scalarIT2_EEPKiS8_PKS5_SA_S6_PS5_21rocsparse_index_base_b: ; @_ZN9rocsparseL19gebsrmvn_1xn_kernelILj128ELj5ELj16E21rocsparse_complex_numIdEEEvi20rocsparse_direction_NS_24const_host_device_scalarIT2_EEPKiS8_PKS5_SA_S6_PS5_21rocsparse_index_base_b
; %bb.0:
	s_clause 0x1
	s_load_dwordx2 s[8:9], s[4:5], 0x50
	s_load_dwordx2 s[0:1], s[4:5], 0x8
	s_add_u32 s7, s4, 8
	s_addc_u32 s10, s5, 0
	s_add_u32 s11, s4, 56
	s_addc_u32 s12, s5, 0
	s_load_dwordx2 s[2:3], s[4:5], 0x38
	s_waitcnt lgkmcnt(0)
	s_bitcmp1_b32 s9, 0
	s_cselect_b32 s0, s7, s0
	s_cselect_b32 s1, s10, s1
	v_mov_b32_e32 v1, s0
	v_mov_b32_e32 v2, s1
	s_cselect_b32 s0, s11, s2
	s_cselect_b32 s1, s12, s3
	flat_load_dwordx4 v[5:8], v[1:2]
	v_mov_b32_e32 v1, s0
	v_mov_b32_e32 v2, s1
	flat_load_dwordx4 v[1:4], v[1:2]
	s_waitcnt vmcnt(1) lgkmcnt(1)
	v_cmp_eq_f64_e32 vcc_lo, 0, v[5:6]
	v_cmp_eq_f64_e64 s0, 0, v[7:8]
	s_and_b32 s2, vcc_lo, s0
	s_mov_b32 s0, -1
	s_and_saveexec_b32 s1, s2
	s_cbranch_execz .LBB245_2
; %bb.1:
	s_waitcnt vmcnt(0) lgkmcnt(0)
	v_cmp_neq_f64_e32 vcc_lo, 1.0, v[1:2]
	v_cmp_neq_f64_e64 s0, 0, v[3:4]
	s_or_b32 s0, vcc_lo, s0
	s_orn2_b32 s0, s0, exec_lo
.LBB245_2:
	s_or_b32 exec_lo, exec_lo, s1
	s_and_saveexec_b32 s1, s0
	s_cbranch_execz .LBB245_13
; %bb.3:
	s_load_dword s0, s[4:5], 0x0
	v_lshrrev_b32_e32 v9, 4, v0
	v_lshl_or_b32 v9, s6, 3, v9
	s_waitcnt lgkmcnt(0)
	v_cmp_gt_i32_e32 vcc_lo, s0, v9
	s_and_b32 exec_lo, exec_lo, vcc_lo
	s_cbranch_execz .LBB245_13
; %bb.4:
	s_clause 0x1
	s_load_dwordx2 s[0:1], s[4:5], 0x18
	s_load_dwordx2 s[6:7], s[4:5], 0x48
	v_ashrrev_i32_e32 v10, 31, v9
	v_and_b32_e32 v0, 15, v0
	s_mov_b32 s9, exec_lo
	v_lshlrev_b64 v[11:12], 2, v[9:10]
	v_subrev_nc_u32_e32 v13, s8, v0
	s_waitcnt lgkmcnt(0)
	v_add_co_u32 v11, vcc_lo, s0, v11
	v_add_co_ci_u32_e64 v12, null, s1, v12, vcc_lo
	global_load_dwordx2 v[11:12], v[11:12], off
	s_waitcnt vmcnt(0)
	v_subrev_nc_u32_e32 v20, s8, v12
	v_add_nc_u32_e32 v15, v11, v13
	v_mov_b32_e32 v11, 0
	v_mov_b32_e32 v13, 0
	;; [unrolled: 1-line block ×4, first 2 shown]
	v_cmpx_lt_i32_e64 v15, v20
	s_cbranch_execz .LBB245_8
; %bb.5:
	s_clause 0x1
	s_load_dwordx4 s[0:3], s[4:5], 0x20
	s_load_dwordx2 s[4:5], s[4:5], 0x30
	v_mad_u64_u32 v[17:18], null, v15, 5, 4
	v_mov_b32_e32 v11, 0
	v_mov_b32_e32 v13, 0
	;; [unrolled: 1-line block ×5, first 2 shown]
	s_mov_b32 s10, 0
.LBB245_6:                              ; =>This Inner Loop Header: Depth=1
	v_ashrrev_i32_e32 v16, 31, v15
	v_add_nc_u32_e32 v18, -4, v17
	v_mov_b32_e32 v54, v19
	v_lshlrev_b64 v[21:22], 2, v[15:16]
	v_add_nc_u32_e32 v15, 16, v15
	s_waitcnt lgkmcnt(0)
	v_add_co_u32 v21, vcc_lo, s0, v21
	v_add_co_ci_u32_e64 v22, null, s1, v22, vcc_lo
	global_load_dword v16, v[21:22], off
	v_lshlrev_b64 v[21:22], 4, v[18:19]
	v_add_nc_u32_e32 v18, -3, v17
	v_lshlrev_b64 v[29:30], 4, v[18:19]
	v_add_co_u32 v21, vcc_lo, s2, v21
	v_add_co_ci_u32_e64 v22, null, s3, v22, vcc_lo
	s_waitcnt vmcnt(0)
	v_subrev_nc_u32_e32 v16, s8, v16
	v_lshl_add_u32 v53, v16, 2, v16
	v_lshlrev_b64 v[23:24], 4, v[53:54]
	v_add_nc_u32_e32 v18, 1, v53
	v_lshlrev_b64 v[31:32], 4, v[18:19]
	v_add_co_u32 v25, vcc_lo, s4, v23
	v_add_co_ci_u32_e64 v26, null, s5, v24, vcc_lo
	v_add_co_u32 v29, vcc_lo, s2, v29
	global_load_dwordx4 v[21:24], v[21:22], off
	global_load_dwordx4 v[25:28], v[25:26], off
	v_add_co_ci_u32_e64 v30, null, s3, v30, vcc_lo
	v_add_co_u32 v33, vcc_lo, s4, v31
	v_add_co_ci_u32_e64 v34, null, s5, v32, vcc_lo
	global_load_dwordx4 v[29:32], v[29:30], off
	global_load_dwordx4 v[33:36], v[33:34], off
	v_add_nc_u32_e32 v18, -2, v17
	v_lshlrev_b64 v[37:38], 4, v[18:19]
	v_add_nc_u32_e32 v18, 2, v53
	v_lshlrev_b64 v[39:40], 4, v[18:19]
	v_add_co_u32 v37, vcc_lo, s2, v37
	v_add_co_ci_u32_e64 v38, null, s3, v38, vcc_lo
	v_add_nc_u32_e32 v18, -1, v17
	v_add_co_u32 v41, vcc_lo, s4, v39
	v_add_co_ci_u32_e64 v42, null, s5, v40, vcc_lo
	global_load_dwordx4 v[37:40], v[37:38], off
	global_load_dwordx4 v[41:44], v[41:42], off
	v_lshlrev_b64 v[45:46], 4, v[18:19]
	v_add_nc_u32_e32 v18, 3, v53
	v_lshlrev_b64 v[47:48], 4, v[18:19]
	v_add_co_u32 v45, vcc_lo, s2, v45
	v_add_co_ci_u32_e64 v46, null, s3, v46, vcc_lo
	v_mov_b32_e32 v18, v19
	v_add_co_u32 v49, vcc_lo, s4, v47
	v_add_co_ci_u32_e64 v50, null, s5, v48, vcc_lo
	global_load_dwordx4 v[45:48], v[45:46], off
	global_load_dwordx4 v[49:52], v[49:50], off
	v_lshlrev_b64 v[54:55], 4, v[17:18]
	v_add_nc_u32_e32 v18, 4, v53
	v_add_nc_u32_e32 v17, 0x50, v17
	v_lshlrev_b64 v[56:57], 4, v[18:19]
	v_add_co_u32 v53, vcc_lo, s2, v54
	v_add_co_ci_u32_e64 v54, null, s3, v55, vcc_lo
	v_add_co_u32 v58, vcc_lo, s4, v56
	v_add_co_ci_u32_e64 v59, null, s5, v57, vcc_lo
	global_load_dwordx4 v[53:56], v[53:54], off
	global_load_dwordx4 v[57:60], v[58:59], off
	v_cmp_ge_i32_e32 vcc_lo, v15, v20
	s_or_b32 s10, vcc_lo, s10
	s_waitcnt vmcnt(8)
	v_fma_f64 v[13:14], v[21:22], v[25:26], v[13:14]
	v_fma_f64 v[11:12], v[23:24], v[25:26], v[11:12]
	v_fma_f64 v[13:14], -v[23:24], v[27:28], v[13:14]
	v_fma_f64 v[11:12], v[21:22], v[27:28], v[11:12]
	s_waitcnt vmcnt(6)
	v_fma_f64 v[13:14], v[29:30], v[33:34], v[13:14]
	v_fma_f64 v[11:12], v[31:32], v[33:34], v[11:12]
	v_fma_f64 v[13:14], -v[31:32], v[35:36], v[13:14]
	v_fma_f64 v[11:12], v[29:30], v[35:36], v[11:12]
	;; [unrolled: 5-line block ×5, first 2 shown]
	s_andn2_b32 exec_lo, exec_lo, s10
	s_cbranch_execnz .LBB245_6
; %bb.7:
	s_or_b32 exec_lo, exec_lo, s10
.LBB245_8:
	s_or_b32 exec_lo, exec_lo, s9
	v_mbcnt_lo_u32_b32 v19, -1, 0
	v_xor_b32_e32 v15, 8, v19
	v_cmp_gt_i32_e32 vcc_lo, 32, v15
	v_cndmask_b32_e32 v15, v19, v15, vcc_lo
	v_lshlrev_b32_e32 v18, 2, v15
	ds_bpermute_b32 v15, v18, v13
	ds_bpermute_b32 v16, v18, v14
	;; [unrolled: 1-line block ×4, first 2 shown]
	s_waitcnt lgkmcnt(2)
	v_add_f64 v[13:14], v[13:14], v[15:16]
	v_xor_b32_e32 v15, 4, v19
	s_waitcnt lgkmcnt(0)
	v_add_f64 v[11:12], v[11:12], v[17:18]
	v_cmp_gt_i32_e32 vcc_lo, 32, v15
	v_cndmask_b32_e32 v15, v19, v15, vcc_lo
	v_lshlrev_b32_e32 v18, 2, v15
	ds_bpermute_b32 v15, v18, v13
	ds_bpermute_b32 v16, v18, v14
	;; [unrolled: 1-line block ×4, first 2 shown]
	s_waitcnt lgkmcnt(2)
	v_add_f64 v[13:14], v[13:14], v[15:16]
	s_waitcnt lgkmcnt(0)
	v_add_f64 v[15:16], v[11:12], v[17:18]
	v_xor_b32_e32 v11, 2, v19
	v_cmp_gt_i32_e32 vcc_lo, 32, v11
	v_cndmask_b32_e32 v11, v19, v11, vcc_lo
	v_lshlrev_b32_e32 v18, 2, v11
	ds_bpermute_b32 v11, v18, v13
	ds_bpermute_b32 v12, v18, v14
	;; [unrolled: 1-line block ×4, first 2 shown]
	s_waitcnt lgkmcnt(2)
	v_add_f64 v[11:12], v[13:14], v[11:12]
	s_waitcnt lgkmcnt(0)
	v_add_f64 v[13:14], v[15:16], v[17:18]
	v_xor_b32_e32 v15, 1, v19
	v_cmp_gt_i32_e32 vcc_lo, 32, v15
	v_cndmask_b32_e32 v15, v19, v15, vcc_lo
	v_cmp_eq_u32_e32 vcc_lo, 15, v0
	v_lshlrev_b32_e32 v18, 2, v15
	ds_bpermute_b32 v15, v18, v11
	ds_bpermute_b32 v16, v18, v12
	;; [unrolled: 1-line block ×4, first 2 shown]
	s_and_b32 exec_lo, exec_lo, vcc_lo
	s_cbranch_execz .LBB245_13
; %bb.9:
	s_waitcnt lgkmcnt(0)
	v_add_f64 v[13:14], v[13:14], v[17:18]
	v_add_f64 v[11:12], v[11:12], v[15:16]
	v_cmp_eq_f64_e32 vcc_lo, 0, v[1:2]
	v_cmp_eq_f64_e64 s0, 0, v[3:4]
	v_lshlrev_b64 v[9:10], 4, v[9:10]
	v_mul_f64 v[15:16], v[13:14], -v[7:8]
	v_mul_f64 v[13:14], v[5:6], v[13:14]
	s_and_b32 s0, vcc_lo, s0
	v_fma_f64 v[5:6], v[5:6], v[11:12], v[15:16]
	v_fma_f64 v[7:8], v[7:8], v[11:12], v[13:14]
	s_and_saveexec_b32 s1, s0
	s_xor_b32 s0, exec_lo, s1
	s_cbranch_execz .LBB245_11
; %bb.10:
	v_add_co_u32 v0, vcc_lo, s6, v9
	v_add_co_ci_u32_e64 v1, null, s7, v10, vcc_lo
                                        ; implicit-def: $vgpr9_vgpr10
	global_store_dwordx4 v[0:1], v[5:8], off
                                        ; implicit-def: $vgpr1_vgpr2
                                        ; implicit-def: $vgpr5_vgpr6
.LBB245_11:
	s_andn2_saveexec_b32 s0, s0
	s_cbranch_execz .LBB245_13
; %bb.12:
	v_add_co_u32 v13, vcc_lo, s6, v9
	v_add_co_ci_u32_e64 v14, null, s7, v10, vcc_lo
	global_load_dwordx4 v[9:12], v[13:14], off
	s_waitcnt vmcnt(0)
	v_fma_f64 v[5:6], v[1:2], v[9:10], v[5:6]
	v_fma_f64 v[7:8], v[3:4], v[9:10], v[7:8]
	v_fma_f64 v[3:4], -v[3:4], v[11:12], v[5:6]
	v_fma_f64 v[5:6], v[1:2], v[11:12], v[7:8]
	global_store_dwordx4 v[13:14], v[3:6], off
.LBB245_13:
	s_endpgm
	.section	.rodata,"a",@progbits
	.p2align	6, 0x0
	.amdhsa_kernel _ZN9rocsparseL19gebsrmvn_1xn_kernelILj128ELj5ELj16E21rocsparse_complex_numIdEEEvi20rocsparse_direction_NS_24const_host_device_scalarIT2_EEPKiS8_PKS5_SA_S6_PS5_21rocsparse_index_base_b
		.amdhsa_group_segment_fixed_size 0
		.amdhsa_private_segment_fixed_size 0
		.amdhsa_kernarg_size 88
		.amdhsa_user_sgpr_count 6
		.amdhsa_user_sgpr_private_segment_buffer 1
		.amdhsa_user_sgpr_dispatch_ptr 0
		.amdhsa_user_sgpr_queue_ptr 0
		.amdhsa_user_sgpr_kernarg_segment_ptr 1
		.amdhsa_user_sgpr_dispatch_id 0
		.amdhsa_user_sgpr_flat_scratch_init 0
		.amdhsa_user_sgpr_private_segment_size 0
		.amdhsa_wavefront_size32 1
		.amdhsa_uses_dynamic_stack 0
		.amdhsa_system_sgpr_private_segment_wavefront_offset 0
		.amdhsa_system_sgpr_workgroup_id_x 1
		.amdhsa_system_sgpr_workgroup_id_y 0
		.amdhsa_system_sgpr_workgroup_id_z 0
		.amdhsa_system_sgpr_workgroup_info 0
		.amdhsa_system_vgpr_workitem_id 0
		.amdhsa_next_free_vgpr 61
		.amdhsa_next_free_sgpr 13
		.amdhsa_reserve_vcc 1
		.amdhsa_reserve_flat_scratch 0
		.amdhsa_float_round_mode_32 0
		.amdhsa_float_round_mode_16_64 0
		.amdhsa_float_denorm_mode_32 3
		.amdhsa_float_denorm_mode_16_64 3
		.amdhsa_dx10_clamp 1
		.amdhsa_ieee_mode 1
		.amdhsa_fp16_overflow 0
		.amdhsa_workgroup_processor_mode 1
		.amdhsa_memory_ordered 1
		.amdhsa_forward_progress 1
		.amdhsa_shared_vgpr_count 0
		.amdhsa_exception_fp_ieee_invalid_op 0
		.amdhsa_exception_fp_denorm_src 0
		.amdhsa_exception_fp_ieee_div_zero 0
		.amdhsa_exception_fp_ieee_overflow 0
		.amdhsa_exception_fp_ieee_underflow 0
		.amdhsa_exception_fp_ieee_inexact 0
		.amdhsa_exception_int_div_zero 0
	.end_amdhsa_kernel
	.section	.text._ZN9rocsparseL19gebsrmvn_1xn_kernelILj128ELj5ELj16E21rocsparse_complex_numIdEEEvi20rocsparse_direction_NS_24const_host_device_scalarIT2_EEPKiS8_PKS5_SA_S6_PS5_21rocsparse_index_base_b,"axG",@progbits,_ZN9rocsparseL19gebsrmvn_1xn_kernelILj128ELj5ELj16E21rocsparse_complex_numIdEEEvi20rocsparse_direction_NS_24const_host_device_scalarIT2_EEPKiS8_PKS5_SA_S6_PS5_21rocsparse_index_base_b,comdat
.Lfunc_end245:
	.size	_ZN9rocsparseL19gebsrmvn_1xn_kernelILj128ELj5ELj16E21rocsparse_complex_numIdEEEvi20rocsparse_direction_NS_24const_host_device_scalarIT2_EEPKiS8_PKS5_SA_S6_PS5_21rocsparse_index_base_b, .Lfunc_end245-_ZN9rocsparseL19gebsrmvn_1xn_kernelILj128ELj5ELj16E21rocsparse_complex_numIdEEEvi20rocsparse_direction_NS_24const_host_device_scalarIT2_EEPKiS8_PKS5_SA_S6_PS5_21rocsparse_index_base_b
                                        ; -- End function
	.set _ZN9rocsparseL19gebsrmvn_1xn_kernelILj128ELj5ELj16E21rocsparse_complex_numIdEEEvi20rocsparse_direction_NS_24const_host_device_scalarIT2_EEPKiS8_PKS5_SA_S6_PS5_21rocsparse_index_base_b.num_vgpr, 61
	.set _ZN9rocsparseL19gebsrmvn_1xn_kernelILj128ELj5ELj16E21rocsparse_complex_numIdEEEvi20rocsparse_direction_NS_24const_host_device_scalarIT2_EEPKiS8_PKS5_SA_S6_PS5_21rocsparse_index_base_b.num_agpr, 0
	.set _ZN9rocsparseL19gebsrmvn_1xn_kernelILj128ELj5ELj16E21rocsparse_complex_numIdEEEvi20rocsparse_direction_NS_24const_host_device_scalarIT2_EEPKiS8_PKS5_SA_S6_PS5_21rocsparse_index_base_b.numbered_sgpr, 13
	.set _ZN9rocsparseL19gebsrmvn_1xn_kernelILj128ELj5ELj16E21rocsparse_complex_numIdEEEvi20rocsparse_direction_NS_24const_host_device_scalarIT2_EEPKiS8_PKS5_SA_S6_PS5_21rocsparse_index_base_b.num_named_barrier, 0
	.set _ZN9rocsparseL19gebsrmvn_1xn_kernelILj128ELj5ELj16E21rocsparse_complex_numIdEEEvi20rocsparse_direction_NS_24const_host_device_scalarIT2_EEPKiS8_PKS5_SA_S6_PS5_21rocsparse_index_base_b.private_seg_size, 0
	.set _ZN9rocsparseL19gebsrmvn_1xn_kernelILj128ELj5ELj16E21rocsparse_complex_numIdEEEvi20rocsparse_direction_NS_24const_host_device_scalarIT2_EEPKiS8_PKS5_SA_S6_PS5_21rocsparse_index_base_b.uses_vcc, 1
	.set _ZN9rocsparseL19gebsrmvn_1xn_kernelILj128ELj5ELj16E21rocsparse_complex_numIdEEEvi20rocsparse_direction_NS_24const_host_device_scalarIT2_EEPKiS8_PKS5_SA_S6_PS5_21rocsparse_index_base_b.uses_flat_scratch, 0
	.set _ZN9rocsparseL19gebsrmvn_1xn_kernelILj128ELj5ELj16E21rocsparse_complex_numIdEEEvi20rocsparse_direction_NS_24const_host_device_scalarIT2_EEPKiS8_PKS5_SA_S6_PS5_21rocsparse_index_base_b.has_dyn_sized_stack, 0
	.set _ZN9rocsparseL19gebsrmvn_1xn_kernelILj128ELj5ELj16E21rocsparse_complex_numIdEEEvi20rocsparse_direction_NS_24const_host_device_scalarIT2_EEPKiS8_PKS5_SA_S6_PS5_21rocsparse_index_base_b.has_recursion, 0
	.set _ZN9rocsparseL19gebsrmvn_1xn_kernelILj128ELj5ELj16E21rocsparse_complex_numIdEEEvi20rocsparse_direction_NS_24const_host_device_scalarIT2_EEPKiS8_PKS5_SA_S6_PS5_21rocsparse_index_base_b.has_indirect_call, 0
	.section	.AMDGPU.csdata,"",@progbits
; Kernel info:
; codeLenInByte = 1476
; TotalNumSgprs: 15
; NumVgprs: 61
; ScratchSize: 0
; MemoryBound: 0
; FloatMode: 240
; IeeeMode: 1
; LDSByteSize: 0 bytes/workgroup (compile time only)
; SGPRBlocks: 0
; VGPRBlocks: 7
; NumSGPRsForWavesPerEU: 15
; NumVGPRsForWavesPerEU: 61
; Occupancy: 16
; WaveLimiterHint : 1
; COMPUTE_PGM_RSRC2:SCRATCH_EN: 0
; COMPUTE_PGM_RSRC2:USER_SGPR: 6
; COMPUTE_PGM_RSRC2:TRAP_HANDLER: 0
; COMPUTE_PGM_RSRC2:TGID_X_EN: 1
; COMPUTE_PGM_RSRC2:TGID_Y_EN: 0
; COMPUTE_PGM_RSRC2:TGID_Z_EN: 0
; COMPUTE_PGM_RSRC2:TIDIG_COMP_CNT: 0
	.section	.text._ZN9rocsparseL19gebsrmvn_1xn_kernelILj128ELj5ELj32E21rocsparse_complex_numIdEEEvi20rocsparse_direction_NS_24const_host_device_scalarIT2_EEPKiS8_PKS5_SA_S6_PS5_21rocsparse_index_base_b,"axG",@progbits,_ZN9rocsparseL19gebsrmvn_1xn_kernelILj128ELj5ELj32E21rocsparse_complex_numIdEEEvi20rocsparse_direction_NS_24const_host_device_scalarIT2_EEPKiS8_PKS5_SA_S6_PS5_21rocsparse_index_base_b,comdat
	.globl	_ZN9rocsparseL19gebsrmvn_1xn_kernelILj128ELj5ELj32E21rocsparse_complex_numIdEEEvi20rocsparse_direction_NS_24const_host_device_scalarIT2_EEPKiS8_PKS5_SA_S6_PS5_21rocsparse_index_base_b ; -- Begin function _ZN9rocsparseL19gebsrmvn_1xn_kernelILj128ELj5ELj32E21rocsparse_complex_numIdEEEvi20rocsparse_direction_NS_24const_host_device_scalarIT2_EEPKiS8_PKS5_SA_S6_PS5_21rocsparse_index_base_b
	.p2align	8
	.type	_ZN9rocsparseL19gebsrmvn_1xn_kernelILj128ELj5ELj32E21rocsparse_complex_numIdEEEvi20rocsparse_direction_NS_24const_host_device_scalarIT2_EEPKiS8_PKS5_SA_S6_PS5_21rocsparse_index_base_b,@function
_ZN9rocsparseL19gebsrmvn_1xn_kernelILj128ELj5ELj32E21rocsparse_complex_numIdEEEvi20rocsparse_direction_NS_24const_host_device_scalarIT2_EEPKiS8_PKS5_SA_S6_PS5_21rocsparse_index_base_b: ; @_ZN9rocsparseL19gebsrmvn_1xn_kernelILj128ELj5ELj32E21rocsparse_complex_numIdEEEvi20rocsparse_direction_NS_24const_host_device_scalarIT2_EEPKiS8_PKS5_SA_S6_PS5_21rocsparse_index_base_b
; %bb.0:
	s_clause 0x1
	s_load_dwordx2 s[8:9], s[4:5], 0x50
	s_load_dwordx2 s[0:1], s[4:5], 0x8
	s_add_u32 s7, s4, 8
	s_addc_u32 s10, s5, 0
	s_add_u32 s11, s4, 56
	s_addc_u32 s12, s5, 0
	s_load_dwordx2 s[2:3], s[4:5], 0x38
	s_waitcnt lgkmcnt(0)
	s_bitcmp1_b32 s9, 0
	s_cselect_b32 s0, s7, s0
	s_cselect_b32 s1, s10, s1
	v_mov_b32_e32 v1, s0
	v_mov_b32_e32 v2, s1
	s_cselect_b32 s0, s11, s2
	s_cselect_b32 s1, s12, s3
	flat_load_dwordx4 v[5:8], v[1:2]
	v_mov_b32_e32 v1, s0
	v_mov_b32_e32 v2, s1
	flat_load_dwordx4 v[1:4], v[1:2]
	s_waitcnt vmcnt(1) lgkmcnt(1)
	v_cmp_eq_f64_e32 vcc_lo, 0, v[5:6]
	v_cmp_eq_f64_e64 s0, 0, v[7:8]
	s_and_b32 s2, vcc_lo, s0
	s_mov_b32 s0, -1
	s_and_saveexec_b32 s1, s2
	s_cbranch_execz .LBB246_2
; %bb.1:
	s_waitcnt vmcnt(0) lgkmcnt(0)
	v_cmp_neq_f64_e32 vcc_lo, 1.0, v[1:2]
	v_cmp_neq_f64_e64 s0, 0, v[3:4]
	s_or_b32 s0, vcc_lo, s0
	s_orn2_b32 s0, s0, exec_lo
.LBB246_2:
	s_or_b32 exec_lo, exec_lo, s1
	s_and_saveexec_b32 s1, s0
	s_cbranch_execz .LBB246_13
; %bb.3:
	s_load_dword s0, s[4:5], 0x0
	v_lshrrev_b32_e32 v9, 5, v0
	v_lshl_or_b32 v9, s6, 2, v9
	s_waitcnt lgkmcnt(0)
	v_cmp_gt_i32_e32 vcc_lo, s0, v9
	s_and_b32 exec_lo, exec_lo, vcc_lo
	s_cbranch_execz .LBB246_13
; %bb.4:
	s_clause 0x1
	s_load_dwordx2 s[0:1], s[4:5], 0x18
	s_load_dwordx2 s[6:7], s[4:5], 0x48
	v_ashrrev_i32_e32 v10, 31, v9
	v_and_b32_e32 v0, 31, v0
	s_mov_b32 s9, exec_lo
	v_lshlrev_b64 v[11:12], 2, v[9:10]
	v_subrev_nc_u32_e32 v13, s8, v0
	s_waitcnt lgkmcnt(0)
	v_add_co_u32 v11, vcc_lo, s0, v11
	v_add_co_ci_u32_e64 v12, null, s1, v12, vcc_lo
	global_load_dwordx2 v[11:12], v[11:12], off
	s_waitcnt vmcnt(0)
	v_subrev_nc_u32_e32 v20, s8, v12
	v_add_nc_u32_e32 v15, v11, v13
	v_mov_b32_e32 v11, 0
	v_mov_b32_e32 v13, 0
	;; [unrolled: 1-line block ×4, first 2 shown]
	v_cmpx_lt_i32_e64 v15, v20
	s_cbranch_execz .LBB246_8
; %bb.5:
	s_clause 0x1
	s_load_dwordx4 s[0:3], s[4:5], 0x20
	s_load_dwordx2 s[4:5], s[4:5], 0x30
	v_mad_u64_u32 v[17:18], null, v15, 5, 4
	v_mov_b32_e32 v11, 0
	v_mov_b32_e32 v13, 0
	;; [unrolled: 1-line block ×5, first 2 shown]
	s_mov_b32 s10, 0
.LBB246_6:                              ; =>This Inner Loop Header: Depth=1
	v_ashrrev_i32_e32 v16, 31, v15
	v_add_nc_u32_e32 v18, -4, v17
	v_mov_b32_e32 v54, v19
	v_lshlrev_b64 v[21:22], 2, v[15:16]
	v_add_nc_u32_e32 v15, 32, v15
	s_waitcnt lgkmcnt(0)
	v_add_co_u32 v21, vcc_lo, s0, v21
	v_add_co_ci_u32_e64 v22, null, s1, v22, vcc_lo
	global_load_dword v16, v[21:22], off
	v_lshlrev_b64 v[21:22], 4, v[18:19]
	v_add_nc_u32_e32 v18, -3, v17
	v_lshlrev_b64 v[29:30], 4, v[18:19]
	v_add_co_u32 v21, vcc_lo, s2, v21
	v_add_co_ci_u32_e64 v22, null, s3, v22, vcc_lo
	s_waitcnt vmcnt(0)
	v_subrev_nc_u32_e32 v16, s8, v16
	v_lshl_add_u32 v53, v16, 2, v16
	v_lshlrev_b64 v[23:24], 4, v[53:54]
	v_add_nc_u32_e32 v18, 1, v53
	v_lshlrev_b64 v[31:32], 4, v[18:19]
	v_add_co_u32 v25, vcc_lo, s4, v23
	v_add_co_ci_u32_e64 v26, null, s5, v24, vcc_lo
	v_add_co_u32 v29, vcc_lo, s2, v29
	global_load_dwordx4 v[21:24], v[21:22], off
	global_load_dwordx4 v[25:28], v[25:26], off
	v_add_co_ci_u32_e64 v30, null, s3, v30, vcc_lo
	v_add_co_u32 v33, vcc_lo, s4, v31
	v_add_co_ci_u32_e64 v34, null, s5, v32, vcc_lo
	global_load_dwordx4 v[29:32], v[29:30], off
	global_load_dwordx4 v[33:36], v[33:34], off
	v_add_nc_u32_e32 v18, -2, v17
	v_lshlrev_b64 v[37:38], 4, v[18:19]
	v_add_nc_u32_e32 v18, 2, v53
	v_lshlrev_b64 v[39:40], 4, v[18:19]
	v_add_co_u32 v37, vcc_lo, s2, v37
	v_add_co_ci_u32_e64 v38, null, s3, v38, vcc_lo
	v_add_nc_u32_e32 v18, -1, v17
	v_add_co_u32 v41, vcc_lo, s4, v39
	v_add_co_ci_u32_e64 v42, null, s5, v40, vcc_lo
	global_load_dwordx4 v[37:40], v[37:38], off
	global_load_dwordx4 v[41:44], v[41:42], off
	v_lshlrev_b64 v[45:46], 4, v[18:19]
	v_add_nc_u32_e32 v18, 3, v53
	v_lshlrev_b64 v[47:48], 4, v[18:19]
	v_add_co_u32 v45, vcc_lo, s2, v45
	v_add_co_ci_u32_e64 v46, null, s3, v46, vcc_lo
	v_mov_b32_e32 v18, v19
	v_add_co_u32 v49, vcc_lo, s4, v47
	v_add_co_ci_u32_e64 v50, null, s5, v48, vcc_lo
	global_load_dwordx4 v[45:48], v[45:46], off
	global_load_dwordx4 v[49:52], v[49:50], off
	v_lshlrev_b64 v[54:55], 4, v[17:18]
	v_add_nc_u32_e32 v18, 4, v53
	v_add_nc_u32_e32 v17, 0xa0, v17
	v_lshlrev_b64 v[56:57], 4, v[18:19]
	v_add_co_u32 v53, vcc_lo, s2, v54
	v_add_co_ci_u32_e64 v54, null, s3, v55, vcc_lo
	v_add_co_u32 v58, vcc_lo, s4, v56
	v_add_co_ci_u32_e64 v59, null, s5, v57, vcc_lo
	global_load_dwordx4 v[53:56], v[53:54], off
	global_load_dwordx4 v[57:60], v[58:59], off
	v_cmp_ge_i32_e32 vcc_lo, v15, v20
	s_or_b32 s10, vcc_lo, s10
	s_waitcnt vmcnt(8)
	v_fma_f64 v[13:14], v[21:22], v[25:26], v[13:14]
	v_fma_f64 v[11:12], v[23:24], v[25:26], v[11:12]
	v_fma_f64 v[13:14], -v[23:24], v[27:28], v[13:14]
	v_fma_f64 v[11:12], v[21:22], v[27:28], v[11:12]
	s_waitcnt vmcnt(6)
	v_fma_f64 v[13:14], v[29:30], v[33:34], v[13:14]
	v_fma_f64 v[11:12], v[31:32], v[33:34], v[11:12]
	v_fma_f64 v[13:14], -v[31:32], v[35:36], v[13:14]
	v_fma_f64 v[11:12], v[29:30], v[35:36], v[11:12]
	;; [unrolled: 5-line block ×5, first 2 shown]
	s_andn2_b32 exec_lo, exec_lo, s10
	s_cbranch_execnz .LBB246_6
; %bb.7:
	s_or_b32 exec_lo, exec_lo, s10
.LBB246_8:
	s_or_b32 exec_lo, exec_lo, s9
	v_mbcnt_lo_u32_b32 v19, -1, 0
	v_xor_b32_e32 v15, 16, v19
	v_cmp_gt_i32_e32 vcc_lo, 32, v15
	v_cndmask_b32_e32 v15, v19, v15, vcc_lo
	v_lshlrev_b32_e32 v18, 2, v15
	ds_bpermute_b32 v15, v18, v13
	ds_bpermute_b32 v16, v18, v14
	;; [unrolled: 1-line block ×4, first 2 shown]
	s_waitcnt lgkmcnt(2)
	v_add_f64 v[13:14], v[13:14], v[15:16]
	v_xor_b32_e32 v15, 8, v19
	s_waitcnt lgkmcnt(0)
	v_add_f64 v[11:12], v[11:12], v[17:18]
	v_cmp_gt_i32_e32 vcc_lo, 32, v15
	v_cndmask_b32_e32 v15, v19, v15, vcc_lo
	v_lshlrev_b32_e32 v18, 2, v15
	ds_bpermute_b32 v15, v18, v13
	ds_bpermute_b32 v16, v18, v14
	;; [unrolled: 1-line block ×4, first 2 shown]
	s_waitcnt lgkmcnt(2)
	v_add_f64 v[13:14], v[13:14], v[15:16]
	v_xor_b32_e32 v15, 4, v19
	s_waitcnt lgkmcnt(0)
	v_add_f64 v[11:12], v[11:12], v[17:18]
	v_cmp_gt_i32_e32 vcc_lo, 32, v15
	v_cndmask_b32_e32 v15, v19, v15, vcc_lo
	v_lshlrev_b32_e32 v18, 2, v15
	ds_bpermute_b32 v15, v18, v13
	ds_bpermute_b32 v16, v18, v14
	;; [unrolled: 1-line block ×4, first 2 shown]
	s_waitcnt lgkmcnt(2)
	v_add_f64 v[13:14], v[13:14], v[15:16]
	s_waitcnt lgkmcnt(0)
	v_add_f64 v[15:16], v[11:12], v[17:18]
	v_xor_b32_e32 v11, 2, v19
	v_cmp_gt_i32_e32 vcc_lo, 32, v11
	v_cndmask_b32_e32 v11, v19, v11, vcc_lo
	v_lshlrev_b32_e32 v18, 2, v11
	ds_bpermute_b32 v11, v18, v13
	ds_bpermute_b32 v12, v18, v14
	;; [unrolled: 1-line block ×4, first 2 shown]
	s_waitcnt lgkmcnt(2)
	v_add_f64 v[11:12], v[13:14], v[11:12]
	s_waitcnt lgkmcnt(0)
	v_add_f64 v[13:14], v[15:16], v[17:18]
	v_xor_b32_e32 v15, 1, v19
	v_cmp_gt_i32_e32 vcc_lo, 32, v15
	v_cndmask_b32_e32 v15, v19, v15, vcc_lo
	v_cmp_eq_u32_e32 vcc_lo, 31, v0
	v_lshlrev_b32_e32 v18, 2, v15
	ds_bpermute_b32 v15, v18, v11
	ds_bpermute_b32 v16, v18, v12
	;; [unrolled: 1-line block ×4, first 2 shown]
	s_and_b32 exec_lo, exec_lo, vcc_lo
	s_cbranch_execz .LBB246_13
; %bb.9:
	s_waitcnt lgkmcnt(0)
	v_add_f64 v[13:14], v[13:14], v[17:18]
	v_add_f64 v[11:12], v[11:12], v[15:16]
	v_cmp_eq_f64_e32 vcc_lo, 0, v[1:2]
	v_cmp_eq_f64_e64 s0, 0, v[3:4]
	v_lshlrev_b64 v[9:10], 4, v[9:10]
	v_mul_f64 v[15:16], v[13:14], -v[7:8]
	v_mul_f64 v[13:14], v[5:6], v[13:14]
	s_and_b32 s0, vcc_lo, s0
	v_fma_f64 v[5:6], v[5:6], v[11:12], v[15:16]
	v_fma_f64 v[7:8], v[7:8], v[11:12], v[13:14]
	s_and_saveexec_b32 s1, s0
	s_xor_b32 s0, exec_lo, s1
	s_cbranch_execz .LBB246_11
; %bb.10:
	v_add_co_u32 v0, vcc_lo, s6, v9
	v_add_co_ci_u32_e64 v1, null, s7, v10, vcc_lo
                                        ; implicit-def: $vgpr9_vgpr10
	global_store_dwordx4 v[0:1], v[5:8], off
                                        ; implicit-def: $vgpr1_vgpr2
                                        ; implicit-def: $vgpr5_vgpr6
.LBB246_11:
	s_andn2_saveexec_b32 s0, s0
	s_cbranch_execz .LBB246_13
; %bb.12:
	v_add_co_u32 v13, vcc_lo, s6, v9
	v_add_co_ci_u32_e64 v14, null, s7, v10, vcc_lo
	global_load_dwordx4 v[9:12], v[13:14], off
	s_waitcnt vmcnt(0)
	v_fma_f64 v[5:6], v[1:2], v[9:10], v[5:6]
	v_fma_f64 v[7:8], v[3:4], v[9:10], v[7:8]
	v_fma_f64 v[3:4], -v[3:4], v[11:12], v[5:6]
	v_fma_f64 v[5:6], v[1:2], v[11:12], v[7:8]
	global_store_dwordx4 v[13:14], v[3:6], off
.LBB246_13:
	s_endpgm
	.section	.rodata,"a",@progbits
	.p2align	6, 0x0
	.amdhsa_kernel _ZN9rocsparseL19gebsrmvn_1xn_kernelILj128ELj5ELj32E21rocsparse_complex_numIdEEEvi20rocsparse_direction_NS_24const_host_device_scalarIT2_EEPKiS8_PKS5_SA_S6_PS5_21rocsparse_index_base_b
		.amdhsa_group_segment_fixed_size 0
		.amdhsa_private_segment_fixed_size 0
		.amdhsa_kernarg_size 88
		.amdhsa_user_sgpr_count 6
		.amdhsa_user_sgpr_private_segment_buffer 1
		.amdhsa_user_sgpr_dispatch_ptr 0
		.amdhsa_user_sgpr_queue_ptr 0
		.amdhsa_user_sgpr_kernarg_segment_ptr 1
		.amdhsa_user_sgpr_dispatch_id 0
		.amdhsa_user_sgpr_flat_scratch_init 0
		.amdhsa_user_sgpr_private_segment_size 0
		.amdhsa_wavefront_size32 1
		.amdhsa_uses_dynamic_stack 0
		.amdhsa_system_sgpr_private_segment_wavefront_offset 0
		.amdhsa_system_sgpr_workgroup_id_x 1
		.amdhsa_system_sgpr_workgroup_id_y 0
		.amdhsa_system_sgpr_workgroup_id_z 0
		.amdhsa_system_sgpr_workgroup_info 0
		.amdhsa_system_vgpr_workitem_id 0
		.amdhsa_next_free_vgpr 61
		.amdhsa_next_free_sgpr 13
		.amdhsa_reserve_vcc 1
		.amdhsa_reserve_flat_scratch 0
		.amdhsa_float_round_mode_32 0
		.amdhsa_float_round_mode_16_64 0
		.amdhsa_float_denorm_mode_32 3
		.amdhsa_float_denorm_mode_16_64 3
		.amdhsa_dx10_clamp 1
		.amdhsa_ieee_mode 1
		.amdhsa_fp16_overflow 0
		.amdhsa_workgroup_processor_mode 1
		.amdhsa_memory_ordered 1
		.amdhsa_forward_progress 1
		.amdhsa_shared_vgpr_count 0
		.amdhsa_exception_fp_ieee_invalid_op 0
		.amdhsa_exception_fp_denorm_src 0
		.amdhsa_exception_fp_ieee_div_zero 0
		.amdhsa_exception_fp_ieee_overflow 0
		.amdhsa_exception_fp_ieee_underflow 0
		.amdhsa_exception_fp_ieee_inexact 0
		.amdhsa_exception_int_div_zero 0
	.end_amdhsa_kernel
	.section	.text._ZN9rocsparseL19gebsrmvn_1xn_kernelILj128ELj5ELj32E21rocsparse_complex_numIdEEEvi20rocsparse_direction_NS_24const_host_device_scalarIT2_EEPKiS8_PKS5_SA_S6_PS5_21rocsparse_index_base_b,"axG",@progbits,_ZN9rocsparseL19gebsrmvn_1xn_kernelILj128ELj5ELj32E21rocsparse_complex_numIdEEEvi20rocsparse_direction_NS_24const_host_device_scalarIT2_EEPKiS8_PKS5_SA_S6_PS5_21rocsparse_index_base_b,comdat
.Lfunc_end246:
	.size	_ZN9rocsparseL19gebsrmvn_1xn_kernelILj128ELj5ELj32E21rocsparse_complex_numIdEEEvi20rocsparse_direction_NS_24const_host_device_scalarIT2_EEPKiS8_PKS5_SA_S6_PS5_21rocsparse_index_base_b, .Lfunc_end246-_ZN9rocsparseL19gebsrmvn_1xn_kernelILj128ELj5ELj32E21rocsparse_complex_numIdEEEvi20rocsparse_direction_NS_24const_host_device_scalarIT2_EEPKiS8_PKS5_SA_S6_PS5_21rocsparse_index_base_b
                                        ; -- End function
	.set _ZN9rocsparseL19gebsrmvn_1xn_kernelILj128ELj5ELj32E21rocsparse_complex_numIdEEEvi20rocsparse_direction_NS_24const_host_device_scalarIT2_EEPKiS8_PKS5_SA_S6_PS5_21rocsparse_index_base_b.num_vgpr, 61
	.set _ZN9rocsparseL19gebsrmvn_1xn_kernelILj128ELj5ELj32E21rocsparse_complex_numIdEEEvi20rocsparse_direction_NS_24const_host_device_scalarIT2_EEPKiS8_PKS5_SA_S6_PS5_21rocsparse_index_base_b.num_agpr, 0
	.set _ZN9rocsparseL19gebsrmvn_1xn_kernelILj128ELj5ELj32E21rocsparse_complex_numIdEEEvi20rocsparse_direction_NS_24const_host_device_scalarIT2_EEPKiS8_PKS5_SA_S6_PS5_21rocsparse_index_base_b.numbered_sgpr, 13
	.set _ZN9rocsparseL19gebsrmvn_1xn_kernelILj128ELj5ELj32E21rocsparse_complex_numIdEEEvi20rocsparse_direction_NS_24const_host_device_scalarIT2_EEPKiS8_PKS5_SA_S6_PS5_21rocsparse_index_base_b.num_named_barrier, 0
	.set _ZN9rocsparseL19gebsrmvn_1xn_kernelILj128ELj5ELj32E21rocsparse_complex_numIdEEEvi20rocsparse_direction_NS_24const_host_device_scalarIT2_EEPKiS8_PKS5_SA_S6_PS5_21rocsparse_index_base_b.private_seg_size, 0
	.set _ZN9rocsparseL19gebsrmvn_1xn_kernelILj128ELj5ELj32E21rocsparse_complex_numIdEEEvi20rocsparse_direction_NS_24const_host_device_scalarIT2_EEPKiS8_PKS5_SA_S6_PS5_21rocsparse_index_base_b.uses_vcc, 1
	.set _ZN9rocsparseL19gebsrmvn_1xn_kernelILj128ELj5ELj32E21rocsparse_complex_numIdEEEvi20rocsparse_direction_NS_24const_host_device_scalarIT2_EEPKiS8_PKS5_SA_S6_PS5_21rocsparse_index_base_b.uses_flat_scratch, 0
	.set _ZN9rocsparseL19gebsrmvn_1xn_kernelILj128ELj5ELj32E21rocsparse_complex_numIdEEEvi20rocsparse_direction_NS_24const_host_device_scalarIT2_EEPKiS8_PKS5_SA_S6_PS5_21rocsparse_index_base_b.has_dyn_sized_stack, 0
	.set _ZN9rocsparseL19gebsrmvn_1xn_kernelILj128ELj5ELj32E21rocsparse_complex_numIdEEEvi20rocsparse_direction_NS_24const_host_device_scalarIT2_EEPKiS8_PKS5_SA_S6_PS5_21rocsparse_index_base_b.has_recursion, 0
	.set _ZN9rocsparseL19gebsrmvn_1xn_kernelILj128ELj5ELj32E21rocsparse_complex_numIdEEEvi20rocsparse_direction_NS_24const_host_device_scalarIT2_EEPKiS8_PKS5_SA_S6_PS5_21rocsparse_index_base_b.has_indirect_call, 0
	.section	.AMDGPU.csdata,"",@progbits
; Kernel info:
; codeLenInByte = 1548
; TotalNumSgprs: 15
; NumVgprs: 61
; ScratchSize: 0
; MemoryBound: 0
; FloatMode: 240
; IeeeMode: 1
; LDSByteSize: 0 bytes/workgroup (compile time only)
; SGPRBlocks: 0
; VGPRBlocks: 7
; NumSGPRsForWavesPerEU: 15
; NumVGPRsForWavesPerEU: 61
; Occupancy: 16
; WaveLimiterHint : 1
; COMPUTE_PGM_RSRC2:SCRATCH_EN: 0
; COMPUTE_PGM_RSRC2:USER_SGPR: 6
; COMPUTE_PGM_RSRC2:TRAP_HANDLER: 0
; COMPUTE_PGM_RSRC2:TGID_X_EN: 1
; COMPUTE_PGM_RSRC2:TGID_Y_EN: 0
; COMPUTE_PGM_RSRC2:TGID_Z_EN: 0
; COMPUTE_PGM_RSRC2:TIDIG_COMP_CNT: 0
	.section	.text._ZN9rocsparseL19gebsrmvn_1xn_kernelILj128ELj5ELj64E21rocsparse_complex_numIdEEEvi20rocsparse_direction_NS_24const_host_device_scalarIT2_EEPKiS8_PKS5_SA_S6_PS5_21rocsparse_index_base_b,"axG",@progbits,_ZN9rocsparseL19gebsrmvn_1xn_kernelILj128ELj5ELj64E21rocsparse_complex_numIdEEEvi20rocsparse_direction_NS_24const_host_device_scalarIT2_EEPKiS8_PKS5_SA_S6_PS5_21rocsparse_index_base_b,comdat
	.globl	_ZN9rocsparseL19gebsrmvn_1xn_kernelILj128ELj5ELj64E21rocsparse_complex_numIdEEEvi20rocsparse_direction_NS_24const_host_device_scalarIT2_EEPKiS8_PKS5_SA_S6_PS5_21rocsparse_index_base_b ; -- Begin function _ZN9rocsparseL19gebsrmvn_1xn_kernelILj128ELj5ELj64E21rocsparse_complex_numIdEEEvi20rocsparse_direction_NS_24const_host_device_scalarIT2_EEPKiS8_PKS5_SA_S6_PS5_21rocsparse_index_base_b
	.p2align	8
	.type	_ZN9rocsparseL19gebsrmvn_1xn_kernelILj128ELj5ELj64E21rocsparse_complex_numIdEEEvi20rocsparse_direction_NS_24const_host_device_scalarIT2_EEPKiS8_PKS5_SA_S6_PS5_21rocsparse_index_base_b,@function
_ZN9rocsparseL19gebsrmvn_1xn_kernelILj128ELj5ELj64E21rocsparse_complex_numIdEEEvi20rocsparse_direction_NS_24const_host_device_scalarIT2_EEPKiS8_PKS5_SA_S6_PS5_21rocsparse_index_base_b: ; @_ZN9rocsparseL19gebsrmvn_1xn_kernelILj128ELj5ELj64E21rocsparse_complex_numIdEEEvi20rocsparse_direction_NS_24const_host_device_scalarIT2_EEPKiS8_PKS5_SA_S6_PS5_21rocsparse_index_base_b
; %bb.0:
	s_clause 0x1
	s_load_dwordx2 s[8:9], s[4:5], 0x50
	s_load_dwordx2 s[0:1], s[4:5], 0x8
	s_add_u32 s7, s4, 8
	s_addc_u32 s10, s5, 0
	s_add_u32 s11, s4, 56
	s_addc_u32 s12, s5, 0
	s_load_dwordx2 s[2:3], s[4:5], 0x38
	s_waitcnt lgkmcnt(0)
	s_bitcmp1_b32 s9, 0
	s_cselect_b32 s0, s7, s0
	s_cselect_b32 s1, s10, s1
	v_mov_b32_e32 v1, s0
	v_mov_b32_e32 v2, s1
	s_cselect_b32 s0, s11, s2
	s_cselect_b32 s1, s12, s3
	flat_load_dwordx4 v[5:8], v[1:2]
	v_mov_b32_e32 v1, s0
	v_mov_b32_e32 v2, s1
	flat_load_dwordx4 v[1:4], v[1:2]
	s_waitcnt vmcnt(1) lgkmcnt(1)
	v_cmp_eq_f64_e32 vcc_lo, 0, v[5:6]
	v_cmp_eq_f64_e64 s0, 0, v[7:8]
	s_and_b32 s2, vcc_lo, s0
	s_mov_b32 s0, -1
	s_and_saveexec_b32 s1, s2
	s_cbranch_execz .LBB247_2
; %bb.1:
	s_waitcnt vmcnt(0) lgkmcnt(0)
	v_cmp_neq_f64_e32 vcc_lo, 1.0, v[1:2]
	v_cmp_neq_f64_e64 s0, 0, v[3:4]
	s_or_b32 s0, vcc_lo, s0
	s_orn2_b32 s0, s0, exec_lo
.LBB247_2:
	s_or_b32 exec_lo, exec_lo, s1
	s_and_saveexec_b32 s1, s0
	s_cbranch_execz .LBB247_13
; %bb.3:
	s_load_dword s0, s[4:5], 0x0
	v_lshrrev_b32_e32 v9, 6, v0
	v_lshl_or_b32 v9, s6, 1, v9
	s_waitcnt lgkmcnt(0)
	v_cmp_gt_i32_e32 vcc_lo, s0, v9
	s_and_b32 exec_lo, exec_lo, vcc_lo
	s_cbranch_execz .LBB247_13
; %bb.4:
	s_clause 0x1
	s_load_dwordx2 s[0:1], s[4:5], 0x18
	s_load_dwordx2 s[6:7], s[4:5], 0x48
	v_ashrrev_i32_e32 v10, 31, v9
	v_and_b32_e32 v0, 63, v0
	s_mov_b32 s9, exec_lo
	v_lshlrev_b64 v[11:12], 2, v[9:10]
	v_subrev_nc_u32_e32 v13, s8, v0
	s_waitcnt lgkmcnt(0)
	v_add_co_u32 v11, vcc_lo, s0, v11
	v_add_co_ci_u32_e64 v12, null, s1, v12, vcc_lo
	global_load_dwordx2 v[11:12], v[11:12], off
	s_waitcnt vmcnt(0)
	v_subrev_nc_u32_e32 v20, s8, v12
	v_add_nc_u32_e32 v15, v11, v13
	v_mov_b32_e32 v11, 0
	v_mov_b32_e32 v13, 0
	v_mov_b32_e32 v12, 0
	v_mov_b32_e32 v14, 0
	v_cmpx_lt_i32_e64 v15, v20
	s_cbranch_execz .LBB247_8
; %bb.5:
	s_clause 0x1
	s_load_dwordx4 s[0:3], s[4:5], 0x20
	s_load_dwordx2 s[4:5], s[4:5], 0x30
	v_mad_u64_u32 v[17:18], null, v15, 5, 4
	v_mov_b32_e32 v11, 0
	v_mov_b32_e32 v13, 0
	;; [unrolled: 1-line block ×5, first 2 shown]
	s_mov_b32 s10, 0
.LBB247_6:                              ; =>This Inner Loop Header: Depth=1
	v_ashrrev_i32_e32 v16, 31, v15
	v_add_nc_u32_e32 v18, -4, v17
	v_mov_b32_e32 v54, v19
	v_lshlrev_b64 v[21:22], 2, v[15:16]
	v_add_nc_u32_e32 v15, 64, v15
	s_waitcnt lgkmcnt(0)
	v_add_co_u32 v21, vcc_lo, s0, v21
	v_add_co_ci_u32_e64 v22, null, s1, v22, vcc_lo
	global_load_dword v16, v[21:22], off
	v_lshlrev_b64 v[21:22], 4, v[18:19]
	v_add_nc_u32_e32 v18, -3, v17
	v_lshlrev_b64 v[29:30], 4, v[18:19]
	v_add_co_u32 v21, vcc_lo, s2, v21
	v_add_co_ci_u32_e64 v22, null, s3, v22, vcc_lo
	s_waitcnt vmcnt(0)
	v_subrev_nc_u32_e32 v16, s8, v16
	v_lshl_add_u32 v53, v16, 2, v16
	v_lshlrev_b64 v[23:24], 4, v[53:54]
	v_add_nc_u32_e32 v18, 1, v53
	v_lshlrev_b64 v[31:32], 4, v[18:19]
	v_add_co_u32 v25, vcc_lo, s4, v23
	v_add_co_ci_u32_e64 v26, null, s5, v24, vcc_lo
	v_add_co_u32 v29, vcc_lo, s2, v29
	global_load_dwordx4 v[21:24], v[21:22], off
	global_load_dwordx4 v[25:28], v[25:26], off
	v_add_co_ci_u32_e64 v30, null, s3, v30, vcc_lo
	v_add_co_u32 v33, vcc_lo, s4, v31
	v_add_co_ci_u32_e64 v34, null, s5, v32, vcc_lo
	global_load_dwordx4 v[29:32], v[29:30], off
	global_load_dwordx4 v[33:36], v[33:34], off
	v_add_nc_u32_e32 v18, -2, v17
	v_lshlrev_b64 v[37:38], 4, v[18:19]
	v_add_nc_u32_e32 v18, 2, v53
	v_lshlrev_b64 v[39:40], 4, v[18:19]
	v_add_co_u32 v37, vcc_lo, s2, v37
	v_add_co_ci_u32_e64 v38, null, s3, v38, vcc_lo
	v_add_nc_u32_e32 v18, -1, v17
	v_add_co_u32 v41, vcc_lo, s4, v39
	v_add_co_ci_u32_e64 v42, null, s5, v40, vcc_lo
	global_load_dwordx4 v[37:40], v[37:38], off
	global_load_dwordx4 v[41:44], v[41:42], off
	v_lshlrev_b64 v[45:46], 4, v[18:19]
	v_add_nc_u32_e32 v18, 3, v53
	v_lshlrev_b64 v[47:48], 4, v[18:19]
	v_add_co_u32 v45, vcc_lo, s2, v45
	v_add_co_ci_u32_e64 v46, null, s3, v46, vcc_lo
	v_mov_b32_e32 v18, v19
	v_add_co_u32 v49, vcc_lo, s4, v47
	v_add_co_ci_u32_e64 v50, null, s5, v48, vcc_lo
	global_load_dwordx4 v[45:48], v[45:46], off
	global_load_dwordx4 v[49:52], v[49:50], off
	v_lshlrev_b64 v[54:55], 4, v[17:18]
	v_add_nc_u32_e32 v18, 4, v53
	v_add_nc_u32_e32 v17, 0x140, v17
	v_lshlrev_b64 v[56:57], 4, v[18:19]
	v_add_co_u32 v53, vcc_lo, s2, v54
	v_add_co_ci_u32_e64 v54, null, s3, v55, vcc_lo
	v_add_co_u32 v58, vcc_lo, s4, v56
	v_add_co_ci_u32_e64 v59, null, s5, v57, vcc_lo
	global_load_dwordx4 v[53:56], v[53:54], off
	global_load_dwordx4 v[57:60], v[58:59], off
	v_cmp_ge_i32_e32 vcc_lo, v15, v20
	s_or_b32 s10, vcc_lo, s10
	s_waitcnt vmcnt(8)
	v_fma_f64 v[13:14], v[21:22], v[25:26], v[13:14]
	v_fma_f64 v[11:12], v[23:24], v[25:26], v[11:12]
	v_fma_f64 v[13:14], -v[23:24], v[27:28], v[13:14]
	v_fma_f64 v[11:12], v[21:22], v[27:28], v[11:12]
	s_waitcnt vmcnt(6)
	v_fma_f64 v[13:14], v[29:30], v[33:34], v[13:14]
	v_fma_f64 v[11:12], v[31:32], v[33:34], v[11:12]
	v_fma_f64 v[13:14], -v[31:32], v[35:36], v[13:14]
	v_fma_f64 v[11:12], v[29:30], v[35:36], v[11:12]
	;; [unrolled: 5-line block ×5, first 2 shown]
	s_andn2_b32 exec_lo, exec_lo, s10
	s_cbranch_execnz .LBB247_6
; %bb.7:
	s_or_b32 exec_lo, exec_lo, s10
.LBB247_8:
	s_or_b32 exec_lo, exec_lo, s9
	v_mbcnt_lo_u32_b32 v19, -1, 0
	v_or_b32_e32 v15, 32, v19
	v_cmp_gt_i32_e32 vcc_lo, 32, v15
	v_cndmask_b32_e32 v15, v19, v15, vcc_lo
	v_lshlrev_b32_e32 v18, 2, v15
	ds_bpermute_b32 v15, v18, v13
	ds_bpermute_b32 v16, v18, v14
	ds_bpermute_b32 v17, v18, v11
	ds_bpermute_b32 v18, v18, v12
	s_waitcnt lgkmcnt(2)
	v_add_f64 v[13:14], v[13:14], v[15:16]
	v_xor_b32_e32 v15, 16, v19
	s_waitcnt lgkmcnt(0)
	v_add_f64 v[11:12], v[11:12], v[17:18]
	v_cmp_gt_i32_e32 vcc_lo, 32, v15
	v_cndmask_b32_e32 v15, v19, v15, vcc_lo
	v_lshlrev_b32_e32 v18, 2, v15
	ds_bpermute_b32 v15, v18, v13
	ds_bpermute_b32 v16, v18, v14
	ds_bpermute_b32 v17, v18, v11
	ds_bpermute_b32 v18, v18, v12
	s_waitcnt lgkmcnt(2)
	v_add_f64 v[13:14], v[13:14], v[15:16]
	v_xor_b32_e32 v15, 8, v19
	s_waitcnt lgkmcnt(0)
	v_add_f64 v[11:12], v[11:12], v[17:18]
	v_cmp_gt_i32_e32 vcc_lo, 32, v15
	v_cndmask_b32_e32 v15, v19, v15, vcc_lo
	v_lshlrev_b32_e32 v18, 2, v15
	ds_bpermute_b32 v15, v18, v13
	ds_bpermute_b32 v16, v18, v14
	ds_bpermute_b32 v17, v18, v11
	ds_bpermute_b32 v18, v18, v12
	s_waitcnt lgkmcnt(2)
	v_add_f64 v[13:14], v[13:14], v[15:16]
	v_xor_b32_e32 v15, 4, v19
	s_waitcnt lgkmcnt(0)
	v_add_f64 v[11:12], v[11:12], v[17:18]
	v_cmp_gt_i32_e32 vcc_lo, 32, v15
	v_cndmask_b32_e32 v15, v19, v15, vcc_lo
	v_lshlrev_b32_e32 v18, 2, v15
	ds_bpermute_b32 v15, v18, v13
	ds_bpermute_b32 v16, v18, v14
	;; [unrolled: 1-line block ×4, first 2 shown]
	s_waitcnt lgkmcnt(2)
	v_add_f64 v[13:14], v[13:14], v[15:16]
	s_waitcnt lgkmcnt(0)
	v_add_f64 v[15:16], v[11:12], v[17:18]
	v_xor_b32_e32 v11, 2, v19
	v_cmp_gt_i32_e32 vcc_lo, 32, v11
	v_cndmask_b32_e32 v11, v19, v11, vcc_lo
	v_lshlrev_b32_e32 v18, 2, v11
	ds_bpermute_b32 v11, v18, v13
	ds_bpermute_b32 v12, v18, v14
	;; [unrolled: 1-line block ×4, first 2 shown]
	s_waitcnt lgkmcnt(2)
	v_add_f64 v[11:12], v[13:14], v[11:12]
	s_waitcnt lgkmcnt(0)
	v_add_f64 v[13:14], v[15:16], v[17:18]
	v_xor_b32_e32 v15, 1, v19
	v_cmp_gt_i32_e32 vcc_lo, 32, v15
	v_cndmask_b32_e32 v15, v19, v15, vcc_lo
	v_cmp_eq_u32_e32 vcc_lo, 63, v0
	v_lshlrev_b32_e32 v18, 2, v15
	ds_bpermute_b32 v15, v18, v11
	ds_bpermute_b32 v16, v18, v12
	;; [unrolled: 1-line block ×4, first 2 shown]
	s_and_b32 exec_lo, exec_lo, vcc_lo
	s_cbranch_execz .LBB247_13
; %bb.9:
	s_waitcnt lgkmcnt(0)
	v_add_f64 v[13:14], v[13:14], v[17:18]
	v_add_f64 v[11:12], v[11:12], v[15:16]
	v_cmp_eq_f64_e32 vcc_lo, 0, v[1:2]
	v_cmp_eq_f64_e64 s0, 0, v[3:4]
	v_lshlrev_b64 v[9:10], 4, v[9:10]
	v_mul_f64 v[15:16], v[13:14], -v[7:8]
	v_mul_f64 v[13:14], v[5:6], v[13:14]
	s_and_b32 s0, vcc_lo, s0
	v_fma_f64 v[5:6], v[5:6], v[11:12], v[15:16]
	v_fma_f64 v[7:8], v[7:8], v[11:12], v[13:14]
	s_and_saveexec_b32 s1, s0
	s_xor_b32 s0, exec_lo, s1
	s_cbranch_execz .LBB247_11
; %bb.10:
	v_add_co_u32 v0, vcc_lo, s6, v9
	v_add_co_ci_u32_e64 v1, null, s7, v10, vcc_lo
                                        ; implicit-def: $vgpr9_vgpr10
	global_store_dwordx4 v[0:1], v[5:8], off
                                        ; implicit-def: $vgpr1_vgpr2
                                        ; implicit-def: $vgpr5_vgpr6
.LBB247_11:
	s_andn2_saveexec_b32 s0, s0
	s_cbranch_execz .LBB247_13
; %bb.12:
	v_add_co_u32 v13, vcc_lo, s6, v9
	v_add_co_ci_u32_e64 v14, null, s7, v10, vcc_lo
	global_load_dwordx4 v[9:12], v[13:14], off
	s_waitcnt vmcnt(0)
	v_fma_f64 v[5:6], v[1:2], v[9:10], v[5:6]
	v_fma_f64 v[7:8], v[3:4], v[9:10], v[7:8]
	v_fma_f64 v[3:4], -v[3:4], v[11:12], v[5:6]
	v_fma_f64 v[5:6], v[1:2], v[11:12], v[7:8]
	global_store_dwordx4 v[13:14], v[3:6], off
.LBB247_13:
	s_endpgm
	.section	.rodata,"a",@progbits
	.p2align	6, 0x0
	.amdhsa_kernel _ZN9rocsparseL19gebsrmvn_1xn_kernelILj128ELj5ELj64E21rocsparse_complex_numIdEEEvi20rocsparse_direction_NS_24const_host_device_scalarIT2_EEPKiS8_PKS5_SA_S6_PS5_21rocsparse_index_base_b
		.amdhsa_group_segment_fixed_size 0
		.amdhsa_private_segment_fixed_size 0
		.amdhsa_kernarg_size 88
		.amdhsa_user_sgpr_count 6
		.amdhsa_user_sgpr_private_segment_buffer 1
		.amdhsa_user_sgpr_dispatch_ptr 0
		.amdhsa_user_sgpr_queue_ptr 0
		.amdhsa_user_sgpr_kernarg_segment_ptr 1
		.amdhsa_user_sgpr_dispatch_id 0
		.amdhsa_user_sgpr_flat_scratch_init 0
		.amdhsa_user_sgpr_private_segment_size 0
		.amdhsa_wavefront_size32 1
		.amdhsa_uses_dynamic_stack 0
		.amdhsa_system_sgpr_private_segment_wavefront_offset 0
		.amdhsa_system_sgpr_workgroup_id_x 1
		.amdhsa_system_sgpr_workgroup_id_y 0
		.amdhsa_system_sgpr_workgroup_id_z 0
		.amdhsa_system_sgpr_workgroup_info 0
		.amdhsa_system_vgpr_workitem_id 0
		.amdhsa_next_free_vgpr 61
		.amdhsa_next_free_sgpr 13
		.amdhsa_reserve_vcc 1
		.amdhsa_reserve_flat_scratch 0
		.amdhsa_float_round_mode_32 0
		.amdhsa_float_round_mode_16_64 0
		.amdhsa_float_denorm_mode_32 3
		.amdhsa_float_denorm_mode_16_64 3
		.amdhsa_dx10_clamp 1
		.amdhsa_ieee_mode 1
		.amdhsa_fp16_overflow 0
		.amdhsa_workgroup_processor_mode 1
		.amdhsa_memory_ordered 1
		.amdhsa_forward_progress 1
		.amdhsa_shared_vgpr_count 0
		.amdhsa_exception_fp_ieee_invalid_op 0
		.amdhsa_exception_fp_denorm_src 0
		.amdhsa_exception_fp_ieee_div_zero 0
		.amdhsa_exception_fp_ieee_overflow 0
		.amdhsa_exception_fp_ieee_underflow 0
		.amdhsa_exception_fp_ieee_inexact 0
		.amdhsa_exception_int_div_zero 0
	.end_amdhsa_kernel
	.section	.text._ZN9rocsparseL19gebsrmvn_1xn_kernelILj128ELj5ELj64E21rocsparse_complex_numIdEEEvi20rocsparse_direction_NS_24const_host_device_scalarIT2_EEPKiS8_PKS5_SA_S6_PS5_21rocsparse_index_base_b,"axG",@progbits,_ZN9rocsparseL19gebsrmvn_1xn_kernelILj128ELj5ELj64E21rocsparse_complex_numIdEEEvi20rocsparse_direction_NS_24const_host_device_scalarIT2_EEPKiS8_PKS5_SA_S6_PS5_21rocsparse_index_base_b,comdat
.Lfunc_end247:
	.size	_ZN9rocsparseL19gebsrmvn_1xn_kernelILj128ELj5ELj64E21rocsparse_complex_numIdEEEvi20rocsparse_direction_NS_24const_host_device_scalarIT2_EEPKiS8_PKS5_SA_S6_PS5_21rocsparse_index_base_b, .Lfunc_end247-_ZN9rocsparseL19gebsrmvn_1xn_kernelILj128ELj5ELj64E21rocsparse_complex_numIdEEEvi20rocsparse_direction_NS_24const_host_device_scalarIT2_EEPKiS8_PKS5_SA_S6_PS5_21rocsparse_index_base_b
                                        ; -- End function
	.set _ZN9rocsparseL19gebsrmvn_1xn_kernelILj128ELj5ELj64E21rocsparse_complex_numIdEEEvi20rocsparse_direction_NS_24const_host_device_scalarIT2_EEPKiS8_PKS5_SA_S6_PS5_21rocsparse_index_base_b.num_vgpr, 61
	.set _ZN9rocsparseL19gebsrmvn_1xn_kernelILj128ELj5ELj64E21rocsparse_complex_numIdEEEvi20rocsparse_direction_NS_24const_host_device_scalarIT2_EEPKiS8_PKS5_SA_S6_PS5_21rocsparse_index_base_b.num_agpr, 0
	.set _ZN9rocsparseL19gebsrmvn_1xn_kernelILj128ELj5ELj64E21rocsparse_complex_numIdEEEvi20rocsparse_direction_NS_24const_host_device_scalarIT2_EEPKiS8_PKS5_SA_S6_PS5_21rocsparse_index_base_b.numbered_sgpr, 13
	.set _ZN9rocsparseL19gebsrmvn_1xn_kernelILj128ELj5ELj64E21rocsparse_complex_numIdEEEvi20rocsparse_direction_NS_24const_host_device_scalarIT2_EEPKiS8_PKS5_SA_S6_PS5_21rocsparse_index_base_b.num_named_barrier, 0
	.set _ZN9rocsparseL19gebsrmvn_1xn_kernelILj128ELj5ELj64E21rocsparse_complex_numIdEEEvi20rocsparse_direction_NS_24const_host_device_scalarIT2_EEPKiS8_PKS5_SA_S6_PS5_21rocsparse_index_base_b.private_seg_size, 0
	.set _ZN9rocsparseL19gebsrmvn_1xn_kernelILj128ELj5ELj64E21rocsparse_complex_numIdEEEvi20rocsparse_direction_NS_24const_host_device_scalarIT2_EEPKiS8_PKS5_SA_S6_PS5_21rocsparse_index_base_b.uses_vcc, 1
	.set _ZN9rocsparseL19gebsrmvn_1xn_kernelILj128ELj5ELj64E21rocsparse_complex_numIdEEEvi20rocsparse_direction_NS_24const_host_device_scalarIT2_EEPKiS8_PKS5_SA_S6_PS5_21rocsparse_index_base_b.uses_flat_scratch, 0
	.set _ZN9rocsparseL19gebsrmvn_1xn_kernelILj128ELj5ELj64E21rocsparse_complex_numIdEEEvi20rocsparse_direction_NS_24const_host_device_scalarIT2_EEPKiS8_PKS5_SA_S6_PS5_21rocsparse_index_base_b.has_dyn_sized_stack, 0
	.set _ZN9rocsparseL19gebsrmvn_1xn_kernelILj128ELj5ELj64E21rocsparse_complex_numIdEEEvi20rocsparse_direction_NS_24const_host_device_scalarIT2_EEPKiS8_PKS5_SA_S6_PS5_21rocsparse_index_base_b.has_recursion, 0
	.set _ZN9rocsparseL19gebsrmvn_1xn_kernelILj128ELj5ELj64E21rocsparse_complex_numIdEEEvi20rocsparse_direction_NS_24const_host_device_scalarIT2_EEPKiS8_PKS5_SA_S6_PS5_21rocsparse_index_base_b.has_indirect_call, 0
	.section	.AMDGPU.csdata,"",@progbits
; Kernel info:
; codeLenInByte = 1620
; TotalNumSgprs: 15
; NumVgprs: 61
; ScratchSize: 0
; MemoryBound: 0
; FloatMode: 240
; IeeeMode: 1
; LDSByteSize: 0 bytes/workgroup (compile time only)
; SGPRBlocks: 0
; VGPRBlocks: 7
; NumSGPRsForWavesPerEU: 15
; NumVGPRsForWavesPerEU: 61
; Occupancy: 16
; WaveLimiterHint : 1
; COMPUTE_PGM_RSRC2:SCRATCH_EN: 0
; COMPUTE_PGM_RSRC2:USER_SGPR: 6
; COMPUTE_PGM_RSRC2:TRAP_HANDLER: 0
; COMPUTE_PGM_RSRC2:TGID_X_EN: 1
; COMPUTE_PGM_RSRC2:TGID_Y_EN: 0
; COMPUTE_PGM_RSRC2:TGID_Z_EN: 0
; COMPUTE_PGM_RSRC2:TIDIG_COMP_CNT: 0
	.section	.text._ZN9rocsparseL19gebsrmvn_1xn_kernelILj128ELj6ELj4E21rocsparse_complex_numIdEEEvi20rocsparse_direction_NS_24const_host_device_scalarIT2_EEPKiS8_PKS5_SA_S6_PS5_21rocsparse_index_base_b,"axG",@progbits,_ZN9rocsparseL19gebsrmvn_1xn_kernelILj128ELj6ELj4E21rocsparse_complex_numIdEEEvi20rocsparse_direction_NS_24const_host_device_scalarIT2_EEPKiS8_PKS5_SA_S6_PS5_21rocsparse_index_base_b,comdat
	.globl	_ZN9rocsparseL19gebsrmvn_1xn_kernelILj128ELj6ELj4E21rocsparse_complex_numIdEEEvi20rocsparse_direction_NS_24const_host_device_scalarIT2_EEPKiS8_PKS5_SA_S6_PS5_21rocsparse_index_base_b ; -- Begin function _ZN9rocsparseL19gebsrmvn_1xn_kernelILj128ELj6ELj4E21rocsparse_complex_numIdEEEvi20rocsparse_direction_NS_24const_host_device_scalarIT2_EEPKiS8_PKS5_SA_S6_PS5_21rocsparse_index_base_b
	.p2align	8
	.type	_ZN9rocsparseL19gebsrmvn_1xn_kernelILj128ELj6ELj4E21rocsparse_complex_numIdEEEvi20rocsparse_direction_NS_24const_host_device_scalarIT2_EEPKiS8_PKS5_SA_S6_PS5_21rocsparse_index_base_b,@function
_ZN9rocsparseL19gebsrmvn_1xn_kernelILj128ELj6ELj4E21rocsparse_complex_numIdEEEvi20rocsparse_direction_NS_24const_host_device_scalarIT2_EEPKiS8_PKS5_SA_S6_PS5_21rocsparse_index_base_b: ; @_ZN9rocsparseL19gebsrmvn_1xn_kernelILj128ELj6ELj4E21rocsparse_complex_numIdEEEvi20rocsparse_direction_NS_24const_host_device_scalarIT2_EEPKiS8_PKS5_SA_S6_PS5_21rocsparse_index_base_b
; %bb.0:
	s_clause 0x1
	s_load_dwordx2 s[8:9], s[4:5], 0x50
	s_load_dwordx2 s[0:1], s[4:5], 0x8
	s_add_u32 s7, s4, 8
	s_addc_u32 s10, s5, 0
	s_add_u32 s11, s4, 56
	s_addc_u32 s12, s5, 0
	s_load_dwordx2 s[2:3], s[4:5], 0x38
	s_waitcnt lgkmcnt(0)
	s_bitcmp1_b32 s9, 0
	s_cselect_b32 s0, s7, s0
	s_cselect_b32 s1, s10, s1
	v_mov_b32_e32 v1, s0
	v_mov_b32_e32 v2, s1
	s_cselect_b32 s0, s11, s2
	s_cselect_b32 s1, s12, s3
	flat_load_dwordx4 v[5:8], v[1:2]
	v_mov_b32_e32 v1, s0
	v_mov_b32_e32 v2, s1
	flat_load_dwordx4 v[1:4], v[1:2]
	s_waitcnt vmcnt(1) lgkmcnt(1)
	v_cmp_eq_f64_e32 vcc_lo, 0, v[5:6]
	v_cmp_eq_f64_e64 s0, 0, v[7:8]
	s_and_b32 s2, vcc_lo, s0
	s_mov_b32 s0, -1
	s_and_saveexec_b32 s1, s2
	s_cbranch_execz .LBB248_2
; %bb.1:
	s_waitcnt vmcnt(0) lgkmcnt(0)
	v_cmp_neq_f64_e32 vcc_lo, 1.0, v[1:2]
	v_cmp_neq_f64_e64 s0, 0, v[3:4]
	s_or_b32 s0, vcc_lo, s0
	s_orn2_b32 s0, s0, exec_lo
.LBB248_2:
	s_or_b32 exec_lo, exec_lo, s1
	s_and_saveexec_b32 s1, s0
	s_cbranch_execz .LBB248_13
; %bb.3:
	s_load_dword s0, s[4:5], 0x0
	v_lshrrev_b32_e32 v9, 2, v0
	v_lshl_or_b32 v9, s6, 5, v9
	s_waitcnt lgkmcnt(0)
	v_cmp_gt_i32_e32 vcc_lo, s0, v9
	s_and_b32 exec_lo, exec_lo, vcc_lo
	s_cbranch_execz .LBB248_13
; %bb.4:
	s_clause 0x1
	s_load_dwordx2 s[0:1], s[4:5], 0x18
	s_load_dwordx2 s[6:7], s[4:5], 0x48
	v_ashrrev_i32_e32 v10, 31, v9
	v_and_b32_e32 v0, 3, v0
	v_mov_b32_e32 v17, 0
	v_mov_b32_e32 v18, 0
	s_mov_b32 s9, exec_lo
	v_lshlrev_b64 v[11:12], 2, v[9:10]
	v_subrev_nc_u32_e32 v13, s8, v0
	s_waitcnt lgkmcnt(0)
	v_add_co_u32 v11, vcc_lo, s0, v11
	v_add_co_ci_u32_e64 v12, null, s1, v12, vcc_lo
	global_load_dwordx2 v[11:12], v[11:12], off
	s_waitcnt vmcnt(0)
	v_add_nc_u32_e32 v11, v11, v13
	v_mov_b32_e32 v13, 0
	v_subrev_nc_u32_e32 v21, s8, v12
	v_mov_b32_e32 v14, 0
	v_cmpx_lt_i32_e64 v11, v21
	s_cbranch_execz .LBB248_8
; %bb.5:
	s_clause 0x1
	s_load_dwordx4 s[0:3], s[4:5], 0x20
	s_load_dwordx2 s[4:5], s[4:5], 0x30
	v_mad_u64_u32 v[15:16], null, v11, 6, 5
	v_mov_b32_e32 v13, 0
	v_mov_b32_e32 v17, 0
	;; [unrolled: 1-line block ×5, first 2 shown]
	s_mov_b32 s10, 0
.LBB248_6:                              ; =>This Inner Loop Header: Depth=1
	v_ashrrev_i32_e32 v12, 31, v11
	v_add_nc_u32_e32 v19, -5, v15
	v_mov_b32_e32 v55, v20
	v_mov_b32_e32 v16, v20
	v_lshlrev_b64 v[22:23], 2, v[11:12]
	v_add_nc_u32_e32 v11, 4, v11
	v_lshlrev_b64 v[66:67], 4, v[15:16]
	s_waitcnt lgkmcnt(0)
	v_add_co_u32 v22, vcc_lo, s0, v22
	v_add_co_ci_u32_e64 v23, null, s1, v23, vcc_lo
	global_load_dword v12, v[22:23], off
	v_lshlrev_b64 v[22:23], 4, v[19:20]
	v_add_nc_u32_e32 v19, -3, v15
	v_lshlrev_b64 v[38:39], 4, v[19:20]
	v_add_co_u32 v26, vcc_lo, s2, v22
	v_add_co_ci_u32_e64 v27, null, s3, v23, vcc_lo
	s_waitcnt vmcnt(0)
	v_subrev_nc_u32_e32 v12, s8, v12
	v_mul_lo_u32 v54, v12, 6
	v_lshlrev_b64 v[24:25], 4, v[54:55]
	v_add_nc_u32_e32 v19, 2, v54
	v_lshlrev_b64 v[40:41], 4, v[19:20]
	v_add_co_u32 v34, vcc_lo, s4, v24
	v_add_co_ci_u32_e64 v35, null, s5, v25, vcc_lo
	s_clause 0x1
	global_load_dwordx4 v[22:25], v[26:27], off offset:16
	global_load_dwordx4 v[26:29], v[26:27], off
	s_clause 0x1
	global_load_dwordx4 v[30:33], v[34:35], off
	global_load_dwordx4 v[34:37], v[34:35], off offset:16
	v_add_co_u32 v38, vcc_lo, s2, v38
	v_add_co_ci_u32_e64 v39, null, s3, v39, vcc_lo
	v_add_co_u32 v46, vcc_lo, s4, v40
	v_add_co_ci_u32_e64 v47, null, s5, v41, vcc_lo
	global_load_dwordx4 v[38:41], v[38:39], off
	s_clause 0x1
	global_load_dwordx4 v[42:45], v[46:47], off
	global_load_dwordx4 v[46:49], v[46:47], off offset:16
	v_add_nc_u32_e32 v19, -2, v15
	v_lshlrev_b64 v[50:51], 4, v[19:20]
	v_add_nc_u32_e32 v19, -1, v15
	v_add_nc_u32_e32 v15, 24, v15
	v_add_co_u32 v50, vcc_lo, s2, v50
	v_add_co_ci_u32_e64 v51, null, s3, v51, vcc_lo
	v_lshlrev_b64 v[55:56], 4, v[19:20]
	v_add_nc_u32_e32 v19, 4, v54
	global_load_dwordx4 v[50:53], v[50:51], off
	v_lshlrev_b64 v[57:58], 4, v[19:20]
	v_add_co_u32 v54, vcc_lo, s2, v55
	v_add_co_ci_u32_e64 v55, null, s3, v56, vcc_lo
	v_add_co_u32 v62, vcc_lo, s4, v57
	v_add_co_ci_u32_e64 v63, null, s5, v58, vcc_lo
	global_load_dwordx4 v[54:57], v[54:55], off
	s_clause 0x1
	global_load_dwordx4 v[58:61], v[62:63], off
	global_load_dwordx4 v[62:65], v[62:63], off offset:16
	v_add_co_u32 v66, vcc_lo, s2, v66
	v_add_co_ci_u32_e64 v67, null, s3, v67, vcc_lo
	v_cmp_ge_i32_e32 vcc_lo, v11, v21
	global_load_dwordx4 v[66:69], v[66:67], off
	s_or_b32 s10, vcc_lo, s10
	s_waitcnt vmcnt(9)
	v_fma_f64 v[16:17], v[26:27], v[30:31], v[17:18]
	v_fma_f64 v[12:13], v[28:29], v[30:31], v[13:14]
	v_fma_f64 v[16:17], -v[28:29], v[32:33], v[16:17]
	v_fma_f64 v[12:13], v[26:27], v[32:33], v[12:13]
	s_waitcnt vmcnt(8)
	v_fma_f64 v[16:17], v[22:23], v[34:35], v[16:17]
	v_fma_f64 v[12:13], v[24:25], v[34:35], v[12:13]
	v_fma_f64 v[16:17], -v[24:25], v[36:37], v[16:17]
	v_fma_f64 v[12:13], v[22:23], v[36:37], v[12:13]
	;; [unrolled: 5-line block ×6, first 2 shown]
	s_andn2_b32 exec_lo, exec_lo, s10
	s_cbranch_execnz .LBB248_6
; %bb.7:
	s_or_b32 exec_lo, exec_lo, s10
.LBB248_8:
	s_or_b32 exec_lo, exec_lo, s9
	v_mbcnt_lo_u32_b32 v19, -1, 0
	v_xor_b32_e32 v11, 2, v19
	v_cmp_gt_i32_e32 vcc_lo, 32, v11
	v_cndmask_b32_e32 v11, v19, v11, vcc_lo
	v_lshlrev_b32_e32 v16, 2, v11
	ds_bpermute_b32 v11, v16, v17
	ds_bpermute_b32 v12, v16, v18
	;; [unrolled: 1-line block ×4, first 2 shown]
	s_waitcnt lgkmcnt(2)
	v_add_f64 v[11:12], v[17:18], v[11:12]
	s_waitcnt lgkmcnt(0)
	v_add_f64 v[13:14], v[13:14], v[15:16]
	v_xor_b32_e32 v15, 1, v19
	v_cmp_gt_i32_e32 vcc_lo, 32, v15
	v_cndmask_b32_e32 v15, v19, v15, vcc_lo
	v_cmp_eq_u32_e32 vcc_lo, 3, v0
	v_lshlrev_b32_e32 v18, 2, v15
	ds_bpermute_b32 v15, v18, v11
	ds_bpermute_b32 v16, v18, v12
	;; [unrolled: 1-line block ×4, first 2 shown]
	s_and_b32 exec_lo, exec_lo, vcc_lo
	s_cbranch_execz .LBB248_13
; %bb.9:
	s_waitcnt lgkmcnt(0)
	v_add_f64 v[13:14], v[13:14], v[17:18]
	v_add_f64 v[11:12], v[11:12], v[15:16]
	v_cmp_eq_f64_e32 vcc_lo, 0, v[1:2]
	v_cmp_eq_f64_e64 s0, 0, v[3:4]
	v_lshlrev_b64 v[9:10], 4, v[9:10]
	v_mul_f64 v[15:16], v[13:14], -v[7:8]
	v_mul_f64 v[13:14], v[5:6], v[13:14]
	s_and_b32 s0, vcc_lo, s0
	v_fma_f64 v[5:6], v[5:6], v[11:12], v[15:16]
	v_fma_f64 v[7:8], v[7:8], v[11:12], v[13:14]
	s_and_saveexec_b32 s1, s0
	s_xor_b32 s0, exec_lo, s1
	s_cbranch_execz .LBB248_11
; %bb.10:
	v_add_co_u32 v0, vcc_lo, s6, v9
	v_add_co_ci_u32_e64 v1, null, s7, v10, vcc_lo
                                        ; implicit-def: $vgpr9_vgpr10
	global_store_dwordx4 v[0:1], v[5:8], off
                                        ; implicit-def: $vgpr1_vgpr2
                                        ; implicit-def: $vgpr5_vgpr6
.LBB248_11:
	s_andn2_saveexec_b32 s0, s0
	s_cbranch_execz .LBB248_13
; %bb.12:
	v_add_co_u32 v13, vcc_lo, s6, v9
	v_add_co_ci_u32_e64 v14, null, s7, v10, vcc_lo
	global_load_dwordx4 v[9:12], v[13:14], off
	s_waitcnt vmcnt(0)
	v_fma_f64 v[5:6], v[1:2], v[9:10], v[5:6]
	v_fma_f64 v[7:8], v[3:4], v[9:10], v[7:8]
	v_fma_f64 v[3:4], -v[3:4], v[11:12], v[5:6]
	v_fma_f64 v[5:6], v[1:2], v[11:12], v[7:8]
	global_store_dwordx4 v[13:14], v[3:6], off
.LBB248_13:
	s_endpgm
	.section	.rodata,"a",@progbits
	.p2align	6, 0x0
	.amdhsa_kernel _ZN9rocsparseL19gebsrmvn_1xn_kernelILj128ELj6ELj4E21rocsparse_complex_numIdEEEvi20rocsparse_direction_NS_24const_host_device_scalarIT2_EEPKiS8_PKS5_SA_S6_PS5_21rocsparse_index_base_b
		.amdhsa_group_segment_fixed_size 0
		.amdhsa_private_segment_fixed_size 0
		.amdhsa_kernarg_size 88
		.amdhsa_user_sgpr_count 6
		.amdhsa_user_sgpr_private_segment_buffer 1
		.amdhsa_user_sgpr_dispatch_ptr 0
		.amdhsa_user_sgpr_queue_ptr 0
		.amdhsa_user_sgpr_kernarg_segment_ptr 1
		.amdhsa_user_sgpr_dispatch_id 0
		.amdhsa_user_sgpr_flat_scratch_init 0
		.amdhsa_user_sgpr_private_segment_size 0
		.amdhsa_wavefront_size32 1
		.amdhsa_uses_dynamic_stack 0
		.amdhsa_system_sgpr_private_segment_wavefront_offset 0
		.amdhsa_system_sgpr_workgroup_id_x 1
		.amdhsa_system_sgpr_workgroup_id_y 0
		.amdhsa_system_sgpr_workgroup_id_z 0
		.amdhsa_system_sgpr_workgroup_info 0
		.amdhsa_system_vgpr_workitem_id 0
		.amdhsa_next_free_vgpr 70
		.amdhsa_next_free_sgpr 13
		.amdhsa_reserve_vcc 1
		.amdhsa_reserve_flat_scratch 0
		.amdhsa_float_round_mode_32 0
		.amdhsa_float_round_mode_16_64 0
		.amdhsa_float_denorm_mode_32 3
		.amdhsa_float_denorm_mode_16_64 3
		.amdhsa_dx10_clamp 1
		.amdhsa_ieee_mode 1
		.amdhsa_fp16_overflow 0
		.amdhsa_workgroup_processor_mode 1
		.amdhsa_memory_ordered 1
		.amdhsa_forward_progress 1
		.amdhsa_shared_vgpr_count 0
		.amdhsa_exception_fp_ieee_invalid_op 0
		.amdhsa_exception_fp_denorm_src 0
		.amdhsa_exception_fp_ieee_div_zero 0
		.amdhsa_exception_fp_ieee_overflow 0
		.amdhsa_exception_fp_ieee_underflow 0
		.amdhsa_exception_fp_ieee_inexact 0
		.amdhsa_exception_int_div_zero 0
	.end_amdhsa_kernel
	.section	.text._ZN9rocsparseL19gebsrmvn_1xn_kernelILj128ELj6ELj4E21rocsparse_complex_numIdEEEvi20rocsparse_direction_NS_24const_host_device_scalarIT2_EEPKiS8_PKS5_SA_S6_PS5_21rocsparse_index_base_b,"axG",@progbits,_ZN9rocsparseL19gebsrmvn_1xn_kernelILj128ELj6ELj4E21rocsparse_complex_numIdEEEvi20rocsparse_direction_NS_24const_host_device_scalarIT2_EEPKiS8_PKS5_SA_S6_PS5_21rocsparse_index_base_b,comdat
.Lfunc_end248:
	.size	_ZN9rocsparseL19gebsrmvn_1xn_kernelILj128ELj6ELj4E21rocsparse_complex_numIdEEEvi20rocsparse_direction_NS_24const_host_device_scalarIT2_EEPKiS8_PKS5_SA_S6_PS5_21rocsparse_index_base_b, .Lfunc_end248-_ZN9rocsparseL19gebsrmvn_1xn_kernelILj128ELj6ELj4E21rocsparse_complex_numIdEEEvi20rocsparse_direction_NS_24const_host_device_scalarIT2_EEPKiS8_PKS5_SA_S6_PS5_21rocsparse_index_base_b
                                        ; -- End function
	.set _ZN9rocsparseL19gebsrmvn_1xn_kernelILj128ELj6ELj4E21rocsparse_complex_numIdEEEvi20rocsparse_direction_NS_24const_host_device_scalarIT2_EEPKiS8_PKS5_SA_S6_PS5_21rocsparse_index_base_b.num_vgpr, 70
	.set _ZN9rocsparseL19gebsrmvn_1xn_kernelILj128ELj6ELj4E21rocsparse_complex_numIdEEEvi20rocsparse_direction_NS_24const_host_device_scalarIT2_EEPKiS8_PKS5_SA_S6_PS5_21rocsparse_index_base_b.num_agpr, 0
	.set _ZN9rocsparseL19gebsrmvn_1xn_kernelILj128ELj6ELj4E21rocsparse_complex_numIdEEEvi20rocsparse_direction_NS_24const_host_device_scalarIT2_EEPKiS8_PKS5_SA_S6_PS5_21rocsparse_index_base_b.numbered_sgpr, 13
	.set _ZN9rocsparseL19gebsrmvn_1xn_kernelILj128ELj6ELj4E21rocsparse_complex_numIdEEEvi20rocsparse_direction_NS_24const_host_device_scalarIT2_EEPKiS8_PKS5_SA_S6_PS5_21rocsparse_index_base_b.num_named_barrier, 0
	.set _ZN9rocsparseL19gebsrmvn_1xn_kernelILj128ELj6ELj4E21rocsparse_complex_numIdEEEvi20rocsparse_direction_NS_24const_host_device_scalarIT2_EEPKiS8_PKS5_SA_S6_PS5_21rocsparse_index_base_b.private_seg_size, 0
	.set _ZN9rocsparseL19gebsrmvn_1xn_kernelILj128ELj6ELj4E21rocsparse_complex_numIdEEEvi20rocsparse_direction_NS_24const_host_device_scalarIT2_EEPKiS8_PKS5_SA_S6_PS5_21rocsparse_index_base_b.uses_vcc, 1
	.set _ZN9rocsparseL19gebsrmvn_1xn_kernelILj128ELj6ELj4E21rocsparse_complex_numIdEEEvi20rocsparse_direction_NS_24const_host_device_scalarIT2_EEPKiS8_PKS5_SA_S6_PS5_21rocsparse_index_base_b.uses_flat_scratch, 0
	.set _ZN9rocsparseL19gebsrmvn_1xn_kernelILj128ELj6ELj4E21rocsparse_complex_numIdEEEvi20rocsparse_direction_NS_24const_host_device_scalarIT2_EEPKiS8_PKS5_SA_S6_PS5_21rocsparse_index_base_b.has_dyn_sized_stack, 0
	.set _ZN9rocsparseL19gebsrmvn_1xn_kernelILj128ELj6ELj4E21rocsparse_complex_numIdEEEvi20rocsparse_direction_NS_24const_host_device_scalarIT2_EEPKiS8_PKS5_SA_S6_PS5_21rocsparse_index_base_b.has_recursion, 0
	.set _ZN9rocsparseL19gebsrmvn_1xn_kernelILj128ELj6ELj4E21rocsparse_complex_numIdEEEvi20rocsparse_direction_NS_24const_host_device_scalarIT2_EEPKiS8_PKS5_SA_S6_PS5_21rocsparse_index_base_b.has_indirect_call, 0
	.section	.AMDGPU.csdata,"",@progbits
; Kernel info:
; codeLenInByte = 1340
; TotalNumSgprs: 15
; NumVgprs: 70
; ScratchSize: 0
; MemoryBound: 0
; FloatMode: 240
; IeeeMode: 1
; LDSByteSize: 0 bytes/workgroup (compile time only)
; SGPRBlocks: 0
; VGPRBlocks: 8
; NumSGPRsForWavesPerEU: 15
; NumVGPRsForWavesPerEU: 70
; Occupancy: 12
; WaveLimiterHint : 1
; COMPUTE_PGM_RSRC2:SCRATCH_EN: 0
; COMPUTE_PGM_RSRC2:USER_SGPR: 6
; COMPUTE_PGM_RSRC2:TRAP_HANDLER: 0
; COMPUTE_PGM_RSRC2:TGID_X_EN: 1
; COMPUTE_PGM_RSRC2:TGID_Y_EN: 0
; COMPUTE_PGM_RSRC2:TGID_Z_EN: 0
; COMPUTE_PGM_RSRC2:TIDIG_COMP_CNT: 0
	.section	.text._ZN9rocsparseL19gebsrmvn_1xn_kernelILj128ELj6ELj8E21rocsparse_complex_numIdEEEvi20rocsparse_direction_NS_24const_host_device_scalarIT2_EEPKiS8_PKS5_SA_S6_PS5_21rocsparse_index_base_b,"axG",@progbits,_ZN9rocsparseL19gebsrmvn_1xn_kernelILj128ELj6ELj8E21rocsparse_complex_numIdEEEvi20rocsparse_direction_NS_24const_host_device_scalarIT2_EEPKiS8_PKS5_SA_S6_PS5_21rocsparse_index_base_b,comdat
	.globl	_ZN9rocsparseL19gebsrmvn_1xn_kernelILj128ELj6ELj8E21rocsparse_complex_numIdEEEvi20rocsparse_direction_NS_24const_host_device_scalarIT2_EEPKiS8_PKS5_SA_S6_PS5_21rocsparse_index_base_b ; -- Begin function _ZN9rocsparseL19gebsrmvn_1xn_kernelILj128ELj6ELj8E21rocsparse_complex_numIdEEEvi20rocsparse_direction_NS_24const_host_device_scalarIT2_EEPKiS8_PKS5_SA_S6_PS5_21rocsparse_index_base_b
	.p2align	8
	.type	_ZN9rocsparseL19gebsrmvn_1xn_kernelILj128ELj6ELj8E21rocsparse_complex_numIdEEEvi20rocsparse_direction_NS_24const_host_device_scalarIT2_EEPKiS8_PKS5_SA_S6_PS5_21rocsparse_index_base_b,@function
_ZN9rocsparseL19gebsrmvn_1xn_kernelILj128ELj6ELj8E21rocsparse_complex_numIdEEEvi20rocsparse_direction_NS_24const_host_device_scalarIT2_EEPKiS8_PKS5_SA_S6_PS5_21rocsparse_index_base_b: ; @_ZN9rocsparseL19gebsrmvn_1xn_kernelILj128ELj6ELj8E21rocsparse_complex_numIdEEEvi20rocsparse_direction_NS_24const_host_device_scalarIT2_EEPKiS8_PKS5_SA_S6_PS5_21rocsparse_index_base_b
; %bb.0:
	s_clause 0x1
	s_load_dwordx2 s[8:9], s[4:5], 0x50
	s_load_dwordx2 s[0:1], s[4:5], 0x8
	s_add_u32 s7, s4, 8
	s_addc_u32 s10, s5, 0
	s_add_u32 s11, s4, 56
	s_addc_u32 s12, s5, 0
	s_load_dwordx2 s[2:3], s[4:5], 0x38
	s_waitcnt lgkmcnt(0)
	s_bitcmp1_b32 s9, 0
	s_cselect_b32 s0, s7, s0
	s_cselect_b32 s1, s10, s1
	v_mov_b32_e32 v1, s0
	v_mov_b32_e32 v2, s1
	s_cselect_b32 s0, s11, s2
	s_cselect_b32 s1, s12, s3
	flat_load_dwordx4 v[5:8], v[1:2]
	v_mov_b32_e32 v1, s0
	v_mov_b32_e32 v2, s1
	flat_load_dwordx4 v[1:4], v[1:2]
	s_waitcnt vmcnt(1) lgkmcnt(1)
	v_cmp_eq_f64_e32 vcc_lo, 0, v[5:6]
	v_cmp_eq_f64_e64 s0, 0, v[7:8]
	s_and_b32 s2, vcc_lo, s0
	s_mov_b32 s0, -1
	s_and_saveexec_b32 s1, s2
	s_cbranch_execz .LBB249_2
; %bb.1:
	s_waitcnt vmcnt(0) lgkmcnt(0)
	v_cmp_neq_f64_e32 vcc_lo, 1.0, v[1:2]
	v_cmp_neq_f64_e64 s0, 0, v[3:4]
	s_or_b32 s0, vcc_lo, s0
	s_orn2_b32 s0, s0, exec_lo
.LBB249_2:
	s_or_b32 exec_lo, exec_lo, s1
	s_and_saveexec_b32 s1, s0
	s_cbranch_execz .LBB249_13
; %bb.3:
	s_load_dword s0, s[4:5], 0x0
	v_lshrrev_b32_e32 v9, 3, v0
	v_lshl_or_b32 v9, s6, 4, v9
	s_waitcnt lgkmcnt(0)
	v_cmp_gt_i32_e32 vcc_lo, s0, v9
	s_and_b32 exec_lo, exec_lo, vcc_lo
	s_cbranch_execz .LBB249_13
; %bb.4:
	s_clause 0x1
	s_load_dwordx2 s[0:1], s[4:5], 0x18
	s_load_dwordx2 s[6:7], s[4:5], 0x48
	v_ashrrev_i32_e32 v10, 31, v9
	v_and_b32_e32 v0, 7, v0
	v_mov_b32_e32 v15, 0
	v_mov_b32_e32 v16, 0
	s_mov_b32 s9, exec_lo
	v_lshlrev_b64 v[11:12], 2, v[9:10]
	v_subrev_nc_u32_e32 v13, s8, v0
	s_waitcnt lgkmcnt(0)
	v_add_co_u32 v11, vcc_lo, s0, v11
	v_add_co_ci_u32_e64 v12, null, s1, v12, vcc_lo
	global_load_dwordx2 v[11:12], v[11:12], off
	s_waitcnt vmcnt(0)
	v_subrev_nc_u32_e32 v20, s8, v12
	v_add_nc_u32_e32 v13, v11, v13
	v_mov_b32_e32 v11, 0
	v_mov_b32_e32 v12, 0
	v_cmpx_lt_i32_e64 v13, v20
	s_cbranch_execz .LBB249_8
; %bb.5:
	s_clause 0x1
	s_load_dwordx4 s[0:3], s[4:5], 0x20
	s_load_dwordx2 s[4:5], s[4:5], 0x30
	v_mad_u64_u32 v[17:18], null, v13, 6, 5
	v_mov_b32_e32 v11, 0
	v_mov_b32_e32 v15, 0
	;; [unrolled: 1-line block ×5, first 2 shown]
	s_mov_b32 s10, 0
.LBB249_6:                              ; =>This Inner Loop Header: Depth=1
	v_ashrrev_i32_e32 v14, 31, v13
	v_add_nc_u32_e32 v18, -5, v17
	v_mov_b32_e32 v54, v19
	v_lshlrev_b64 v[21:22], 2, v[13:14]
	v_add_nc_u32_e32 v13, 8, v13
	s_waitcnt lgkmcnt(0)
	v_add_co_u32 v21, vcc_lo, s0, v21
	v_add_co_ci_u32_e64 v22, null, s1, v22, vcc_lo
	global_load_dword v14, v[21:22], off
	v_lshlrev_b64 v[21:22], 4, v[18:19]
	v_add_nc_u32_e32 v18, -3, v17
	v_lshlrev_b64 v[37:38], 4, v[18:19]
	v_add_co_u32 v25, vcc_lo, s2, v21
	v_add_co_ci_u32_e64 v26, null, s3, v22, vcc_lo
	s_waitcnt vmcnt(0)
	v_subrev_nc_u32_e32 v14, s8, v14
	v_mul_lo_u32 v53, v14, 6
	v_lshlrev_b64 v[23:24], 4, v[53:54]
	v_add_nc_u32_e32 v18, 2, v53
	v_lshlrev_b64 v[39:40], 4, v[18:19]
	v_add_co_u32 v33, vcc_lo, s4, v23
	v_add_co_ci_u32_e64 v34, null, s5, v24, vcc_lo
	s_clause 0x1
	global_load_dwordx4 v[21:24], v[25:26], off offset:16
	global_load_dwordx4 v[25:28], v[25:26], off
	s_clause 0x1
	global_load_dwordx4 v[29:32], v[33:34], off
	global_load_dwordx4 v[33:36], v[33:34], off offset:16
	v_add_co_u32 v37, vcc_lo, s2, v37
	v_add_co_ci_u32_e64 v38, null, s3, v38, vcc_lo
	v_add_co_u32 v45, vcc_lo, s4, v39
	v_add_co_ci_u32_e64 v46, null, s5, v40, vcc_lo
	global_load_dwordx4 v[37:40], v[37:38], off
	s_clause 0x1
	global_load_dwordx4 v[41:44], v[45:46], off
	global_load_dwordx4 v[45:48], v[45:46], off offset:16
	v_add_nc_u32_e32 v18, -2, v17
	v_lshlrev_b64 v[49:50], 4, v[18:19]
	v_add_nc_u32_e32 v18, -1, v17
	v_add_co_u32 v49, vcc_lo, s2, v49
	v_add_co_ci_u32_e64 v50, null, s3, v50, vcc_lo
	v_lshlrev_b64 v[54:55], 4, v[18:19]
	v_add_nc_u32_e32 v18, 4, v53
	global_load_dwordx4 v[49:52], v[49:50], off
	v_lshlrev_b64 v[56:57], 4, v[18:19]
	v_add_co_u32 v53, vcc_lo, s2, v54
	v_add_co_ci_u32_e64 v54, null, s3, v55, vcc_lo
	v_mov_b32_e32 v18, v19
	v_add_co_u32 v61, vcc_lo, s4, v56
	v_add_co_ci_u32_e64 v62, null, s5, v57, vcc_lo
	global_load_dwordx4 v[53:56], v[53:54], off
	s_clause 0x1
	global_load_dwordx4 v[57:60], v[61:62], off
	global_load_dwordx4 v[61:64], v[61:62], off offset:16
	v_lshlrev_b64 v[65:66], 4, v[17:18]
	v_add_nc_u32_e32 v17, 48, v17
	v_add_co_u32 v65, vcc_lo, s2, v65
	v_add_co_ci_u32_e64 v66, null, s3, v66, vcc_lo
	v_cmp_ge_i32_e32 vcc_lo, v13, v20
	global_load_dwordx4 v[65:68], v[65:66], off
	s_or_b32 s10, vcc_lo, s10
	s_waitcnt vmcnt(9)
	v_fma_f64 v[14:15], v[25:26], v[29:30], v[15:16]
	v_fma_f64 v[11:12], v[27:28], v[29:30], v[11:12]
	v_fma_f64 v[14:15], -v[27:28], v[31:32], v[14:15]
	v_fma_f64 v[11:12], v[25:26], v[31:32], v[11:12]
	s_waitcnt vmcnt(8)
	v_fma_f64 v[14:15], v[21:22], v[33:34], v[14:15]
	v_fma_f64 v[11:12], v[23:24], v[33:34], v[11:12]
	v_fma_f64 v[14:15], -v[23:24], v[35:36], v[14:15]
	v_fma_f64 v[11:12], v[21:22], v[35:36], v[11:12]
	;; [unrolled: 5-line block ×6, first 2 shown]
	s_andn2_b32 exec_lo, exec_lo, s10
	s_cbranch_execnz .LBB249_6
; %bb.7:
	s_or_b32 exec_lo, exec_lo, s10
.LBB249_8:
	s_or_b32 exec_lo, exec_lo, s9
	v_mbcnt_lo_u32_b32 v19, -1, 0
	v_xor_b32_e32 v13, 4, v19
	v_cmp_gt_i32_e32 vcc_lo, 32, v13
	v_cndmask_b32_e32 v13, v19, v13, vcc_lo
	v_lshlrev_b32_e32 v18, 2, v13
	ds_bpermute_b32 v13, v18, v15
	ds_bpermute_b32 v14, v18, v16
	;; [unrolled: 1-line block ×4, first 2 shown]
	s_waitcnt lgkmcnt(2)
	v_add_f64 v[13:14], v[15:16], v[13:14]
	s_waitcnt lgkmcnt(0)
	v_add_f64 v[15:16], v[11:12], v[17:18]
	v_xor_b32_e32 v11, 2, v19
	v_cmp_gt_i32_e32 vcc_lo, 32, v11
	v_cndmask_b32_e32 v11, v19, v11, vcc_lo
	v_lshlrev_b32_e32 v18, 2, v11
	ds_bpermute_b32 v11, v18, v13
	ds_bpermute_b32 v12, v18, v14
	;; [unrolled: 1-line block ×4, first 2 shown]
	s_waitcnt lgkmcnt(2)
	v_add_f64 v[11:12], v[13:14], v[11:12]
	s_waitcnt lgkmcnt(0)
	v_add_f64 v[13:14], v[15:16], v[17:18]
	v_xor_b32_e32 v15, 1, v19
	v_cmp_gt_i32_e32 vcc_lo, 32, v15
	v_cndmask_b32_e32 v15, v19, v15, vcc_lo
	v_cmp_eq_u32_e32 vcc_lo, 7, v0
	v_lshlrev_b32_e32 v18, 2, v15
	ds_bpermute_b32 v15, v18, v11
	ds_bpermute_b32 v16, v18, v12
	;; [unrolled: 1-line block ×4, first 2 shown]
	s_and_b32 exec_lo, exec_lo, vcc_lo
	s_cbranch_execz .LBB249_13
; %bb.9:
	s_waitcnt lgkmcnt(0)
	v_add_f64 v[13:14], v[13:14], v[17:18]
	v_add_f64 v[11:12], v[11:12], v[15:16]
	v_cmp_eq_f64_e32 vcc_lo, 0, v[1:2]
	v_cmp_eq_f64_e64 s0, 0, v[3:4]
	v_lshlrev_b64 v[9:10], 4, v[9:10]
	v_mul_f64 v[15:16], v[13:14], -v[7:8]
	v_mul_f64 v[13:14], v[5:6], v[13:14]
	s_and_b32 s0, vcc_lo, s0
	v_fma_f64 v[5:6], v[5:6], v[11:12], v[15:16]
	v_fma_f64 v[7:8], v[7:8], v[11:12], v[13:14]
	s_and_saveexec_b32 s1, s0
	s_xor_b32 s0, exec_lo, s1
	s_cbranch_execz .LBB249_11
; %bb.10:
	v_add_co_u32 v0, vcc_lo, s6, v9
	v_add_co_ci_u32_e64 v1, null, s7, v10, vcc_lo
                                        ; implicit-def: $vgpr9_vgpr10
	global_store_dwordx4 v[0:1], v[5:8], off
                                        ; implicit-def: $vgpr1_vgpr2
                                        ; implicit-def: $vgpr5_vgpr6
.LBB249_11:
	s_andn2_saveexec_b32 s0, s0
	s_cbranch_execz .LBB249_13
; %bb.12:
	v_add_co_u32 v13, vcc_lo, s6, v9
	v_add_co_ci_u32_e64 v14, null, s7, v10, vcc_lo
	global_load_dwordx4 v[9:12], v[13:14], off
	s_waitcnt vmcnt(0)
	v_fma_f64 v[5:6], v[1:2], v[9:10], v[5:6]
	v_fma_f64 v[7:8], v[3:4], v[9:10], v[7:8]
	v_fma_f64 v[3:4], -v[3:4], v[11:12], v[5:6]
	v_fma_f64 v[5:6], v[1:2], v[11:12], v[7:8]
	global_store_dwordx4 v[13:14], v[3:6], off
.LBB249_13:
	s_endpgm
	.section	.rodata,"a",@progbits
	.p2align	6, 0x0
	.amdhsa_kernel _ZN9rocsparseL19gebsrmvn_1xn_kernelILj128ELj6ELj8E21rocsparse_complex_numIdEEEvi20rocsparse_direction_NS_24const_host_device_scalarIT2_EEPKiS8_PKS5_SA_S6_PS5_21rocsparse_index_base_b
		.amdhsa_group_segment_fixed_size 0
		.amdhsa_private_segment_fixed_size 0
		.amdhsa_kernarg_size 88
		.amdhsa_user_sgpr_count 6
		.amdhsa_user_sgpr_private_segment_buffer 1
		.amdhsa_user_sgpr_dispatch_ptr 0
		.amdhsa_user_sgpr_queue_ptr 0
		.amdhsa_user_sgpr_kernarg_segment_ptr 1
		.amdhsa_user_sgpr_dispatch_id 0
		.amdhsa_user_sgpr_flat_scratch_init 0
		.amdhsa_user_sgpr_private_segment_size 0
		.amdhsa_wavefront_size32 1
		.amdhsa_uses_dynamic_stack 0
		.amdhsa_system_sgpr_private_segment_wavefront_offset 0
		.amdhsa_system_sgpr_workgroup_id_x 1
		.amdhsa_system_sgpr_workgroup_id_y 0
		.amdhsa_system_sgpr_workgroup_id_z 0
		.amdhsa_system_sgpr_workgroup_info 0
		.amdhsa_system_vgpr_workitem_id 0
		.amdhsa_next_free_vgpr 69
		.amdhsa_next_free_sgpr 13
		.amdhsa_reserve_vcc 1
		.amdhsa_reserve_flat_scratch 0
		.amdhsa_float_round_mode_32 0
		.amdhsa_float_round_mode_16_64 0
		.amdhsa_float_denorm_mode_32 3
		.amdhsa_float_denorm_mode_16_64 3
		.amdhsa_dx10_clamp 1
		.amdhsa_ieee_mode 1
		.amdhsa_fp16_overflow 0
		.amdhsa_workgroup_processor_mode 1
		.amdhsa_memory_ordered 1
		.amdhsa_forward_progress 1
		.amdhsa_shared_vgpr_count 0
		.amdhsa_exception_fp_ieee_invalid_op 0
		.amdhsa_exception_fp_denorm_src 0
		.amdhsa_exception_fp_ieee_div_zero 0
		.amdhsa_exception_fp_ieee_overflow 0
		.amdhsa_exception_fp_ieee_underflow 0
		.amdhsa_exception_fp_ieee_inexact 0
		.amdhsa_exception_int_div_zero 0
	.end_amdhsa_kernel
	.section	.text._ZN9rocsparseL19gebsrmvn_1xn_kernelILj128ELj6ELj8E21rocsparse_complex_numIdEEEvi20rocsparse_direction_NS_24const_host_device_scalarIT2_EEPKiS8_PKS5_SA_S6_PS5_21rocsparse_index_base_b,"axG",@progbits,_ZN9rocsparseL19gebsrmvn_1xn_kernelILj128ELj6ELj8E21rocsparse_complex_numIdEEEvi20rocsparse_direction_NS_24const_host_device_scalarIT2_EEPKiS8_PKS5_SA_S6_PS5_21rocsparse_index_base_b,comdat
.Lfunc_end249:
	.size	_ZN9rocsparseL19gebsrmvn_1xn_kernelILj128ELj6ELj8E21rocsparse_complex_numIdEEEvi20rocsparse_direction_NS_24const_host_device_scalarIT2_EEPKiS8_PKS5_SA_S6_PS5_21rocsparse_index_base_b, .Lfunc_end249-_ZN9rocsparseL19gebsrmvn_1xn_kernelILj128ELj6ELj8E21rocsparse_complex_numIdEEEvi20rocsparse_direction_NS_24const_host_device_scalarIT2_EEPKiS8_PKS5_SA_S6_PS5_21rocsparse_index_base_b
                                        ; -- End function
	.set _ZN9rocsparseL19gebsrmvn_1xn_kernelILj128ELj6ELj8E21rocsparse_complex_numIdEEEvi20rocsparse_direction_NS_24const_host_device_scalarIT2_EEPKiS8_PKS5_SA_S6_PS5_21rocsparse_index_base_b.num_vgpr, 69
	.set _ZN9rocsparseL19gebsrmvn_1xn_kernelILj128ELj6ELj8E21rocsparse_complex_numIdEEEvi20rocsparse_direction_NS_24const_host_device_scalarIT2_EEPKiS8_PKS5_SA_S6_PS5_21rocsparse_index_base_b.num_agpr, 0
	.set _ZN9rocsparseL19gebsrmvn_1xn_kernelILj128ELj6ELj8E21rocsparse_complex_numIdEEEvi20rocsparse_direction_NS_24const_host_device_scalarIT2_EEPKiS8_PKS5_SA_S6_PS5_21rocsparse_index_base_b.numbered_sgpr, 13
	.set _ZN9rocsparseL19gebsrmvn_1xn_kernelILj128ELj6ELj8E21rocsparse_complex_numIdEEEvi20rocsparse_direction_NS_24const_host_device_scalarIT2_EEPKiS8_PKS5_SA_S6_PS5_21rocsparse_index_base_b.num_named_barrier, 0
	.set _ZN9rocsparseL19gebsrmvn_1xn_kernelILj128ELj6ELj8E21rocsparse_complex_numIdEEEvi20rocsparse_direction_NS_24const_host_device_scalarIT2_EEPKiS8_PKS5_SA_S6_PS5_21rocsparse_index_base_b.private_seg_size, 0
	.set _ZN9rocsparseL19gebsrmvn_1xn_kernelILj128ELj6ELj8E21rocsparse_complex_numIdEEEvi20rocsparse_direction_NS_24const_host_device_scalarIT2_EEPKiS8_PKS5_SA_S6_PS5_21rocsparse_index_base_b.uses_vcc, 1
	.set _ZN9rocsparseL19gebsrmvn_1xn_kernelILj128ELj6ELj8E21rocsparse_complex_numIdEEEvi20rocsparse_direction_NS_24const_host_device_scalarIT2_EEPKiS8_PKS5_SA_S6_PS5_21rocsparse_index_base_b.uses_flat_scratch, 0
	.set _ZN9rocsparseL19gebsrmvn_1xn_kernelILj128ELj6ELj8E21rocsparse_complex_numIdEEEvi20rocsparse_direction_NS_24const_host_device_scalarIT2_EEPKiS8_PKS5_SA_S6_PS5_21rocsparse_index_base_b.has_dyn_sized_stack, 0
	.set _ZN9rocsparseL19gebsrmvn_1xn_kernelILj128ELj6ELj8E21rocsparse_complex_numIdEEEvi20rocsparse_direction_NS_24const_host_device_scalarIT2_EEPKiS8_PKS5_SA_S6_PS5_21rocsparse_index_base_b.has_recursion, 0
	.set _ZN9rocsparseL19gebsrmvn_1xn_kernelILj128ELj6ELj8E21rocsparse_complex_numIdEEEvi20rocsparse_direction_NS_24const_host_device_scalarIT2_EEPKiS8_PKS5_SA_S6_PS5_21rocsparse_index_base_b.has_indirect_call, 0
	.section	.AMDGPU.csdata,"",@progbits
; Kernel info:
; codeLenInByte = 1412
; TotalNumSgprs: 15
; NumVgprs: 69
; ScratchSize: 0
; MemoryBound: 0
; FloatMode: 240
; IeeeMode: 1
; LDSByteSize: 0 bytes/workgroup (compile time only)
; SGPRBlocks: 0
; VGPRBlocks: 8
; NumSGPRsForWavesPerEU: 15
; NumVGPRsForWavesPerEU: 69
; Occupancy: 12
; WaveLimiterHint : 1
; COMPUTE_PGM_RSRC2:SCRATCH_EN: 0
; COMPUTE_PGM_RSRC2:USER_SGPR: 6
; COMPUTE_PGM_RSRC2:TRAP_HANDLER: 0
; COMPUTE_PGM_RSRC2:TGID_X_EN: 1
; COMPUTE_PGM_RSRC2:TGID_Y_EN: 0
; COMPUTE_PGM_RSRC2:TGID_Z_EN: 0
; COMPUTE_PGM_RSRC2:TIDIG_COMP_CNT: 0
	.section	.text._ZN9rocsparseL19gebsrmvn_1xn_kernelILj128ELj6ELj16E21rocsparse_complex_numIdEEEvi20rocsparse_direction_NS_24const_host_device_scalarIT2_EEPKiS8_PKS5_SA_S6_PS5_21rocsparse_index_base_b,"axG",@progbits,_ZN9rocsparseL19gebsrmvn_1xn_kernelILj128ELj6ELj16E21rocsparse_complex_numIdEEEvi20rocsparse_direction_NS_24const_host_device_scalarIT2_EEPKiS8_PKS5_SA_S6_PS5_21rocsparse_index_base_b,comdat
	.globl	_ZN9rocsparseL19gebsrmvn_1xn_kernelILj128ELj6ELj16E21rocsparse_complex_numIdEEEvi20rocsparse_direction_NS_24const_host_device_scalarIT2_EEPKiS8_PKS5_SA_S6_PS5_21rocsparse_index_base_b ; -- Begin function _ZN9rocsparseL19gebsrmvn_1xn_kernelILj128ELj6ELj16E21rocsparse_complex_numIdEEEvi20rocsparse_direction_NS_24const_host_device_scalarIT2_EEPKiS8_PKS5_SA_S6_PS5_21rocsparse_index_base_b
	.p2align	8
	.type	_ZN9rocsparseL19gebsrmvn_1xn_kernelILj128ELj6ELj16E21rocsparse_complex_numIdEEEvi20rocsparse_direction_NS_24const_host_device_scalarIT2_EEPKiS8_PKS5_SA_S6_PS5_21rocsparse_index_base_b,@function
_ZN9rocsparseL19gebsrmvn_1xn_kernelILj128ELj6ELj16E21rocsparse_complex_numIdEEEvi20rocsparse_direction_NS_24const_host_device_scalarIT2_EEPKiS8_PKS5_SA_S6_PS5_21rocsparse_index_base_b: ; @_ZN9rocsparseL19gebsrmvn_1xn_kernelILj128ELj6ELj16E21rocsparse_complex_numIdEEEvi20rocsparse_direction_NS_24const_host_device_scalarIT2_EEPKiS8_PKS5_SA_S6_PS5_21rocsparse_index_base_b
; %bb.0:
	s_clause 0x1
	s_load_dwordx2 s[8:9], s[4:5], 0x50
	s_load_dwordx2 s[0:1], s[4:5], 0x8
	s_add_u32 s7, s4, 8
	s_addc_u32 s10, s5, 0
	s_add_u32 s11, s4, 56
	s_addc_u32 s12, s5, 0
	s_load_dwordx2 s[2:3], s[4:5], 0x38
	s_waitcnt lgkmcnt(0)
	s_bitcmp1_b32 s9, 0
	s_cselect_b32 s0, s7, s0
	s_cselect_b32 s1, s10, s1
	v_mov_b32_e32 v1, s0
	v_mov_b32_e32 v2, s1
	s_cselect_b32 s0, s11, s2
	s_cselect_b32 s1, s12, s3
	flat_load_dwordx4 v[5:8], v[1:2]
	v_mov_b32_e32 v1, s0
	v_mov_b32_e32 v2, s1
	flat_load_dwordx4 v[1:4], v[1:2]
	s_waitcnt vmcnt(1) lgkmcnt(1)
	v_cmp_eq_f64_e32 vcc_lo, 0, v[5:6]
	v_cmp_eq_f64_e64 s0, 0, v[7:8]
	s_and_b32 s2, vcc_lo, s0
	s_mov_b32 s0, -1
	s_and_saveexec_b32 s1, s2
	s_cbranch_execz .LBB250_2
; %bb.1:
	s_waitcnt vmcnt(0) lgkmcnt(0)
	v_cmp_neq_f64_e32 vcc_lo, 1.0, v[1:2]
	v_cmp_neq_f64_e64 s0, 0, v[3:4]
	s_or_b32 s0, vcc_lo, s0
	s_orn2_b32 s0, s0, exec_lo
.LBB250_2:
	s_or_b32 exec_lo, exec_lo, s1
	s_and_saveexec_b32 s1, s0
	s_cbranch_execz .LBB250_13
; %bb.3:
	s_load_dword s0, s[4:5], 0x0
	v_lshrrev_b32_e32 v9, 4, v0
	v_lshl_or_b32 v9, s6, 3, v9
	s_waitcnt lgkmcnt(0)
	v_cmp_gt_i32_e32 vcc_lo, s0, v9
	s_and_b32 exec_lo, exec_lo, vcc_lo
	s_cbranch_execz .LBB250_13
; %bb.4:
	s_clause 0x1
	s_load_dwordx2 s[0:1], s[4:5], 0x18
	s_load_dwordx2 s[6:7], s[4:5], 0x48
	v_ashrrev_i32_e32 v10, 31, v9
	v_and_b32_e32 v0, 15, v0
	s_mov_b32 s9, exec_lo
	v_lshlrev_b64 v[11:12], 2, v[9:10]
	v_subrev_nc_u32_e32 v13, s8, v0
	s_waitcnt lgkmcnt(0)
	v_add_co_u32 v11, vcc_lo, s0, v11
	v_add_co_ci_u32_e64 v12, null, s1, v12, vcc_lo
	global_load_dwordx2 v[11:12], v[11:12], off
	s_waitcnt vmcnt(0)
	v_subrev_nc_u32_e32 v20, s8, v12
	v_add_nc_u32_e32 v15, v11, v13
	v_mov_b32_e32 v11, 0
	v_mov_b32_e32 v13, 0
	v_mov_b32_e32 v12, 0
	v_mov_b32_e32 v14, 0
	v_cmpx_lt_i32_e64 v15, v20
	s_cbranch_execz .LBB250_8
; %bb.5:
	s_clause 0x1
	s_load_dwordx4 s[0:3], s[4:5], 0x20
	s_load_dwordx2 s[4:5], s[4:5], 0x30
	v_mad_u64_u32 v[17:18], null, v15, 6, 5
	v_mov_b32_e32 v11, 0
	v_mov_b32_e32 v13, 0
	;; [unrolled: 1-line block ×5, first 2 shown]
	s_mov_b32 s10, 0
.LBB250_6:                              ; =>This Inner Loop Header: Depth=1
	v_ashrrev_i32_e32 v16, 31, v15
	v_add_nc_u32_e32 v18, -5, v17
	v_mov_b32_e32 v54, v19
	v_lshlrev_b64 v[21:22], 2, v[15:16]
	v_add_nc_u32_e32 v15, 16, v15
	s_waitcnt lgkmcnt(0)
	v_add_co_u32 v21, vcc_lo, s0, v21
	v_add_co_ci_u32_e64 v22, null, s1, v22, vcc_lo
	global_load_dword v16, v[21:22], off
	v_lshlrev_b64 v[21:22], 4, v[18:19]
	v_add_nc_u32_e32 v18, -3, v17
	v_lshlrev_b64 v[37:38], 4, v[18:19]
	v_add_co_u32 v25, vcc_lo, s2, v21
	v_add_co_ci_u32_e64 v26, null, s3, v22, vcc_lo
	s_waitcnt vmcnt(0)
	v_subrev_nc_u32_e32 v16, s8, v16
	v_mul_lo_u32 v53, v16, 6
	v_lshlrev_b64 v[23:24], 4, v[53:54]
	v_add_nc_u32_e32 v18, 2, v53
	v_lshlrev_b64 v[39:40], 4, v[18:19]
	v_add_co_u32 v33, vcc_lo, s4, v23
	v_add_co_ci_u32_e64 v34, null, s5, v24, vcc_lo
	s_clause 0x1
	global_load_dwordx4 v[21:24], v[25:26], off offset:16
	global_load_dwordx4 v[25:28], v[25:26], off
	s_clause 0x1
	global_load_dwordx4 v[29:32], v[33:34], off
	global_load_dwordx4 v[33:36], v[33:34], off offset:16
	v_add_co_u32 v37, vcc_lo, s2, v37
	v_add_co_ci_u32_e64 v38, null, s3, v38, vcc_lo
	v_add_co_u32 v45, vcc_lo, s4, v39
	v_add_co_ci_u32_e64 v46, null, s5, v40, vcc_lo
	global_load_dwordx4 v[37:40], v[37:38], off
	s_clause 0x1
	global_load_dwordx4 v[41:44], v[45:46], off
	global_load_dwordx4 v[45:48], v[45:46], off offset:16
	v_add_nc_u32_e32 v18, -2, v17
	v_lshlrev_b64 v[49:50], 4, v[18:19]
	v_add_nc_u32_e32 v18, -1, v17
	v_add_co_u32 v49, vcc_lo, s2, v49
	v_add_co_ci_u32_e64 v50, null, s3, v50, vcc_lo
	v_lshlrev_b64 v[54:55], 4, v[18:19]
	v_add_nc_u32_e32 v18, 4, v53
	global_load_dwordx4 v[49:52], v[49:50], off
	v_lshlrev_b64 v[56:57], 4, v[18:19]
	v_add_co_u32 v53, vcc_lo, s2, v54
	v_add_co_ci_u32_e64 v54, null, s3, v55, vcc_lo
	v_mov_b32_e32 v18, v19
	v_add_co_u32 v61, vcc_lo, s4, v56
	v_add_co_ci_u32_e64 v62, null, s5, v57, vcc_lo
	global_load_dwordx4 v[53:56], v[53:54], off
	s_clause 0x1
	global_load_dwordx4 v[57:60], v[61:62], off
	global_load_dwordx4 v[61:64], v[61:62], off offset:16
	v_lshlrev_b64 v[65:66], 4, v[17:18]
	v_add_nc_u32_e32 v17, 0x60, v17
	v_add_co_u32 v65, vcc_lo, s2, v65
	v_add_co_ci_u32_e64 v66, null, s3, v66, vcc_lo
	v_cmp_ge_i32_e32 vcc_lo, v15, v20
	global_load_dwordx4 v[65:68], v[65:66], off
	s_or_b32 s10, vcc_lo, s10
	s_waitcnt vmcnt(9)
	v_fma_f64 v[13:14], v[25:26], v[29:30], v[13:14]
	v_fma_f64 v[11:12], v[27:28], v[29:30], v[11:12]
	v_fma_f64 v[13:14], -v[27:28], v[31:32], v[13:14]
	v_fma_f64 v[11:12], v[25:26], v[31:32], v[11:12]
	s_waitcnt vmcnt(8)
	v_fma_f64 v[13:14], v[21:22], v[33:34], v[13:14]
	v_fma_f64 v[11:12], v[23:24], v[33:34], v[11:12]
	v_fma_f64 v[13:14], -v[23:24], v[35:36], v[13:14]
	v_fma_f64 v[11:12], v[21:22], v[35:36], v[11:12]
	;; [unrolled: 5-line block ×6, first 2 shown]
	s_andn2_b32 exec_lo, exec_lo, s10
	s_cbranch_execnz .LBB250_6
; %bb.7:
	s_or_b32 exec_lo, exec_lo, s10
.LBB250_8:
	s_or_b32 exec_lo, exec_lo, s9
	v_mbcnt_lo_u32_b32 v19, -1, 0
	v_xor_b32_e32 v15, 8, v19
	v_cmp_gt_i32_e32 vcc_lo, 32, v15
	v_cndmask_b32_e32 v15, v19, v15, vcc_lo
	v_lshlrev_b32_e32 v18, 2, v15
	ds_bpermute_b32 v15, v18, v13
	ds_bpermute_b32 v16, v18, v14
	;; [unrolled: 1-line block ×4, first 2 shown]
	s_waitcnt lgkmcnt(2)
	v_add_f64 v[13:14], v[13:14], v[15:16]
	v_xor_b32_e32 v15, 4, v19
	s_waitcnt lgkmcnt(0)
	v_add_f64 v[11:12], v[11:12], v[17:18]
	v_cmp_gt_i32_e32 vcc_lo, 32, v15
	v_cndmask_b32_e32 v15, v19, v15, vcc_lo
	v_lshlrev_b32_e32 v18, 2, v15
	ds_bpermute_b32 v15, v18, v13
	ds_bpermute_b32 v16, v18, v14
	;; [unrolled: 1-line block ×4, first 2 shown]
	s_waitcnt lgkmcnt(2)
	v_add_f64 v[13:14], v[13:14], v[15:16]
	s_waitcnt lgkmcnt(0)
	v_add_f64 v[15:16], v[11:12], v[17:18]
	v_xor_b32_e32 v11, 2, v19
	v_cmp_gt_i32_e32 vcc_lo, 32, v11
	v_cndmask_b32_e32 v11, v19, v11, vcc_lo
	v_lshlrev_b32_e32 v18, 2, v11
	ds_bpermute_b32 v11, v18, v13
	ds_bpermute_b32 v12, v18, v14
	;; [unrolled: 1-line block ×4, first 2 shown]
	s_waitcnt lgkmcnt(2)
	v_add_f64 v[11:12], v[13:14], v[11:12]
	s_waitcnt lgkmcnt(0)
	v_add_f64 v[13:14], v[15:16], v[17:18]
	v_xor_b32_e32 v15, 1, v19
	v_cmp_gt_i32_e32 vcc_lo, 32, v15
	v_cndmask_b32_e32 v15, v19, v15, vcc_lo
	v_cmp_eq_u32_e32 vcc_lo, 15, v0
	v_lshlrev_b32_e32 v18, 2, v15
	ds_bpermute_b32 v15, v18, v11
	ds_bpermute_b32 v16, v18, v12
	;; [unrolled: 1-line block ×4, first 2 shown]
	s_and_b32 exec_lo, exec_lo, vcc_lo
	s_cbranch_execz .LBB250_13
; %bb.9:
	s_waitcnt lgkmcnt(0)
	v_add_f64 v[13:14], v[13:14], v[17:18]
	v_add_f64 v[11:12], v[11:12], v[15:16]
	v_cmp_eq_f64_e32 vcc_lo, 0, v[1:2]
	v_cmp_eq_f64_e64 s0, 0, v[3:4]
	v_lshlrev_b64 v[9:10], 4, v[9:10]
	v_mul_f64 v[15:16], v[13:14], -v[7:8]
	v_mul_f64 v[13:14], v[5:6], v[13:14]
	s_and_b32 s0, vcc_lo, s0
	v_fma_f64 v[5:6], v[5:6], v[11:12], v[15:16]
	v_fma_f64 v[7:8], v[7:8], v[11:12], v[13:14]
	s_and_saveexec_b32 s1, s0
	s_xor_b32 s0, exec_lo, s1
	s_cbranch_execz .LBB250_11
; %bb.10:
	v_add_co_u32 v0, vcc_lo, s6, v9
	v_add_co_ci_u32_e64 v1, null, s7, v10, vcc_lo
                                        ; implicit-def: $vgpr9_vgpr10
	global_store_dwordx4 v[0:1], v[5:8], off
                                        ; implicit-def: $vgpr1_vgpr2
                                        ; implicit-def: $vgpr5_vgpr6
.LBB250_11:
	s_andn2_saveexec_b32 s0, s0
	s_cbranch_execz .LBB250_13
; %bb.12:
	v_add_co_u32 v13, vcc_lo, s6, v9
	v_add_co_ci_u32_e64 v14, null, s7, v10, vcc_lo
	global_load_dwordx4 v[9:12], v[13:14], off
	s_waitcnt vmcnt(0)
	v_fma_f64 v[5:6], v[1:2], v[9:10], v[5:6]
	v_fma_f64 v[7:8], v[3:4], v[9:10], v[7:8]
	v_fma_f64 v[3:4], -v[3:4], v[11:12], v[5:6]
	v_fma_f64 v[5:6], v[1:2], v[11:12], v[7:8]
	global_store_dwordx4 v[13:14], v[3:6], off
.LBB250_13:
	s_endpgm
	.section	.rodata,"a",@progbits
	.p2align	6, 0x0
	.amdhsa_kernel _ZN9rocsparseL19gebsrmvn_1xn_kernelILj128ELj6ELj16E21rocsparse_complex_numIdEEEvi20rocsparse_direction_NS_24const_host_device_scalarIT2_EEPKiS8_PKS5_SA_S6_PS5_21rocsparse_index_base_b
		.amdhsa_group_segment_fixed_size 0
		.amdhsa_private_segment_fixed_size 0
		.amdhsa_kernarg_size 88
		.amdhsa_user_sgpr_count 6
		.amdhsa_user_sgpr_private_segment_buffer 1
		.amdhsa_user_sgpr_dispatch_ptr 0
		.amdhsa_user_sgpr_queue_ptr 0
		.amdhsa_user_sgpr_kernarg_segment_ptr 1
		.amdhsa_user_sgpr_dispatch_id 0
		.amdhsa_user_sgpr_flat_scratch_init 0
		.amdhsa_user_sgpr_private_segment_size 0
		.amdhsa_wavefront_size32 1
		.amdhsa_uses_dynamic_stack 0
		.amdhsa_system_sgpr_private_segment_wavefront_offset 0
		.amdhsa_system_sgpr_workgroup_id_x 1
		.amdhsa_system_sgpr_workgroup_id_y 0
		.amdhsa_system_sgpr_workgroup_id_z 0
		.amdhsa_system_sgpr_workgroup_info 0
		.amdhsa_system_vgpr_workitem_id 0
		.amdhsa_next_free_vgpr 69
		.amdhsa_next_free_sgpr 13
		.amdhsa_reserve_vcc 1
		.amdhsa_reserve_flat_scratch 0
		.amdhsa_float_round_mode_32 0
		.amdhsa_float_round_mode_16_64 0
		.amdhsa_float_denorm_mode_32 3
		.amdhsa_float_denorm_mode_16_64 3
		.amdhsa_dx10_clamp 1
		.amdhsa_ieee_mode 1
		.amdhsa_fp16_overflow 0
		.amdhsa_workgroup_processor_mode 1
		.amdhsa_memory_ordered 1
		.amdhsa_forward_progress 1
		.amdhsa_shared_vgpr_count 0
		.amdhsa_exception_fp_ieee_invalid_op 0
		.amdhsa_exception_fp_denorm_src 0
		.amdhsa_exception_fp_ieee_div_zero 0
		.amdhsa_exception_fp_ieee_overflow 0
		.amdhsa_exception_fp_ieee_underflow 0
		.amdhsa_exception_fp_ieee_inexact 0
		.amdhsa_exception_int_div_zero 0
	.end_amdhsa_kernel
	.section	.text._ZN9rocsparseL19gebsrmvn_1xn_kernelILj128ELj6ELj16E21rocsparse_complex_numIdEEEvi20rocsparse_direction_NS_24const_host_device_scalarIT2_EEPKiS8_PKS5_SA_S6_PS5_21rocsparse_index_base_b,"axG",@progbits,_ZN9rocsparseL19gebsrmvn_1xn_kernelILj128ELj6ELj16E21rocsparse_complex_numIdEEEvi20rocsparse_direction_NS_24const_host_device_scalarIT2_EEPKiS8_PKS5_SA_S6_PS5_21rocsparse_index_base_b,comdat
.Lfunc_end250:
	.size	_ZN9rocsparseL19gebsrmvn_1xn_kernelILj128ELj6ELj16E21rocsparse_complex_numIdEEEvi20rocsparse_direction_NS_24const_host_device_scalarIT2_EEPKiS8_PKS5_SA_S6_PS5_21rocsparse_index_base_b, .Lfunc_end250-_ZN9rocsparseL19gebsrmvn_1xn_kernelILj128ELj6ELj16E21rocsparse_complex_numIdEEEvi20rocsparse_direction_NS_24const_host_device_scalarIT2_EEPKiS8_PKS5_SA_S6_PS5_21rocsparse_index_base_b
                                        ; -- End function
	.set _ZN9rocsparseL19gebsrmvn_1xn_kernelILj128ELj6ELj16E21rocsparse_complex_numIdEEEvi20rocsparse_direction_NS_24const_host_device_scalarIT2_EEPKiS8_PKS5_SA_S6_PS5_21rocsparse_index_base_b.num_vgpr, 69
	.set _ZN9rocsparseL19gebsrmvn_1xn_kernelILj128ELj6ELj16E21rocsparse_complex_numIdEEEvi20rocsparse_direction_NS_24const_host_device_scalarIT2_EEPKiS8_PKS5_SA_S6_PS5_21rocsparse_index_base_b.num_agpr, 0
	.set _ZN9rocsparseL19gebsrmvn_1xn_kernelILj128ELj6ELj16E21rocsparse_complex_numIdEEEvi20rocsparse_direction_NS_24const_host_device_scalarIT2_EEPKiS8_PKS5_SA_S6_PS5_21rocsparse_index_base_b.numbered_sgpr, 13
	.set _ZN9rocsparseL19gebsrmvn_1xn_kernelILj128ELj6ELj16E21rocsparse_complex_numIdEEEvi20rocsparse_direction_NS_24const_host_device_scalarIT2_EEPKiS8_PKS5_SA_S6_PS5_21rocsparse_index_base_b.num_named_barrier, 0
	.set _ZN9rocsparseL19gebsrmvn_1xn_kernelILj128ELj6ELj16E21rocsparse_complex_numIdEEEvi20rocsparse_direction_NS_24const_host_device_scalarIT2_EEPKiS8_PKS5_SA_S6_PS5_21rocsparse_index_base_b.private_seg_size, 0
	.set _ZN9rocsparseL19gebsrmvn_1xn_kernelILj128ELj6ELj16E21rocsparse_complex_numIdEEEvi20rocsparse_direction_NS_24const_host_device_scalarIT2_EEPKiS8_PKS5_SA_S6_PS5_21rocsparse_index_base_b.uses_vcc, 1
	.set _ZN9rocsparseL19gebsrmvn_1xn_kernelILj128ELj6ELj16E21rocsparse_complex_numIdEEEvi20rocsparse_direction_NS_24const_host_device_scalarIT2_EEPKiS8_PKS5_SA_S6_PS5_21rocsparse_index_base_b.uses_flat_scratch, 0
	.set _ZN9rocsparseL19gebsrmvn_1xn_kernelILj128ELj6ELj16E21rocsparse_complex_numIdEEEvi20rocsparse_direction_NS_24const_host_device_scalarIT2_EEPKiS8_PKS5_SA_S6_PS5_21rocsparse_index_base_b.has_dyn_sized_stack, 0
	.set _ZN9rocsparseL19gebsrmvn_1xn_kernelILj128ELj6ELj16E21rocsparse_complex_numIdEEEvi20rocsparse_direction_NS_24const_host_device_scalarIT2_EEPKiS8_PKS5_SA_S6_PS5_21rocsparse_index_base_b.has_recursion, 0
	.set _ZN9rocsparseL19gebsrmvn_1xn_kernelILj128ELj6ELj16E21rocsparse_complex_numIdEEEvi20rocsparse_direction_NS_24const_host_device_scalarIT2_EEPKiS8_PKS5_SA_S6_PS5_21rocsparse_index_base_b.has_indirect_call, 0
	.section	.AMDGPU.csdata,"",@progbits
; Kernel info:
; codeLenInByte = 1488
; TotalNumSgprs: 15
; NumVgprs: 69
; ScratchSize: 0
; MemoryBound: 0
; FloatMode: 240
; IeeeMode: 1
; LDSByteSize: 0 bytes/workgroup (compile time only)
; SGPRBlocks: 0
; VGPRBlocks: 8
; NumSGPRsForWavesPerEU: 15
; NumVGPRsForWavesPerEU: 69
; Occupancy: 12
; WaveLimiterHint : 1
; COMPUTE_PGM_RSRC2:SCRATCH_EN: 0
; COMPUTE_PGM_RSRC2:USER_SGPR: 6
; COMPUTE_PGM_RSRC2:TRAP_HANDLER: 0
; COMPUTE_PGM_RSRC2:TGID_X_EN: 1
; COMPUTE_PGM_RSRC2:TGID_Y_EN: 0
; COMPUTE_PGM_RSRC2:TGID_Z_EN: 0
; COMPUTE_PGM_RSRC2:TIDIG_COMP_CNT: 0
	.section	.text._ZN9rocsparseL19gebsrmvn_1xn_kernelILj128ELj6ELj32E21rocsparse_complex_numIdEEEvi20rocsparse_direction_NS_24const_host_device_scalarIT2_EEPKiS8_PKS5_SA_S6_PS5_21rocsparse_index_base_b,"axG",@progbits,_ZN9rocsparseL19gebsrmvn_1xn_kernelILj128ELj6ELj32E21rocsparse_complex_numIdEEEvi20rocsparse_direction_NS_24const_host_device_scalarIT2_EEPKiS8_PKS5_SA_S6_PS5_21rocsparse_index_base_b,comdat
	.globl	_ZN9rocsparseL19gebsrmvn_1xn_kernelILj128ELj6ELj32E21rocsparse_complex_numIdEEEvi20rocsparse_direction_NS_24const_host_device_scalarIT2_EEPKiS8_PKS5_SA_S6_PS5_21rocsparse_index_base_b ; -- Begin function _ZN9rocsparseL19gebsrmvn_1xn_kernelILj128ELj6ELj32E21rocsparse_complex_numIdEEEvi20rocsparse_direction_NS_24const_host_device_scalarIT2_EEPKiS8_PKS5_SA_S6_PS5_21rocsparse_index_base_b
	.p2align	8
	.type	_ZN9rocsparseL19gebsrmvn_1xn_kernelILj128ELj6ELj32E21rocsparse_complex_numIdEEEvi20rocsparse_direction_NS_24const_host_device_scalarIT2_EEPKiS8_PKS5_SA_S6_PS5_21rocsparse_index_base_b,@function
_ZN9rocsparseL19gebsrmvn_1xn_kernelILj128ELj6ELj32E21rocsparse_complex_numIdEEEvi20rocsparse_direction_NS_24const_host_device_scalarIT2_EEPKiS8_PKS5_SA_S6_PS5_21rocsparse_index_base_b: ; @_ZN9rocsparseL19gebsrmvn_1xn_kernelILj128ELj6ELj32E21rocsparse_complex_numIdEEEvi20rocsparse_direction_NS_24const_host_device_scalarIT2_EEPKiS8_PKS5_SA_S6_PS5_21rocsparse_index_base_b
; %bb.0:
	s_clause 0x1
	s_load_dwordx2 s[8:9], s[4:5], 0x50
	s_load_dwordx2 s[0:1], s[4:5], 0x8
	s_add_u32 s7, s4, 8
	s_addc_u32 s10, s5, 0
	s_add_u32 s11, s4, 56
	s_addc_u32 s12, s5, 0
	s_load_dwordx2 s[2:3], s[4:5], 0x38
	s_waitcnt lgkmcnt(0)
	s_bitcmp1_b32 s9, 0
	s_cselect_b32 s0, s7, s0
	s_cselect_b32 s1, s10, s1
	v_mov_b32_e32 v1, s0
	v_mov_b32_e32 v2, s1
	s_cselect_b32 s0, s11, s2
	s_cselect_b32 s1, s12, s3
	flat_load_dwordx4 v[5:8], v[1:2]
	v_mov_b32_e32 v1, s0
	v_mov_b32_e32 v2, s1
	flat_load_dwordx4 v[1:4], v[1:2]
	s_waitcnt vmcnt(1) lgkmcnt(1)
	v_cmp_eq_f64_e32 vcc_lo, 0, v[5:6]
	v_cmp_eq_f64_e64 s0, 0, v[7:8]
	s_and_b32 s2, vcc_lo, s0
	s_mov_b32 s0, -1
	s_and_saveexec_b32 s1, s2
	s_cbranch_execz .LBB251_2
; %bb.1:
	s_waitcnt vmcnt(0) lgkmcnt(0)
	v_cmp_neq_f64_e32 vcc_lo, 1.0, v[1:2]
	v_cmp_neq_f64_e64 s0, 0, v[3:4]
	s_or_b32 s0, vcc_lo, s0
	s_orn2_b32 s0, s0, exec_lo
.LBB251_2:
	s_or_b32 exec_lo, exec_lo, s1
	s_and_saveexec_b32 s1, s0
	s_cbranch_execz .LBB251_13
; %bb.3:
	s_load_dword s0, s[4:5], 0x0
	v_lshrrev_b32_e32 v9, 5, v0
	v_lshl_or_b32 v9, s6, 2, v9
	s_waitcnt lgkmcnt(0)
	v_cmp_gt_i32_e32 vcc_lo, s0, v9
	s_and_b32 exec_lo, exec_lo, vcc_lo
	s_cbranch_execz .LBB251_13
; %bb.4:
	s_clause 0x1
	s_load_dwordx2 s[0:1], s[4:5], 0x18
	s_load_dwordx2 s[6:7], s[4:5], 0x48
	v_ashrrev_i32_e32 v10, 31, v9
	v_and_b32_e32 v0, 31, v0
	s_mov_b32 s9, exec_lo
	v_lshlrev_b64 v[11:12], 2, v[9:10]
	v_subrev_nc_u32_e32 v13, s8, v0
	s_waitcnt lgkmcnt(0)
	v_add_co_u32 v11, vcc_lo, s0, v11
	v_add_co_ci_u32_e64 v12, null, s1, v12, vcc_lo
	global_load_dwordx2 v[11:12], v[11:12], off
	s_waitcnt vmcnt(0)
	v_subrev_nc_u32_e32 v20, s8, v12
	v_add_nc_u32_e32 v15, v11, v13
	v_mov_b32_e32 v11, 0
	v_mov_b32_e32 v13, 0
	;; [unrolled: 1-line block ×4, first 2 shown]
	v_cmpx_lt_i32_e64 v15, v20
	s_cbranch_execz .LBB251_8
; %bb.5:
	s_clause 0x1
	s_load_dwordx4 s[0:3], s[4:5], 0x20
	s_load_dwordx2 s[4:5], s[4:5], 0x30
	v_mad_u64_u32 v[17:18], null, v15, 6, 5
	v_mov_b32_e32 v11, 0
	v_mov_b32_e32 v13, 0
	;; [unrolled: 1-line block ×5, first 2 shown]
	s_mov_b32 s10, 0
.LBB251_6:                              ; =>This Inner Loop Header: Depth=1
	v_ashrrev_i32_e32 v16, 31, v15
	v_add_nc_u32_e32 v18, -5, v17
	v_mov_b32_e32 v54, v19
	v_lshlrev_b64 v[21:22], 2, v[15:16]
	v_add_nc_u32_e32 v15, 32, v15
	s_waitcnt lgkmcnt(0)
	v_add_co_u32 v21, vcc_lo, s0, v21
	v_add_co_ci_u32_e64 v22, null, s1, v22, vcc_lo
	global_load_dword v16, v[21:22], off
	v_lshlrev_b64 v[21:22], 4, v[18:19]
	v_add_nc_u32_e32 v18, -3, v17
	v_lshlrev_b64 v[37:38], 4, v[18:19]
	v_add_co_u32 v25, vcc_lo, s2, v21
	v_add_co_ci_u32_e64 v26, null, s3, v22, vcc_lo
	s_waitcnt vmcnt(0)
	v_subrev_nc_u32_e32 v16, s8, v16
	v_mul_lo_u32 v53, v16, 6
	v_lshlrev_b64 v[23:24], 4, v[53:54]
	v_add_nc_u32_e32 v18, 2, v53
	v_lshlrev_b64 v[39:40], 4, v[18:19]
	v_add_co_u32 v33, vcc_lo, s4, v23
	v_add_co_ci_u32_e64 v34, null, s5, v24, vcc_lo
	s_clause 0x1
	global_load_dwordx4 v[21:24], v[25:26], off offset:16
	global_load_dwordx4 v[25:28], v[25:26], off
	s_clause 0x1
	global_load_dwordx4 v[29:32], v[33:34], off
	global_load_dwordx4 v[33:36], v[33:34], off offset:16
	v_add_co_u32 v37, vcc_lo, s2, v37
	v_add_co_ci_u32_e64 v38, null, s3, v38, vcc_lo
	v_add_co_u32 v45, vcc_lo, s4, v39
	v_add_co_ci_u32_e64 v46, null, s5, v40, vcc_lo
	global_load_dwordx4 v[37:40], v[37:38], off
	s_clause 0x1
	global_load_dwordx4 v[41:44], v[45:46], off
	global_load_dwordx4 v[45:48], v[45:46], off offset:16
	v_add_nc_u32_e32 v18, -2, v17
	v_lshlrev_b64 v[49:50], 4, v[18:19]
	v_add_nc_u32_e32 v18, -1, v17
	v_add_co_u32 v49, vcc_lo, s2, v49
	v_add_co_ci_u32_e64 v50, null, s3, v50, vcc_lo
	v_lshlrev_b64 v[54:55], 4, v[18:19]
	v_add_nc_u32_e32 v18, 4, v53
	global_load_dwordx4 v[49:52], v[49:50], off
	v_lshlrev_b64 v[56:57], 4, v[18:19]
	v_add_co_u32 v53, vcc_lo, s2, v54
	v_add_co_ci_u32_e64 v54, null, s3, v55, vcc_lo
	v_mov_b32_e32 v18, v19
	v_add_co_u32 v61, vcc_lo, s4, v56
	v_add_co_ci_u32_e64 v62, null, s5, v57, vcc_lo
	global_load_dwordx4 v[53:56], v[53:54], off
	s_clause 0x1
	global_load_dwordx4 v[57:60], v[61:62], off
	global_load_dwordx4 v[61:64], v[61:62], off offset:16
	v_lshlrev_b64 v[65:66], 4, v[17:18]
	v_add_nc_u32_e32 v17, 0xc0, v17
	v_add_co_u32 v65, vcc_lo, s2, v65
	v_add_co_ci_u32_e64 v66, null, s3, v66, vcc_lo
	v_cmp_ge_i32_e32 vcc_lo, v15, v20
	global_load_dwordx4 v[65:68], v[65:66], off
	s_or_b32 s10, vcc_lo, s10
	s_waitcnt vmcnt(9)
	v_fma_f64 v[13:14], v[25:26], v[29:30], v[13:14]
	v_fma_f64 v[11:12], v[27:28], v[29:30], v[11:12]
	v_fma_f64 v[13:14], -v[27:28], v[31:32], v[13:14]
	v_fma_f64 v[11:12], v[25:26], v[31:32], v[11:12]
	s_waitcnt vmcnt(8)
	v_fma_f64 v[13:14], v[21:22], v[33:34], v[13:14]
	v_fma_f64 v[11:12], v[23:24], v[33:34], v[11:12]
	v_fma_f64 v[13:14], -v[23:24], v[35:36], v[13:14]
	v_fma_f64 v[11:12], v[21:22], v[35:36], v[11:12]
	;; [unrolled: 5-line block ×6, first 2 shown]
	s_andn2_b32 exec_lo, exec_lo, s10
	s_cbranch_execnz .LBB251_6
; %bb.7:
	s_or_b32 exec_lo, exec_lo, s10
.LBB251_8:
	s_or_b32 exec_lo, exec_lo, s9
	v_mbcnt_lo_u32_b32 v19, -1, 0
	v_xor_b32_e32 v15, 16, v19
	v_cmp_gt_i32_e32 vcc_lo, 32, v15
	v_cndmask_b32_e32 v15, v19, v15, vcc_lo
	v_lshlrev_b32_e32 v18, 2, v15
	ds_bpermute_b32 v15, v18, v13
	ds_bpermute_b32 v16, v18, v14
	;; [unrolled: 1-line block ×4, first 2 shown]
	s_waitcnt lgkmcnt(2)
	v_add_f64 v[13:14], v[13:14], v[15:16]
	v_xor_b32_e32 v15, 8, v19
	s_waitcnt lgkmcnt(0)
	v_add_f64 v[11:12], v[11:12], v[17:18]
	v_cmp_gt_i32_e32 vcc_lo, 32, v15
	v_cndmask_b32_e32 v15, v19, v15, vcc_lo
	v_lshlrev_b32_e32 v18, 2, v15
	ds_bpermute_b32 v15, v18, v13
	ds_bpermute_b32 v16, v18, v14
	;; [unrolled: 1-line block ×4, first 2 shown]
	s_waitcnt lgkmcnt(2)
	v_add_f64 v[13:14], v[13:14], v[15:16]
	v_xor_b32_e32 v15, 4, v19
	s_waitcnt lgkmcnt(0)
	v_add_f64 v[11:12], v[11:12], v[17:18]
	v_cmp_gt_i32_e32 vcc_lo, 32, v15
	v_cndmask_b32_e32 v15, v19, v15, vcc_lo
	v_lshlrev_b32_e32 v18, 2, v15
	ds_bpermute_b32 v15, v18, v13
	ds_bpermute_b32 v16, v18, v14
	ds_bpermute_b32 v17, v18, v11
	ds_bpermute_b32 v18, v18, v12
	s_waitcnt lgkmcnt(2)
	v_add_f64 v[13:14], v[13:14], v[15:16]
	s_waitcnt lgkmcnt(0)
	v_add_f64 v[15:16], v[11:12], v[17:18]
	v_xor_b32_e32 v11, 2, v19
	v_cmp_gt_i32_e32 vcc_lo, 32, v11
	v_cndmask_b32_e32 v11, v19, v11, vcc_lo
	v_lshlrev_b32_e32 v18, 2, v11
	ds_bpermute_b32 v11, v18, v13
	ds_bpermute_b32 v12, v18, v14
	;; [unrolled: 1-line block ×4, first 2 shown]
	s_waitcnt lgkmcnt(2)
	v_add_f64 v[11:12], v[13:14], v[11:12]
	s_waitcnt lgkmcnt(0)
	v_add_f64 v[13:14], v[15:16], v[17:18]
	v_xor_b32_e32 v15, 1, v19
	v_cmp_gt_i32_e32 vcc_lo, 32, v15
	v_cndmask_b32_e32 v15, v19, v15, vcc_lo
	v_cmp_eq_u32_e32 vcc_lo, 31, v0
	v_lshlrev_b32_e32 v18, 2, v15
	ds_bpermute_b32 v15, v18, v11
	ds_bpermute_b32 v16, v18, v12
	;; [unrolled: 1-line block ×4, first 2 shown]
	s_and_b32 exec_lo, exec_lo, vcc_lo
	s_cbranch_execz .LBB251_13
; %bb.9:
	s_waitcnt lgkmcnt(0)
	v_add_f64 v[13:14], v[13:14], v[17:18]
	v_add_f64 v[11:12], v[11:12], v[15:16]
	v_cmp_eq_f64_e32 vcc_lo, 0, v[1:2]
	v_cmp_eq_f64_e64 s0, 0, v[3:4]
	v_lshlrev_b64 v[9:10], 4, v[9:10]
	v_mul_f64 v[15:16], v[13:14], -v[7:8]
	v_mul_f64 v[13:14], v[5:6], v[13:14]
	s_and_b32 s0, vcc_lo, s0
	v_fma_f64 v[5:6], v[5:6], v[11:12], v[15:16]
	v_fma_f64 v[7:8], v[7:8], v[11:12], v[13:14]
	s_and_saveexec_b32 s1, s0
	s_xor_b32 s0, exec_lo, s1
	s_cbranch_execz .LBB251_11
; %bb.10:
	v_add_co_u32 v0, vcc_lo, s6, v9
	v_add_co_ci_u32_e64 v1, null, s7, v10, vcc_lo
                                        ; implicit-def: $vgpr9_vgpr10
	global_store_dwordx4 v[0:1], v[5:8], off
                                        ; implicit-def: $vgpr1_vgpr2
                                        ; implicit-def: $vgpr5_vgpr6
.LBB251_11:
	s_andn2_saveexec_b32 s0, s0
	s_cbranch_execz .LBB251_13
; %bb.12:
	v_add_co_u32 v13, vcc_lo, s6, v9
	v_add_co_ci_u32_e64 v14, null, s7, v10, vcc_lo
	global_load_dwordx4 v[9:12], v[13:14], off
	s_waitcnt vmcnt(0)
	v_fma_f64 v[5:6], v[1:2], v[9:10], v[5:6]
	v_fma_f64 v[7:8], v[3:4], v[9:10], v[7:8]
	v_fma_f64 v[3:4], -v[3:4], v[11:12], v[5:6]
	v_fma_f64 v[5:6], v[1:2], v[11:12], v[7:8]
	global_store_dwordx4 v[13:14], v[3:6], off
.LBB251_13:
	s_endpgm
	.section	.rodata,"a",@progbits
	.p2align	6, 0x0
	.amdhsa_kernel _ZN9rocsparseL19gebsrmvn_1xn_kernelILj128ELj6ELj32E21rocsparse_complex_numIdEEEvi20rocsparse_direction_NS_24const_host_device_scalarIT2_EEPKiS8_PKS5_SA_S6_PS5_21rocsparse_index_base_b
		.amdhsa_group_segment_fixed_size 0
		.amdhsa_private_segment_fixed_size 0
		.amdhsa_kernarg_size 88
		.amdhsa_user_sgpr_count 6
		.amdhsa_user_sgpr_private_segment_buffer 1
		.amdhsa_user_sgpr_dispatch_ptr 0
		.amdhsa_user_sgpr_queue_ptr 0
		.amdhsa_user_sgpr_kernarg_segment_ptr 1
		.amdhsa_user_sgpr_dispatch_id 0
		.amdhsa_user_sgpr_flat_scratch_init 0
		.amdhsa_user_sgpr_private_segment_size 0
		.amdhsa_wavefront_size32 1
		.amdhsa_uses_dynamic_stack 0
		.amdhsa_system_sgpr_private_segment_wavefront_offset 0
		.amdhsa_system_sgpr_workgroup_id_x 1
		.amdhsa_system_sgpr_workgroup_id_y 0
		.amdhsa_system_sgpr_workgroup_id_z 0
		.amdhsa_system_sgpr_workgroup_info 0
		.amdhsa_system_vgpr_workitem_id 0
		.amdhsa_next_free_vgpr 69
		.amdhsa_next_free_sgpr 13
		.amdhsa_reserve_vcc 1
		.amdhsa_reserve_flat_scratch 0
		.amdhsa_float_round_mode_32 0
		.amdhsa_float_round_mode_16_64 0
		.amdhsa_float_denorm_mode_32 3
		.amdhsa_float_denorm_mode_16_64 3
		.amdhsa_dx10_clamp 1
		.amdhsa_ieee_mode 1
		.amdhsa_fp16_overflow 0
		.amdhsa_workgroup_processor_mode 1
		.amdhsa_memory_ordered 1
		.amdhsa_forward_progress 1
		.amdhsa_shared_vgpr_count 0
		.amdhsa_exception_fp_ieee_invalid_op 0
		.amdhsa_exception_fp_denorm_src 0
		.amdhsa_exception_fp_ieee_div_zero 0
		.amdhsa_exception_fp_ieee_overflow 0
		.amdhsa_exception_fp_ieee_underflow 0
		.amdhsa_exception_fp_ieee_inexact 0
		.amdhsa_exception_int_div_zero 0
	.end_amdhsa_kernel
	.section	.text._ZN9rocsparseL19gebsrmvn_1xn_kernelILj128ELj6ELj32E21rocsparse_complex_numIdEEEvi20rocsparse_direction_NS_24const_host_device_scalarIT2_EEPKiS8_PKS5_SA_S6_PS5_21rocsparse_index_base_b,"axG",@progbits,_ZN9rocsparseL19gebsrmvn_1xn_kernelILj128ELj6ELj32E21rocsparse_complex_numIdEEEvi20rocsparse_direction_NS_24const_host_device_scalarIT2_EEPKiS8_PKS5_SA_S6_PS5_21rocsparse_index_base_b,comdat
.Lfunc_end251:
	.size	_ZN9rocsparseL19gebsrmvn_1xn_kernelILj128ELj6ELj32E21rocsparse_complex_numIdEEEvi20rocsparse_direction_NS_24const_host_device_scalarIT2_EEPKiS8_PKS5_SA_S6_PS5_21rocsparse_index_base_b, .Lfunc_end251-_ZN9rocsparseL19gebsrmvn_1xn_kernelILj128ELj6ELj32E21rocsparse_complex_numIdEEEvi20rocsparse_direction_NS_24const_host_device_scalarIT2_EEPKiS8_PKS5_SA_S6_PS5_21rocsparse_index_base_b
                                        ; -- End function
	.set _ZN9rocsparseL19gebsrmvn_1xn_kernelILj128ELj6ELj32E21rocsparse_complex_numIdEEEvi20rocsparse_direction_NS_24const_host_device_scalarIT2_EEPKiS8_PKS5_SA_S6_PS5_21rocsparse_index_base_b.num_vgpr, 69
	.set _ZN9rocsparseL19gebsrmvn_1xn_kernelILj128ELj6ELj32E21rocsparse_complex_numIdEEEvi20rocsparse_direction_NS_24const_host_device_scalarIT2_EEPKiS8_PKS5_SA_S6_PS5_21rocsparse_index_base_b.num_agpr, 0
	.set _ZN9rocsparseL19gebsrmvn_1xn_kernelILj128ELj6ELj32E21rocsparse_complex_numIdEEEvi20rocsparse_direction_NS_24const_host_device_scalarIT2_EEPKiS8_PKS5_SA_S6_PS5_21rocsparse_index_base_b.numbered_sgpr, 13
	.set _ZN9rocsparseL19gebsrmvn_1xn_kernelILj128ELj6ELj32E21rocsparse_complex_numIdEEEvi20rocsparse_direction_NS_24const_host_device_scalarIT2_EEPKiS8_PKS5_SA_S6_PS5_21rocsparse_index_base_b.num_named_barrier, 0
	.set _ZN9rocsparseL19gebsrmvn_1xn_kernelILj128ELj6ELj32E21rocsparse_complex_numIdEEEvi20rocsparse_direction_NS_24const_host_device_scalarIT2_EEPKiS8_PKS5_SA_S6_PS5_21rocsparse_index_base_b.private_seg_size, 0
	.set _ZN9rocsparseL19gebsrmvn_1xn_kernelILj128ELj6ELj32E21rocsparse_complex_numIdEEEvi20rocsparse_direction_NS_24const_host_device_scalarIT2_EEPKiS8_PKS5_SA_S6_PS5_21rocsparse_index_base_b.uses_vcc, 1
	.set _ZN9rocsparseL19gebsrmvn_1xn_kernelILj128ELj6ELj32E21rocsparse_complex_numIdEEEvi20rocsparse_direction_NS_24const_host_device_scalarIT2_EEPKiS8_PKS5_SA_S6_PS5_21rocsparse_index_base_b.uses_flat_scratch, 0
	.set _ZN9rocsparseL19gebsrmvn_1xn_kernelILj128ELj6ELj32E21rocsparse_complex_numIdEEEvi20rocsparse_direction_NS_24const_host_device_scalarIT2_EEPKiS8_PKS5_SA_S6_PS5_21rocsparse_index_base_b.has_dyn_sized_stack, 0
	.set _ZN9rocsparseL19gebsrmvn_1xn_kernelILj128ELj6ELj32E21rocsparse_complex_numIdEEEvi20rocsparse_direction_NS_24const_host_device_scalarIT2_EEPKiS8_PKS5_SA_S6_PS5_21rocsparse_index_base_b.has_recursion, 0
	.set _ZN9rocsparseL19gebsrmvn_1xn_kernelILj128ELj6ELj32E21rocsparse_complex_numIdEEEvi20rocsparse_direction_NS_24const_host_device_scalarIT2_EEPKiS8_PKS5_SA_S6_PS5_21rocsparse_index_base_b.has_indirect_call, 0
	.section	.AMDGPU.csdata,"",@progbits
; Kernel info:
; codeLenInByte = 1560
; TotalNumSgprs: 15
; NumVgprs: 69
; ScratchSize: 0
; MemoryBound: 0
; FloatMode: 240
; IeeeMode: 1
; LDSByteSize: 0 bytes/workgroup (compile time only)
; SGPRBlocks: 0
; VGPRBlocks: 8
; NumSGPRsForWavesPerEU: 15
; NumVGPRsForWavesPerEU: 69
; Occupancy: 12
; WaveLimiterHint : 1
; COMPUTE_PGM_RSRC2:SCRATCH_EN: 0
; COMPUTE_PGM_RSRC2:USER_SGPR: 6
; COMPUTE_PGM_RSRC2:TRAP_HANDLER: 0
; COMPUTE_PGM_RSRC2:TGID_X_EN: 1
; COMPUTE_PGM_RSRC2:TGID_Y_EN: 0
; COMPUTE_PGM_RSRC2:TGID_Z_EN: 0
; COMPUTE_PGM_RSRC2:TIDIG_COMP_CNT: 0
	.section	.text._ZN9rocsparseL19gebsrmvn_1xn_kernelILj128ELj6ELj64E21rocsparse_complex_numIdEEEvi20rocsparse_direction_NS_24const_host_device_scalarIT2_EEPKiS8_PKS5_SA_S6_PS5_21rocsparse_index_base_b,"axG",@progbits,_ZN9rocsparseL19gebsrmvn_1xn_kernelILj128ELj6ELj64E21rocsparse_complex_numIdEEEvi20rocsparse_direction_NS_24const_host_device_scalarIT2_EEPKiS8_PKS5_SA_S6_PS5_21rocsparse_index_base_b,comdat
	.globl	_ZN9rocsparseL19gebsrmvn_1xn_kernelILj128ELj6ELj64E21rocsparse_complex_numIdEEEvi20rocsparse_direction_NS_24const_host_device_scalarIT2_EEPKiS8_PKS5_SA_S6_PS5_21rocsparse_index_base_b ; -- Begin function _ZN9rocsparseL19gebsrmvn_1xn_kernelILj128ELj6ELj64E21rocsparse_complex_numIdEEEvi20rocsparse_direction_NS_24const_host_device_scalarIT2_EEPKiS8_PKS5_SA_S6_PS5_21rocsparse_index_base_b
	.p2align	8
	.type	_ZN9rocsparseL19gebsrmvn_1xn_kernelILj128ELj6ELj64E21rocsparse_complex_numIdEEEvi20rocsparse_direction_NS_24const_host_device_scalarIT2_EEPKiS8_PKS5_SA_S6_PS5_21rocsparse_index_base_b,@function
_ZN9rocsparseL19gebsrmvn_1xn_kernelILj128ELj6ELj64E21rocsparse_complex_numIdEEEvi20rocsparse_direction_NS_24const_host_device_scalarIT2_EEPKiS8_PKS5_SA_S6_PS5_21rocsparse_index_base_b: ; @_ZN9rocsparseL19gebsrmvn_1xn_kernelILj128ELj6ELj64E21rocsparse_complex_numIdEEEvi20rocsparse_direction_NS_24const_host_device_scalarIT2_EEPKiS8_PKS5_SA_S6_PS5_21rocsparse_index_base_b
; %bb.0:
	s_clause 0x1
	s_load_dwordx2 s[8:9], s[4:5], 0x50
	s_load_dwordx2 s[0:1], s[4:5], 0x8
	s_add_u32 s7, s4, 8
	s_addc_u32 s10, s5, 0
	s_add_u32 s11, s4, 56
	s_addc_u32 s12, s5, 0
	s_load_dwordx2 s[2:3], s[4:5], 0x38
	s_waitcnt lgkmcnt(0)
	s_bitcmp1_b32 s9, 0
	s_cselect_b32 s0, s7, s0
	s_cselect_b32 s1, s10, s1
	v_mov_b32_e32 v1, s0
	v_mov_b32_e32 v2, s1
	s_cselect_b32 s0, s11, s2
	s_cselect_b32 s1, s12, s3
	flat_load_dwordx4 v[5:8], v[1:2]
	v_mov_b32_e32 v1, s0
	v_mov_b32_e32 v2, s1
	flat_load_dwordx4 v[1:4], v[1:2]
	s_waitcnt vmcnt(1) lgkmcnt(1)
	v_cmp_eq_f64_e32 vcc_lo, 0, v[5:6]
	v_cmp_eq_f64_e64 s0, 0, v[7:8]
	s_and_b32 s2, vcc_lo, s0
	s_mov_b32 s0, -1
	s_and_saveexec_b32 s1, s2
	s_cbranch_execz .LBB252_2
; %bb.1:
	s_waitcnt vmcnt(0) lgkmcnt(0)
	v_cmp_neq_f64_e32 vcc_lo, 1.0, v[1:2]
	v_cmp_neq_f64_e64 s0, 0, v[3:4]
	s_or_b32 s0, vcc_lo, s0
	s_orn2_b32 s0, s0, exec_lo
.LBB252_2:
	s_or_b32 exec_lo, exec_lo, s1
	s_and_saveexec_b32 s1, s0
	s_cbranch_execz .LBB252_13
; %bb.3:
	s_load_dword s0, s[4:5], 0x0
	v_lshrrev_b32_e32 v9, 6, v0
	v_lshl_or_b32 v9, s6, 1, v9
	s_waitcnt lgkmcnt(0)
	v_cmp_gt_i32_e32 vcc_lo, s0, v9
	s_and_b32 exec_lo, exec_lo, vcc_lo
	s_cbranch_execz .LBB252_13
; %bb.4:
	s_clause 0x1
	s_load_dwordx2 s[0:1], s[4:5], 0x18
	s_load_dwordx2 s[6:7], s[4:5], 0x48
	v_ashrrev_i32_e32 v10, 31, v9
	v_and_b32_e32 v0, 63, v0
	s_mov_b32 s9, exec_lo
	v_lshlrev_b64 v[11:12], 2, v[9:10]
	v_subrev_nc_u32_e32 v13, s8, v0
	s_waitcnt lgkmcnt(0)
	v_add_co_u32 v11, vcc_lo, s0, v11
	v_add_co_ci_u32_e64 v12, null, s1, v12, vcc_lo
	global_load_dwordx2 v[11:12], v[11:12], off
	s_waitcnt vmcnt(0)
	v_subrev_nc_u32_e32 v20, s8, v12
	v_add_nc_u32_e32 v15, v11, v13
	v_mov_b32_e32 v11, 0
	v_mov_b32_e32 v13, 0
	;; [unrolled: 1-line block ×4, first 2 shown]
	v_cmpx_lt_i32_e64 v15, v20
	s_cbranch_execz .LBB252_8
; %bb.5:
	s_clause 0x1
	s_load_dwordx4 s[0:3], s[4:5], 0x20
	s_load_dwordx2 s[4:5], s[4:5], 0x30
	v_mad_u64_u32 v[17:18], null, v15, 6, 5
	v_mov_b32_e32 v11, 0
	v_mov_b32_e32 v13, 0
	;; [unrolled: 1-line block ×5, first 2 shown]
	s_mov_b32 s10, 0
.LBB252_6:                              ; =>This Inner Loop Header: Depth=1
	v_ashrrev_i32_e32 v16, 31, v15
	v_add_nc_u32_e32 v18, -5, v17
	v_mov_b32_e32 v54, v19
	v_lshlrev_b64 v[21:22], 2, v[15:16]
	v_add_nc_u32_e32 v15, 64, v15
	s_waitcnt lgkmcnt(0)
	v_add_co_u32 v21, vcc_lo, s0, v21
	v_add_co_ci_u32_e64 v22, null, s1, v22, vcc_lo
	global_load_dword v16, v[21:22], off
	v_lshlrev_b64 v[21:22], 4, v[18:19]
	v_add_nc_u32_e32 v18, -3, v17
	v_lshlrev_b64 v[37:38], 4, v[18:19]
	v_add_co_u32 v25, vcc_lo, s2, v21
	v_add_co_ci_u32_e64 v26, null, s3, v22, vcc_lo
	s_waitcnt vmcnt(0)
	v_subrev_nc_u32_e32 v16, s8, v16
	v_mul_lo_u32 v53, v16, 6
	v_lshlrev_b64 v[23:24], 4, v[53:54]
	v_add_nc_u32_e32 v18, 2, v53
	v_lshlrev_b64 v[39:40], 4, v[18:19]
	v_add_co_u32 v33, vcc_lo, s4, v23
	v_add_co_ci_u32_e64 v34, null, s5, v24, vcc_lo
	s_clause 0x1
	global_load_dwordx4 v[21:24], v[25:26], off offset:16
	global_load_dwordx4 v[25:28], v[25:26], off
	s_clause 0x1
	global_load_dwordx4 v[29:32], v[33:34], off
	global_load_dwordx4 v[33:36], v[33:34], off offset:16
	v_add_co_u32 v37, vcc_lo, s2, v37
	v_add_co_ci_u32_e64 v38, null, s3, v38, vcc_lo
	v_add_co_u32 v45, vcc_lo, s4, v39
	v_add_co_ci_u32_e64 v46, null, s5, v40, vcc_lo
	global_load_dwordx4 v[37:40], v[37:38], off
	s_clause 0x1
	global_load_dwordx4 v[41:44], v[45:46], off
	global_load_dwordx4 v[45:48], v[45:46], off offset:16
	v_add_nc_u32_e32 v18, -2, v17
	v_lshlrev_b64 v[49:50], 4, v[18:19]
	v_add_nc_u32_e32 v18, -1, v17
	v_add_co_u32 v49, vcc_lo, s2, v49
	v_add_co_ci_u32_e64 v50, null, s3, v50, vcc_lo
	v_lshlrev_b64 v[54:55], 4, v[18:19]
	v_add_nc_u32_e32 v18, 4, v53
	global_load_dwordx4 v[49:52], v[49:50], off
	v_lshlrev_b64 v[56:57], 4, v[18:19]
	v_add_co_u32 v53, vcc_lo, s2, v54
	v_add_co_ci_u32_e64 v54, null, s3, v55, vcc_lo
	v_mov_b32_e32 v18, v19
	v_add_co_u32 v61, vcc_lo, s4, v56
	v_add_co_ci_u32_e64 v62, null, s5, v57, vcc_lo
	global_load_dwordx4 v[53:56], v[53:54], off
	s_clause 0x1
	global_load_dwordx4 v[57:60], v[61:62], off
	global_load_dwordx4 v[61:64], v[61:62], off offset:16
	v_lshlrev_b64 v[65:66], 4, v[17:18]
	v_add_nc_u32_e32 v17, 0x180, v17
	v_add_co_u32 v65, vcc_lo, s2, v65
	v_add_co_ci_u32_e64 v66, null, s3, v66, vcc_lo
	v_cmp_ge_i32_e32 vcc_lo, v15, v20
	global_load_dwordx4 v[65:68], v[65:66], off
	s_or_b32 s10, vcc_lo, s10
	s_waitcnt vmcnt(9)
	v_fma_f64 v[13:14], v[25:26], v[29:30], v[13:14]
	v_fma_f64 v[11:12], v[27:28], v[29:30], v[11:12]
	v_fma_f64 v[13:14], -v[27:28], v[31:32], v[13:14]
	v_fma_f64 v[11:12], v[25:26], v[31:32], v[11:12]
	s_waitcnt vmcnt(8)
	v_fma_f64 v[13:14], v[21:22], v[33:34], v[13:14]
	v_fma_f64 v[11:12], v[23:24], v[33:34], v[11:12]
	v_fma_f64 v[13:14], -v[23:24], v[35:36], v[13:14]
	v_fma_f64 v[11:12], v[21:22], v[35:36], v[11:12]
	;; [unrolled: 5-line block ×6, first 2 shown]
	s_andn2_b32 exec_lo, exec_lo, s10
	s_cbranch_execnz .LBB252_6
; %bb.7:
	s_or_b32 exec_lo, exec_lo, s10
.LBB252_8:
	s_or_b32 exec_lo, exec_lo, s9
	v_mbcnt_lo_u32_b32 v19, -1, 0
	v_or_b32_e32 v15, 32, v19
	v_cmp_gt_i32_e32 vcc_lo, 32, v15
	v_cndmask_b32_e32 v15, v19, v15, vcc_lo
	v_lshlrev_b32_e32 v18, 2, v15
	ds_bpermute_b32 v15, v18, v13
	ds_bpermute_b32 v16, v18, v14
	ds_bpermute_b32 v17, v18, v11
	ds_bpermute_b32 v18, v18, v12
	s_waitcnt lgkmcnt(2)
	v_add_f64 v[13:14], v[13:14], v[15:16]
	v_xor_b32_e32 v15, 16, v19
	s_waitcnt lgkmcnt(0)
	v_add_f64 v[11:12], v[11:12], v[17:18]
	v_cmp_gt_i32_e32 vcc_lo, 32, v15
	v_cndmask_b32_e32 v15, v19, v15, vcc_lo
	v_lshlrev_b32_e32 v18, 2, v15
	ds_bpermute_b32 v15, v18, v13
	ds_bpermute_b32 v16, v18, v14
	ds_bpermute_b32 v17, v18, v11
	ds_bpermute_b32 v18, v18, v12
	s_waitcnt lgkmcnt(2)
	v_add_f64 v[13:14], v[13:14], v[15:16]
	v_xor_b32_e32 v15, 8, v19
	s_waitcnt lgkmcnt(0)
	v_add_f64 v[11:12], v[11:12], v[17:18]
	;; [unrolled: 12-line block ×3, first 2 shown]
	v_cmp_gt_i32_e32 vcc_lo, 32, v15
	v_cndmask_b32_e32 v15, v19, v15, vcc_lo
	v_lshlrev_b32_e32 v18, 2, v15
	ds_bpermute_b32 v15, v18, v13
	ds_bpermute_b32 v16, v18, v14
	;; [unrolled: 1-line block ×4, first 2 shown]
	s_waitcnt lgkmcnt(2)
	v_add_f64 v[13:14], v[13:14], v[15:16]
	s_waitcnt lgkmcnt(0)
	v_add_f64 v[15:16], v[11:12], v[17:18]
	v_xor_b32_e32 v11, 2, v19
	v_cmp_gt_i32_e32 vcc_lo, 32, v11
	v_cndmask_b32_e32 v11, v19, v11, vcc_lo
	v_lshlrev_b32_e32 v18, 2, v11
	ds_bpermute_b32 v11, v18, v13
	ds_bpermute_b32 v12, v18, v14
	;; [unrolled: 1-line block ×4, first 2 shown]
	s_waitcnt lgkmcnt(2)
	v_add_f64 v[11:12], v[13:14], v[11:12]
	s_waitcnt lgkmcnt(0)
	v_add_f64 v[13:14], v[15:16], v[17:18]
	v_xor_b32_e32 v15, 1, v19
	v_cmp_gt_i32_e32 vcc_lo, 32, v15
	v_cndmask_b32_e32 v15, v19, v15, vcc_lo
	v_cmp_eq_u32_e32 vcc_lo, 63, v0
	v_lshlrev_b32_e32 v18, 2, v15
	ds_bpermute_b32 v15, v18, v11
	ds_bpermute_b32 v16, v18, v12
	;; [unrolled: 1-line block ×4, first 2 shown]
	s_and_b32 exec_lo, exec_lo, vcc_lo
	s_cbranch_execz .LBB252_13
; %bb.9:
	s_waitcnt lgkmcnt(0)
	v_add_f64 v[13:14], v[13:14], v[17:18]
	v_add_f64 v[11:12], v[11:12], v[15:16]
	v_cmp_eq_f64_e32 vcc_lo, 0, v[1:2]
	v_cmp_eq_f64_e64 s0, 0, v[3:4]
	v_lshlrev_b64 v[9:10], 4, v[9:10]
	v_mul_f64 v[15:16], v[13:14], -v[7:8]
	v_mul_f64 v[13:14], v[5:6], v[13:14]
	s_and_b32 s0, vcc_lo, s0
	v_fma_f64 v[5:6], v[5:6], v[11:12], v[15:16]
	v_fma_f64 v[7:8], v[7:8], v[11:12], v[13:14]
	s_and_saveexec_b32 s1, s0
	s_xor_b32 s0, exec_lo, s1
	s_cbranch_execz .LBB252_11
; %bb.10:
	v_add_co_u32 v0, vcc_lo, s6, v9
	v_add_co_ci_u32_e64 v1, null, s7, v10, vcc_lo
                                        ; implicit-def: $vgpr9_vgpr10
	global_store_dwordx4 v[0:1], v[5:8], off
                                        ; implicit-def: $vgpr1_vgpr2
                                        ; implicit-def: $vgpr5_vgpr6
.LBB252_11:
	s_andn2_saveexec_b32 s0, s0
	s_cbranch_execz .LBB252_13
; %bb.12:
	v_add_co_u32 v13, vcc_lo, s6, v9
	v_add_co_ci_u32_e64 v14, null, s7, v10, vcc_lo
	global_load_dwordx4 v[9:12], v[13:14], off
	s_waitcnt vmcnt(0)
	v_fma_f64 v[5:6], v[1:2], v[9:10], v[5:6]
	v_fma_f64 v[7:8], v[3:4], v[9:10], v[7:8]
	v_fma_f64 v[3:4], -v[3:4], v[11:12], v[5:6]
	v_fma_f64 v[5:6], v[1:2], v[11:12], v[7:8]
	global_store_dwordx4 v[13:14], v[3:6], off
.LBB252_13:
	s_endpgm
	.section	.rodata,"a",@progbits
	.p2align	6, 0x0
	.amdhsa_kernel _ZN9rocsparseL19gebsrmvn_1xn_kernelILj128ELj6ELj64E21rocsparse_complex_numIdEEEvi20rocsparse_direction_NS_24const_host_device_scalarIT2_EEPKiS8_PKS5_SA_S6_PS5_21rocsparse_index_base_b
		.amdhsa_group_segment_fixed_size 0
		.amdhsa_private_segment_fixed_size 0
		.amdhsa_kernarg_size 88
		.amdhsa_user_sgpr_count 6
		.amdhsa_user_sgpr_private_segment_buffer 1
		.amdhsa_user_sgpr_dispatch_ptr 0
		.amdhsa_user_sgpr_queue_ptr 0
		.amdhsa_user_sgpr_kernarg_segment_ptr 1
		.amdhsa_user_sgpr_dispatch_id 0
		.amdhsa_user_sgpr_flat_scratch_init 0
		.amdhsa_user_sgpr_private_segment_size 0
		.amdhsa_wavefront_size32 1
		.amdhsa_uses_dynamic_stack 0
		.amdhsa_system_sgpr_private_segment_wavefront_offset 0
		.amdhsa_system_sgpr_workgroup_id_x 1
		.amdhsa_system_sgpr_workgroup_id_y 0
		.amdhsa_system_sgpr_workgroup_id_z 0
		.amdhsa_system_sgpr_workgroup_info 0
		.amdhsa_system_vgpr_workitem_id 0
		.amdhsa_next_free_vgpr 69
		.amdhsa_next_free_sgpr 13
		.amdhsa_reserve_vcc 1
		.amdhsa_reserve_flat_scratch 0
		.amdhsa_float_round_mode_32 0
		.amdhsa_float_round_mode_16_64 0
		.amdhsa_float_denorm_mode_32 3
		.amdhsa_float_denorm_mode_16_64 3
		.amdhsa_dx10_clamp 1
		.amdhsa_ieee_mode 1
		.amdhsa_fp16_overflow 0
		.amdhsa_workgroup_processor_mode 1
		.amdhsa_memory_ordered 1
		.amdhsa_forward_progress 1
		.amdhsa_shared_vgpr_count 0
		.amdhsa_exception_fp_ieee_invalid_op 0
		.amdhsa_exception_fp_denorm_src 0
		.amdhsa_exception_fp_ieee_div_zero 0
		.amdhsa_exception_fp_ieee_overflow 0
		.amdhsa_exception_fp_ieee_underflow 0
		.amdhsa_exception_fp_ieee_inexact 0
		.amdhsa_exception_int_div_zero 0
	.end_amdhsa_kernel
	.section	.text._ZN9rocsparseL19gebsrmvn_1xn_kernelILj128ELj6ELj64E21rocsparse_complex_numIdEEEvi20rocsparse_direction_NS_24const_host_device_scalarIT2_EEPKiS8_PKS5_SA_S6_PS5_21rocsparse_index_base_b,"axG",@progbits,_ZN9rocsparseL19gebsrmvn_1xn_kernelILj128ELj6ELj64E21rocsparse_complex_numIdEEEvi20rocsparse_direction_NS_24const_host_device_scalarIT2_EEPKiS8_PKS5_SA_S6_PS5_21rocsparse_index_base_b,comdat
.Lfunc_end252:
	.size	_ZN9rocsparseL19gebsrmvn_1xn_kernelILj128ELj6ELj64E21rocsparse_complex_numIdEEEvi20rocsparse_direction_NS_24const_host_device_scalarIT2_EEPKiS8_PKS5_SA_S6_PS5_21rocsparse_index_base_b, .Lfunc_end252-_ZN9rocsparseL19gebsrmvn_1xn_kernelILj128ELj6ELj64E21rocsparse_complex_numIdEEEvi20rocsparse_direction_NS_24const_host_device_scalarIT2_EEPKiS8_PKS5_SA_S6_PS5_21rocsparse_index_base_b
                                        ; -- End function
	.set _ZN9rocsparseL19gebsrmvn_1xn_kernelILj128ELj6ELj64E21rocsparse_complex_numIdEEEvi20rocsparse_direction_NS_24const_host_device_scalarIT2_EEPKiS8_PKS5_SA_S6_PS5_21rocsparse_index_base_b.num_vgpr, 69
	.set _ZN9rocsparseL19gebsrmvn_1xn_kernelILj128ELj6ELj64E21rocsparse_complex_numIdEEEvi20rocsparse_direction_NS_24const_host_device_scalarIT2_EEPKiS8_PKS5_SA_S6_PS5_21rocsparse_index_base_b.num_agpr, 0
	.set _ZN9rocsparseL19gebsrmvn_1xn_kernelILj128ELj6ELj64E21rocsparse_complex_numIdEEEvi20rocsparse_direction_NS_24const_host_device_scalarIT2_EEPKiS8_PKS5_SA_S6_PS5_21rocsparse_index_base_b.numbered_sgpr, 13
	.set _ZN9rocsparseL19gebsrmvn_1xn_kernelILj128ELj6ELj64E21rocsparse_complex_numIdEEEvi20rocsparse_direction_NS_24const_host_device_scalarIT2_EEPKiS8_PKS5_SA_S6_PS5_21rocsparse_index_base_b.num_named_barrier, 0
	.set _ZN9rocsparseL19gebsrmvn_1xn_kernelILj128ELj6ELj64E21rocsparse_complex_numIdEEEvi20rocsparse_direction_NS_24const_host_device_scalarIT2_EEPKiS8_PKS5_SA_S6_PS5_21rocsparse_index_base_b.private_seg_size, 0
	.set _ZN9rocsparseL19gebsrmvn_1xn_kernelILj128ELj6ELj64E21rocsparse_complex_numIdEEEvi20rocsparse_direction_NS_24const_host_device_scalarIT2_EEPKiS8_PKS5_SA_S6_PS5_21rocsparse_index_base_b.uses_vcc, 1
	.set _ZN9rocsparseL19gebsrmvn_1xn_kernelILj128ELj6ELj64E21rocsparse_complex_numIdEEEvi20rocsparse_direction_NS_24const_host_device_scalarIT2_EEPKiS8_PKS5_SA_S6_PS5_21rocsparse_index_base_b.uses_flat_scratch, 0
	.set _ZN9rocsparseL19gebsrmvn_1xn_kernelILj128ELj6ELj64E21rocsparse_complex_numIdEEEvi20rocsparse_direction_NS_24const_host_device_scalarIT2_EEPKiS8_PKS5_SA_S6_PS5_21rocsparse_index_base_b.has_dyn_sized_stack, 0
	.set _ZN9rocsparseL19gebsrmvn_1xn_kernelILj128ELj6ELj64E21rocsparse_complex_numIdEEEvi20rocsparse_direction_NS_24const_host_device_scalarIT2_EEPKiS8_PKS5_SA_S6_PS5_21rocsparse_index_base_b.has_recursion, 0
	.set _ZN9rocsparseL19gebsrmvn_1xn_kernelILj128ELj6ELj64E21rocsparse_complex_numIdEEEvi20rocsparse_direction_NS_24const_host_device_scalarIT2_EEPKiS8_PKS5_SA_S6_PS5_21rocsparse_index_base_b.has_indirect_call, 0
	.section	.AMDGPU.csdata,"",@progbits
; Kernel info:
; codeLenInByte = 1632
; TotalNumSgprs: 15
; NumVgprs: 69
; ScratchSize: 0
; MemoryBound: 0
; FloatMode: 240
; IeeeMode: 1
; LDSByteSize: 0 bytes/workgroup (compile time only)
; SGPRBlocks: 0
; VGPRBlocks: 8
; NumSGPRsForWavesPerEU: 15
; NumVGPRsForWavesPerEU: 69
; Occupancy: 12
; WaveLimiterHint : 1
; COMPUTE_PGM_RSRC2:SCRATCH_EN: 0
; COMPUTE_PGM_RSRC2:USER_SGPR: 6
; COMPUTE_PGM_RSRC2:TRAP_HANDLER: 0
; COMPUTE_PGM_RSRC2:TGID_X_EN: 1
; COMPUTE_PGM_RSRC2:TGID_Y_EN: 0
; COMPUTE_PGM_RSRC2:TGID_Z_EN: 0
; COMPUTE_PGM_RSRC2:TIDIG_COMP_CNT: 0
	.section	.text._ZN9rocsparseL19gebsrmvn_1xn_kernelILj128ELj7ELj4E21rocsparse_complex_numIdEEEvi20rocsparse_direction_NS_24const_host_device_scalarIT2_EEPKiS8_PKS5_SA_S6_PS5_21rocsparse_index_base_b,"axG",@progbits,_ZN9rocsparseL19gebsrmvn_1xn_kernelILj128ELj7ELj4E21rocsparse_complex_numIdEEEvi20rocsparse_direction_NS_24const_host_device_scalarIT2_EEPKiS8_PKS5_SA_S6_PS5_21rocsparse_index_base_b,comdat
	.globl	_ZN9rocsparseL19gebsrmvn_1xn_kernelILj128ELj7ELj4E21rocsparse_complex_numIdEEEvi20rocsparse_direction_NS_24const_host_device_scalarIT2_EEPKiS8_PKS5_SA_S6_PS5_21rocsparse_index_base_b ; -- Begin function _ZN9rocsparseL19gebsrmvn_1xn_kernelILj128ELj7ELj4E21rocsparse_complex_numIdEEEvi20rocsparse_direction_NS_24const_host_device_scalarIT2_EEPKiS8_PKS5_SA_S6_PS5_21rocsparse_index_base_b
	.p2align	8
	.type	_ZN9rocsparseL19gebsrmvn_1xn_kernelILj128ELj7ELj4E21rocsparse_complex_numIdEEEvi20rocsparse_direction_NS_24const_host_device_scalarIT2_EEPKiS8_PKS5_SA_S6_PS5_21rocsparse_index_base_b,@function
_ZN9rocsparseL19gebsrmvn_1xn_kernelILj128ELj7ELj4E21rocsparse_complex_numIdEEEvi20rocsparse_direction_NS_24const_host_device_scalarIT2_EEPKiS8_PKS5_SA_S6_PS5_21rocsparse_index_base_b: ; @_ZN9rocsparseL19gebsrmvn_1xn_kernelILj128ELj7ELj4E21rocsparse_complex_numIdEEEvi20rocsparse_direction_NS_24const_host_device_scalarIT2_EEPKiS8_PKS5_SA_S6_PS5_21rocsparse_index_base_b
; %bb.0:
	s_clause 0x1
	s_load_dwordx2 s[8:9], s[4:5], 0x50
	s_load_dwordx2 s[0:1], s[4:5], 0x8
	s_add_u32 s7, s4, 8
	s_addc_u32 s10, s5, 0
	s_add_u32 s11, s4, 56
	s_addc_u32 s12, s5, 0
	s_load_dwordx2 s[2:3], s[4:5], 0x38
	s_waitcnt lgkmcnt(0)
	s_bitcmp1_b32 s9, 0
	s_cselect_b32 s0, s7, s0
	s_cselect_b32 s1, s10, s1
	v_mov_b32_e32 v1, s0
	v_mov_b32_e32 v2, s1
	s_cselect_b32 s0, s11, s2
	s_cselect_b32 s1, s12, s3
	flat_load_dwordx4 v[5:8], v[1:2]
	v_mov_b32_e32 v1, s0
	v_mov_b32_e32 v2, s1
	flat_load_dwordx4 v[1:4], v[1:2]
	s_waitcnt vmcnt(1) lgkmcnt(1)
	v_cmp_eq_f64_e32 vcc_lo, 0, v[5:6]
	v_cmp_eq_f64_e64 s0, 0, v[7:8]
	s_and_b32 s2, vcc_lo, s0
	s_mov_b32 s0, -1
	s_and_saveexec_b32 s1, s2
	s_cbranch_execz .LBB253_2
; %bb.1:
	s_waitcnt vmcnt(0) lgkmcnt(0)
	v_cmp_neq_f64_e32 vcc_lo, 1.0, v[1:2]
	v_cmp_neq_f64_e64 s0, 0, v[3:4]
	s_or_b32 s0, vcc_lo, s0
	s_orn2_b32 s0, s0, exec_lo
.LBB253_2:
	s_or_b32 exec_lo, exec_lo, s1
	s_and_saveexec_b32 s1, s0
	s_cbranch_execz .LBB253_13
; %bb.3:
	s_load_dword s0, s[4:5], 0x0
	v_lshrrev_b32_e32 v9, 2, v0
	v_lshl_or_b32 v9, s6, 5, v9
	s_waitcnt lgkmcnt(0)
	v_cmp_gt_i32_e32 vcc_lo, s0, v9
	s_and_b32 exec_lo, exec_lo, vcc_lo
	s_cbranch_execz .LBB253_13
; %bb.4:
	s_clause 0x1
	s_load_dwordx2 s[0:1], s[4:5], 0x18
	s_load_dwordx2 s[6:7], s[4:5], 0x48
	v_ashrrev_i32_e32 v10, 31, v9
	v_and_b32_e32 v0, 3, v0
	v_mov_b32_e32 v16, 0
	v_mov_b32_e32 v18, 0
	;; [unrolled: 1-line block ×3, first 2 shown]
	v_lshlrev_b64 v[11:12], 2, v[9:10]
	v_subrev_nc_u32_e32 v13, s8, v0
	v_mov_b32_e32 v19, 0
	s_mov_b32 s9, exec_lo
	s_waitcnt lgkmcnt(0)
	v_add_co_u32 v11, vcc_lo, s0, v11
	v_add_co_ci_u32_e64 v12, null, s1, v12, vcc_lo
	global_load_dwordx2 v[11:12], v[11:12], off
	s_waitcnt vmcnt(0)
	v_subrev_nc_u32_e32 v20, s8, v12
	v_add_nc_u32_e32 v11, v11, v13
	v_cmpx_lt_i32_e64 v11, v20
	s_cbranch_execz .LBB253_8
; %bb.5:
	s_clause 0x1
	s_load_dwordx4 s[0:3], s[4:5], 0x20
	s_load_dwordx2 s[4:5], s[4:5], 0x30
	v_mad_u64_u32 v[13:14], null, v11, 7, 6
	v_mov_b32_e32 v16, 0
	v_mov_b32_e32 v18, 0
	;; [unrolled: 1-line block ×5, first 2 shown]
	s_mov_b32 s10, 0
.LBB253_6:                              ; =>This Inner Loop Header: Depth=1
	v_ashrrev_i32_e32 v12, 31, v11
	v_add_nc_u32_e32 v14, -6, v13
	v_mov_b32_e32 v66, v15
	v_lshlrev_b64 v[21:22], 2, v[11:12]
	v_add_nc_u32_e32 v11, 4, v11
	s_waitcnt lgkmcnt(0)
	v_add_co_u32 v21, vcc_lo, s0, v21
	v_add_co_ci_u32_e64 v22, null, s1, v22, vcc_lo
	global_load_dword v12, v[21:22], off
	v_lshlrev_b64 v[21:22], 4, v[14:15]
	v_add_nc_u32_e32 v14, -5, v13
	v_lshlrev_b64 v[29:30], 4, v[14:15]
	v_add_co_u32 v21, vcc_lo, s2, v21
	v_add_co_ci_u32_e64 v22, null, s3, v22, vcc_lo
	global_load_dwordx4 v[21:24], v[21:22], off
	s_waitcnt vmcnt(1)
	v_subrev_nc_u32_e32 v12, s8, v12
	v_mul_lo_u32 v65, v12, 7
	v_lshlrev_b64 v[25:26], 4, v[65:66]
	v_add_nc_u32_e32 v14, 1, v65
	v_lshlrev_b64 v[31:32], 4, v[14:15]
	v_add_co_u32 v25, vcc_lo, s4, v25
	v_add_co_ci_u32_e64 v26, null, s5, v26, vcc_lo
	v_add_co_u32 v29, vcc_lo, s2, v29
	v_add_co_ci_u32_e64 v30, null, s3, v30, vcc_lo
	global_load_dwordx4 v[25:28], v[25:26], off
	v_add_co_u32 v33, vcc_lo, s4, v31
	v_add_co_ci_u32_e64 v34, null, s5, v32, vcc_lo
	global_load_dwordx4 v[29:32], v[29:30], off
	global_load_dwordx4 v[33:36], v[33:34], off
	v_add_nc_u32_e32 v14, -4, v13
	v_lshlrev_b64 v[37:38], 4, v[14:15]
	v_add_nc_u32_e32 v14, 2, v65
	v_lshlrev_b64 v[39:40], 4, v[14:15]
	v_add_co_u32 v37, vcc_lo, s2, v37
	v_add_co_ci_u32_e64 v38, null, s3, v38, vcc_lo
	v_add_nc_u32_e32 v14, -3, v13
	v_add_co_u32 v41, vcc_lo, s4, v39
	v_add_co_ci_u32_e64 v42, null, s5, v40, vcc_lo
	global_load_dwordx4 v[37:40], v[37:38], off
	global_load_dwordx4 v[41:44], v[41:42], off
	v_lshlrev_b64 v[45:46], 4, v[14:15]
	v_add_nc_u32_e32 v14, 3, v65
	v_lshlrev_b64 v[47:48], 4, v[14:15]
	v_add_co_u32 v45, vcc_lo, s2, v45
	v_add_co_ci_u32_e64 v46, null, s3, v46, vcc_lo
	v_add_nc_u32_e32 v14, -2, v13
	v_add_co_u32 v49, vcc_lo, s4, v47
	v_add_co_ci_u32_e64 v50, null, s5, v48, vcc_lo
	global_load_dwordx4 v[45:48], v[45:46], off
	global_load_dwordx4 v[49:52], v[49:50], off
	;; [unrolled: 10-line block ×3, first 2 shown]
	v_lshlrev_b64 v[61:62], 4, v[14:15]
	v_add_nc_u32_e32 v14, 5, v65
	v_lshlrev_b64 v[63:64], 4, v[14:15]
	v_add_co_u32 v61, vcc_lo, s2, v61
	v_add_co_ci_u32_e64 v62, null, s3, v62, vcc_lo
	v_mov_b32_e32 v14, v15
	v_add_co_u32 v66, vcc_lo, s4, v63
	v_add_co_ci_u32_e64 v67, null, s5, v64, vcc_lo
	global_load_dwordx4 v[61:64], v[61:62], off
	s_waitcnt vmcnt(9)
	v_fma_f64 v[18:19], v[21:22], v[25:26], v[18:19]
	v_fma_f64 v[16:17], v[23:24], v[25:26], v[16:17]
	v_fma_f64 v[68:69], -v[23:24], v[27:28], v[18:19]
	v_fma_f64 v[70:71], v[21:22], v[27:28], v[16:17]
	global_load_dwordx4 v[16:19], v[66:67], off
	v_lshlrev_b64 v[21:22], 4, v[13:14]
	v_add_nc_u32_e32 v14, 6, v65
	v_add_nc_u32_e32 v13, 28, v13
	v_lshlrev_b64 v[23:24], 4, v[14:15]
	v_add_co_u32 v21, vcc_lo, s2, v21
	v_add_co_ci_u32_e64 v22, null, s3, v22, vcc_lo
	v_add_co_u32 v25, vcc_lo, s4, v23
	v_add_co_ci_u32_e64 v26, null, s5, v24, vcc_lo
	global_load_dwordx4 v[21:24], v[21:22], off
	global_load_dwordx4 v[25:28], v[25:26], off
	s_waitcnt vmcnt(10)
	v_fma_f64 v[65:66], v[29:30], v[33:34], v[68:69]
	v_fma_f64 v[33:34], v[31:32], v[33:34], v[70:71]
	v_cmp_ge_i32_e32 vcc_lo, v11, v20
	s_or_b32 s10, vcc_lo, s10
	v_fma_f64 v[31:32], -v[31:32], v[35:36], v[65:66]
	v_fma_f64 v[29:30], v[29:30], v[35:36], v[33:34]
	s_waitcnt vmcnt(8)
	v_fma_f64 v[31:32], v[37:38], v[41:42], v[31:32]
	v_fma_f64 v[29:30], v[39:40], v[41:42], v[29:30]
	v_fma_f64 v[31:32], -v[39:40], v[43:44], v[31:32]
	v_fma_f64 v[29:30], v[37:38], v[43:44], v[29:30]
	s_waitcnt vmcnt(6)
	v_fma_f64 v[31:32], v[45:46], v[49:50], v[31:32]
	v_fma_f64 v[29:30], v[47:48], v[49:50], v[29:30]
	;; [unrolled: 5-line block ×5, first 2 shown]
	v_fma_f64 v[18:19], -v[23:24], v[27:28], v[18:19]
	v_fma_f64 v[16:17], v[21:22], v[27:28], v[16:17]
	s_andn2_b32 exec_lo, exec_lo, s10
	s_cbranch_execnz .LBB253_6
; %bb.7:
	s_or_b32 exec_lo, exec_lo, s10
.LBB253_8:
	s_or_b32 exec_lo, exec_lo, s9
	v_mbcnt_lo_u32_b32 v15, -1, 0
	v_xor_b32_e32 v11, 2, v15
	v_cmp_gt_i32_e32 vcc_lo, 32, v11
	v_cndmask_b32_e32 v11, v15, v11, vcc_lo
	v_lshlrev_b32_e32 v14, 2, v11
	ds_bpermute_b32 v11, v14, v18
	ds_bpermute_b32 v12, v14, v19
	;; [unrolled: 1-line block ×4, first 2 shown]
	s_waitcnt lgkmcnt(2)
	v_add_f64 v[11:12], v[18:19], v[11:12]
	s_waitcnt lgkmcnt(0)
	v_add_f64 v[13:14], v[16:17], v[13:14]
	v_xor_b32_e32 v16, 1, v15
	v_cmp_gt_i32_e32 vcc_lo, 32, v16
	v_cndmask_b32_e32 v15, v15, v16, vcc_lo
	v_cmp_eq_u32_e32 vcc_lo, 3, v0
	v_lshlrev_b32_e32 v18, 2, v15
	ds_bpermute_b32 v15, v18, v11
	ds_bpermute_b32 v16, v18, v12
	;; [unrolled: 1-line block ×4, first 2 shown]
	s_and_b32 exec_lo, exec_lo, vcc_lo
	s_cbranch_execz .LBB253_13
; %bb.9:
	s_waitcnt lgkmcnt(0)
	v_add_f64 v[13:14], v[13:14], v[17:18]
	v_add_f64 v[11:12], v[11:12], v[15:16]
	v_cmp_eq_f64_e32 vcc_lo, 0, v[1:2]
	v_cmp_eq_f64_e64 s0, 0, v[3:4]
	v_lshlrev_b64 v[9:10], 4, v[9:10]
	v_mul_f64 v[15:16], v[13:14], -v[7:8]
	v_mul_f64 v[13:14], v[5:6], v[13:14]
	s_and_b32 s0, vcc_lo, s0
	v_fma_f64 v[5:6], v[5:6], v[11:12], v[15:16]
	v_fma_f64 v[7:8], v[7:8], v[11:12], v[13:14]
	s_and_saveexec_b32 s1, s0
	s_xor_b32 s0, exec_lo, s1
	s_cbranch_execz .LBB253_11
; %bb.10:
	v_add_co_u32 v0, vcc_lo, s6, v9
	v_add_co_ci_u32_e64 v1, null, s7, v10, vcc_lo
                                        ; implicit-def: $vgpr9_vgpr10
	global_store_dwordx4 v[0:1], v[5:8], off
                                        ; implicit-def: $vgpr1_vgpr2
                                        ; implicit-def: $vgpr5_vgpr6
.LBB253_11:
	s_andn2_saveexec_b32 s0, s0
	s_cbranch_execz .LBB253_13
; %bb.12:
	v_add_co_u32 v13, vcc_lo, s6, v9
	v_add_co_ci_u32_e64 v14, null, s7, v10, vcc_lo
	global_load_dwordx4 v[9:12], v[13:14], off
	s_waitcnt vmcnt(0)
	v_fma_f64 v[5:6], v[1:2], v[9:10], v[5:6]
	v_fma_f64 v[7:8], v[3:4], v[9:10], v[7:8]
	v_fma_f64 v[3:4], -v[3:4], v[11:12], v[5:6]
	v_fma_f64 v[5:6], v[1:2], v[11:12], v[7:8]
	global_store_dwordx4 v[13:14], v[3:6], off
.LBB253_13:
	s_endpgm
	.section	.rodata,"a",@progbits
	.p2align	6, 0x0
	.amdhsa_kernel _ZN9rocsparseL19gebsrmvn_1xn_kernelILj128ELj7ELj4E21rocsparse_complex_numIdEEEvi20rocsparse_direction_NS_24const_host_device_scalarIT2_EEPKiS8_PKS5_SA_S6_PS5_21rocsparse_index_base_b
		.amdhsa_group_segment_fixed_size 0
		.amdhsa_private_segment_fixed_size 0
		.amdhsa_kernarg_size 88
		.amdhsa_user_sgpr_count 6
		.amdhsa_user_sgpr_private_segment_buffer 1
		.amdhsa_user_sgpr_dispatch_ptr 0
		.amdhsa_user_sgpr_queue_ptr 0
		.amdhsa_user_sgpr_kernarg_segment_ptr 1
		.amdhsa_user_sgpr_dispatch_id 0
		.amdhsa_user_sgpr_flat_scratch_init 0
		.amdhsa_user_sgpr_private_segment_size 0
		.amdhsa_wavefront_size32 1
		.amdhsa_uses_dynamic_stack 0
		.amdhsa_system_sgpr_private_segment_wavefront_offset 0
		.amdhsa_system_sgpr_workgroup_id_x 1
		.amdhsa_system_sgpr_workgroup_id_y 0
		.amdhsa_system_sgpr_workgroup_id_z 0
		.amdhsa_system_sgpr_workgroup_info 0
		.amdhsa_system_vgpr_workitem_id 0
		.amdhsa_next_free_vgpr 72
		.amdhsa_next_free_sgpr 13
		.amdhsa_reserve_vcc 1
		.amdhsa_reserve_flat_scratch 0
		.amdhsa_float_round_mode_32 0
		.amdhsa_float_round_mode_16_64 0
		.amdhsa_float_denorm_mode_32 3
		.amdhsa_float_denorm_mode_16_64 3
		.amdhsa_dx10_clamp 1
		.amdhsa_ieee_mode 1
		.amdhsa_fp16_overflow 0
		.amdhsa_workgroup_processor_mode 1
		.amdhsa_memory_ordered 1
		.amdhsa_forward_progress 1
		.amdhsa_shared_vgpr_count 0
		.amdhsa_exception_fp_ieee_invalid_op 0
		.amdhsa_exception_fp_denorm_src 0
		.amdhsa_exception_fp_ieee_div_zero 0
		.amdhsa_exception_fp_ieee_overflow 0
		.amdhsa_exception_fp_ieee_underflow 0
		.amdhsa_exception_fp_ieee_inexact 0
		.amdhsa_exception_int_div_zero 0
	.end_amdhsa_kernel
	.section	.text._ZN9rocsparseL19gebsrmvn_1xn_kernelILj128ELj7ELj4E21rocsparse_complex_numIdEEEvi20rocsparse_direction_NS_24const_host_device_scalarIT2_EEPKiS8_PKS5_SA_S6_PS5_21rocsparse_index_base_b,"axG",@progbits,_ZN9rocsparseL19gebsrmvn_1xn_kernelILj128ELj7ELj4E21rocsparse_complex_numIdEEEvi20rocsparse_direction_NS_24const_host_device_scalarIT2_EEPKiS8_PKS5_SA_S6_PS5_21rocsparse_index_base_b,comdat
.Lfunc_end253:
	.size	_ZN9rocsparseL19gebsrmvn_1xn_kernelILj128ELj7ELj4E21rocsparse_complex_numIdEEEvi20rocsparse_direction_NS_24const_host_device_scalarIT2_EEPKiS8_PKS5_SA_S6_PS5_21rocsparse_index_base_b, .Lfunc_end253-_ZN9rocsparseL19gebsrmvn_1xn_kernelILj128ELj7ELj4E21rocsparse_complex_numIdEEEvi20rocsparse_direction_NS_24const_host_device_scalarIT2_EEPKiS8_PKS5_SA_S6_PS5_21rocsparse_index_base_b
                                        ; -- End function
	.set _ZN9rocsparseL19gebsrmvn_1xn_kernelILj128ELj7ELj4E21rocsparse_complex_numIdEEEvi20rocsparse_direction_NS_24const_host_device_scalarIT2_EEPKiS8_PKS5_SA_S6_PS5_21rocsparse_index_base_b.num_vgpr, 72
	.set _ZN9rocsparseL19gebsrmvn_1xn_kernelILj128ELj7ELj4E21rocsparse_complex_numIdEEEvi20rocsparse_direction_NS_24const_host_device_scalarIT2_EEPKiS8_PKS5_SA_S6_PS5_21rocsparse_index_base_b.num_agpr, 0
	.set _ZN9rocsparseL19gebsrmvn_1xn_kernelILj128ELj7ELj4E21rocsparse_complex_numIdEEEvi20rocsparse_direction_NS_24const_host_device_scalarIT2_EEPKiS8_PKS5_SA_S6_PS5_21rocsparse_index_base_b.numbered_sgpr, 13
	.set _ZN9rocsparseL19gebsrmvn_1xn_kernelILj128ELj7ELj4E21rocsparse_complex_numIdEEEvi20rocsparse_direction_NS_24const_host_device_scalarIT2_EEPKiS8_PKS5_SA_S6_PS5_21rocsparse_index_base_b.num_named_barrier, 0
	.set _ZN9rocsparseL19gebsrmvn_1xn_kernelILj128ELj7ELj4E21rocsparse_complex_numIdEEEvi20rocsparse_direction_NS_24const_host_device_scalarIT2_EEPKiS8_PKS5_SA_S6_PS5_21rocsparse_index_base_b.private_seg_size, 0
	.set _ZN9rocsparseL19gebsrmvn_1xn_kernelILj128ELj7ELj4E21rocsparse_complex_numIdEEEvi20rocsparse_direction_NS_24const_host_device_scalarIT2_EEPKiS8_PKS5_SA_S6_PS5_21rocsparse_index_base_b.uses_vcc, 1
	.set _ZN9rocsparseL19gebsrmvn_1xn_kernelILj128ELj7ELj4E21rocsparse_complex_numIdEEEvi20rocsparse_direction_NS_24const_host_device_scalarIT2_EEPKiS8_PKS5_SA_S6_PS5_21rocsparse_index_base_b.uses_flat_scratch, 0
	.set _ZN9rocsparseL19gebsrmvn_1xn_kernelILj128ELj7ELj4E21rocsparse_complex_numIdEEEvi20rocsparse_direction_NS_24const_host_device_scalarIT2_EEPKiS8_PKS5_SA_S6_PS5_21rocsparse_index_base_b.has_dyn_sized_stack, 0
	.set _ZN9rocsparseL19gebsrmvn_1xn_kernelILj128ELj7ELj4E21rocsparse_complex_numIdEEEvi20rocsparse_direction_NS_24const_host_device_scalarIT2_EEPKiS8_PKS5_SA_S6_PS5_21rocsparse_index_base_b.has_recursion, 0
	.set _ZN9rocsparseL19gebsrmvn_1xn_kernelILj128ELj7ELj4E21rocsparse_complex_numIdEEEvi20rocsparse_direction_NS_24const_host_device_scalarIT2_EEPKiS8_PKS5_SA_S6_PS5_21rocsparse_index_base_b.has_indirect_call, 0
	.section	.AMDGPU.csdata,"",@progbits
; Kernel info:
; codeLenInByte = 1544
; TotalNumSgprs: 15
; NumVgprs: 72
; ScratchSize: 0
; MemoryBound: 0
; FloatMode: 240
; IeeeMode: 1
; LDSByteSize: 0 bytes/workgroup (compile time only)
; SGPRBlocks: 0
; VGPRBlocks: 8
; NumSGPRsForWavesPerEU: 15
; NumVGPRsForWavesPerEU: 72
; Occupancy: 12
; WaveLimiterHint : 1
; COMPUTE_PGM_RSRC2:SCRATCH_EN: 0
; COMPUTE_PGM_RSRC2:USER_SGPR: 6
; COMPUTE_PGM_RSRC2:TRAP_HANDLER: 0
; COMPUTE_PGM_RSRC2:TGID_X_EN: 1
; COMPUTE_PGM_RSRC2:TGID_Y_EN: 0
; COMPUTE_PGM_RSRC2:TGID_Z_EN: 0
; COMPUTE_PGM_RSRC2:TIDIG_COMP_CNT: 0
	.section	.text._ZN9rocsparseL19gebsrmvn_1xn_kernelILj128ELj7ELj8E21rocsparse_complex_numIdEEEvi20rocsparse_direction_NS_24const_host_device_scalarIT2_EEPKiS8_PKS5_SA_S6_PS5_21rocsparse_index_base_b,"axG",@progbits,_ZN9rocsparseL19gebsrmvn_1xn_kernelILj128ELj7ELj8E21rocsparse_complex_numIdEEEvi20rocsparse_direction_NS_24const_host_device_scalarIT2_EEPKiS8_PKS5_SA_S6_PS5_21rocsparse_index_base_b,comdat
	.globl	_ZN9rocsparseL19gebsrmvn_1xn_kernelILj128ELj7ELj8E21rocsparse_complex_numIdEEEvi20rocsparse_direction_NS_24const_host_device_scalarIT2_EEPKiS8_PKS5_SA_S6_PS5_21rocsparse_index_base_b ; -- Begin function _ZN9rocsparseL19gebsrmvn_1xn_kernelILj128ELj7ELj8E21rocsparse_complex_numIdEEEvi20rocsparse_direction_NS_24const_host_device_scalarIT2_EEPKiS8_PKS5_SA_S6_PS5_21rocsparse_index_base_b
	.p2align	8
	.type	_ZN9rocsparseL19gebsrmvn_1xn_kernelILj128ELj7ELj8E21rocsparse_complex_numIdEEEvi20rocsparse_direction_NS_24const_host_device_scalarIT2_EEPKiS8_PKS5_SA_S6_PS5_21rocsparse_index_base_b,@function
_ZN9rocsparseL19gebsrmvn_1xn_kernelILj128ELj7ELj8E21rocsparse_complex_numIdEEEvi20rocsparse_direction_NS_24const_host_device_scalarIT2_EEPKiS8_PKS5_SA_S6_PS5_21rocsparse_index_base_b: ; @_ZN9rocsparseL19gebsrmvn_1xn_kernelILj128ELj7ELj8E21rocsparse_complex_numIdEEEvi20rocsparse_direction_NS_24const_host_device_scalarIT2_EEPKiS8_PKS5_SA_S6_PS5_21rocsparse_index_base_b
; %bb.0:
	s_clause 0x1
	s_load_dwordx2 s[8:9], s[4:5], 0x50
	s_load_dwordx2 s[0:1], s[4:5], 0x8
	s_add_u32 s7, s4, 8
	s_addc_u32 s10, s5, 0
	s_add_u32 s11, s4, 56
	s_addc_u32 s12, s5, 0
	s_load_dwordx2 s[2:3], s[4:5], 0x38
	s_waitcnt lgkmcnt(0)
	s_bitcmp1_b32 s9, 0
	s_cselect_b32 s0, s7, s0
	s_cselect_b32 s1, s10, s1
	v_mov_b32_e32 v1, s0
	v_mov_b32_e32 v2, s1
	s_cselect_b32 s0, s11, s2
	s_cselect_b32 s1, s12, s3
	flat_load_dwordx4 v[5:8], v[1:2]
	v_mov_b32_e32 v1, s0
	v_mov_b32_e32 v2, s1
	flat_load_dwordx4 v[1:4], v[1:2]
	s_waitcnt vmcnt(1) lgkmcnt(1)
	v_cmp_eq_f64_e32 vcc_lo, 0, v[5:6]
	v_cmp_eq_f64_e64 s0, 0, v[7:8]
	s_and_b32 s2, vcc_lo, s0
	s_mov_b32 s0, -1
	s_and_saveexec_b32 s1, s2
	s_cbranch_execz .LBB254_2
; %bb.1:
	s_waitcnt vmcnt(0) lgkmcnt(0)
	v_cmp_neq_f64_e32 vcc_lo, 1.0, v[1:2]
	v_cmp_neq_f64_e64 s0, 0, v[3:4]
	s_or_b32 s0, vcc_lo, s0
	s_orn2_b32 s0, s0, exec_lo
.LBB254_2:
	s_or_b32 exec_lo, exec_lo, s1
	s_and_saveexec_b32 s1, s0
	s_cbranch_execz .LBB254_13
; %bb.3:
	s_load_dword s0, s[4:5], 0x0
	v_lshrrev_b32_e32 v9, 3, v0
	v_lshl_or_b32 v9, s6, 4, v9
	s_waitcnt lgkmcnt(0)
	v_cmp_gt_i32_e32 vcc_lo, s0, v9
	s_and_b32 exec_lo, exec_lo, vcc_lo
	s_cbranch_execz .LBB254_13
; %bb.4:
	s_clause 0x1
	s_load_dwordx2 s[0:1], s[4:5], 0x18
	s_load_dwordx2 s[6:7], s[4:5], 0x48
	v_ashrrev_i32_e32 v10, 31, v9
	v_and_b32_e32 v0, 7, v0
	v_mov_b32_e32 v16, 0
	v_mov_b32_e32 v18, 0
	;; [unrolled: 1-line block ×3, first 2 shown]
	v_lshlrev_b64 v[11:12], 2, v[9:10]
	v_subrev_nc_u32_e32 v13, s8, v0
	v_mov_b32_e32 v19, 0
	s_mov_b32 s9, exec_lo
	s_waitcnt lgkmcnt(0)
	v_add_co_u32 v11, vcc_lo, s0, v11
	v_add_co_ci_u32_e64 v12, null, s1, v12, vcc_lo
	global_load_dwordx2 v[11:12], v[11:12], off
	s_waitcnt vmcnt(0)
	v_subrev_nc_u32_e32 v20, s8, v12
	v_add_nc_u32_e32 v11, v11, v13
	v_cmpx_lt_i32_e64 v11, v20
	s_cbranch_execz .LBB254_8
; %bb.5:
	s_clause 0x1
	s_load_dwordx4 s[0:3], s[4:5], 0x20
	s_load_dwordx2 s[4:5], s[4:5], 0x30
	v_mad_u64_u32 v[13:14], null, v11, 7, 6
	v_mov_b32_e32 v16, 0
	v_mov_b32_e32 v18, 0
	v_mov_b32_e32 v17, 0
	v_mov_b32_e32 v19, 0
	v_mov_b32_e32 v15, 0
	s_mov_b32 s10, 0
.LBB254_6:                              ; =>This Inner Loop Header: Depth=1
	v_ashrrev_i32_e32 v12, 31, v11
	v_add_nc_u32_e32 v14, -6, v13
	v_mov_b32_e32 v66, v15
	v_lshlrev_b64 v[21:22], 2, v[11:12]
	v_add_nc_u32_e32 v11, 8, v11
	s_waitcnt lgkmcnt(0)
	v_add_co_u32 v21, vcc_lo, s0, v21
	v_add_co_ci_u32_e64 v22, null, s1, v22, vcc_lo
	global_load_dword v12, v[21:22], off
	v_lshlrev_b64 v[21:22], 4, v[14:15]
	v_add_nc_u32_e32 v14, -5, v13
	v_lshlrev_b64 v[29:30], 4, v[14:15]
	v_add_co_u32 v21, vcc_lo, s2, v21
	v_add_co_ci_u32_e64 v22, null, s3, v22, vcc_lo
	global_load_dwordx4 v[21:24], v[21:22], off
	s_waitcnt vmcnt(1)
	v_subrev_nc_u32_e32 v12, s8, v12
	v_mul_lo_u32 v65, v12, 7
	v_lshlrev_b64 v[25:26], 4, v[65:66]
	v_add_nc_u32_e32 v14, 1, v65
	v_lshlrev_b64 v[31:32], 4, v[14:15]
	v_add_co_u32 v25, vcc_lo, s4, v25
	v_add_co_ci_u32_e64 v26, null, s5, v26, vcc_lo
	v_add_co_u32 v29, vcc_lo, s2, v29
	v_add_co_ci_u32_e64 v30, null, s3, v30, vcc_lo
	global_load_dwordx4 v[25:28], v[25:26], off
	v_add_co_u32 v33, vcc_lo, s4, v31
	v_add_co_ci_u32_e64 v34, null, s5, v32, vcc_lo
	global_load_dwordx4 v[29:32], v[29:30], off
	global_load_dwordx4 v[33:36], v[33:34], off
	v_add_nc_u32_e32 v14, -4, v13
	v_lshlrev_b64 v[37:38], 4, v[14:15]
	v_add_nc_u32_e32 v14, 2, v65
	v_lshlrev_b64 v[39:40], 4, v[14:15]
	v_add_co_u32 v37, vcc_lo, s2, v37
	v_add_co_ci_u32_e64 v38, null, s3, v38, vcc_lo
	v_add_nc_u32_e32 v14, -3, v13
	v_add_co_u32 v41, vcc_lo, s4, v39
	v_add_co_ci_u32_e64 v42, null, s5, v40, vcc_lo
	global_load_dwordx4 v[37:40], v[37:38], off
	global_load_dwordx4 v[41:44], v[41:42], off
	v_lshlrev_b64 v[45:46], 4, v[14:15]
	v_add_nc_u32_e32 v14, 3, v65
	v_lshlrev_b64 v[47:48], 4, v[14:15]
	v_add_co_u32 v45, vcc_lo, s2, v45
	v_add_co_ci_u32_e64 v46, null, s3, v46, vcc_lo
	v_add_nc_u32_e32 v14, -2, v13
	v_add_co_u32 v49, vcc_lo, s4, v47
	v_add_co_ci_u32_e64 v50, null, s5, v48, vcc_lo
	global_load_dwordx4 v[45:48], v[45:46], off
	global_load_dwordx4 v[49:52], v[49:50], off
	;; [unrolled: 10-line block ×3, first 2 shown]
	v_lshlrev_b64 v[61:62], 4, v[14:15]
	v_add_nc_u32_e32 v14, 5, v65
	v_lshlrev_b64 v[63:64], 4, v[14:15]
	v_add_co_u32 v61, vcc_lo, s2, v61
	v_add_co_ci_u32_e64 v62, null, s3, v62, vcc_lo
	v_mov_b32_e32 v14, v15
	v_add_co_u32 v66, vcc_lo, s4, v63
	v_add_co_ci_u32_e64 v67, null, s5, v64, vcc_lo
	global_load_dwordx4 v[61:64], v[61:62], off
	s_waitcnt vmcnt(9)
	v_fma_f64 v[18:19], v[21:22], v[25:26], v[18:19]
	v_fma_f64 v[16:17], v[23:24], v[25:26], v[16:17]
	v_fma_f64 v[68:69], -v[23:24], v[27:28], v[18:19]
	v_fma_f64 v[70:71], v[21:22], v[27:28], v[16:17]
	global_load_dwordx4 v[16:19], v[66:67], off
	v_lshlrev_b64 v[21:22], 4, v[13:14]
	v_add_nc_u32_e32 v14, 6, v65
	v_add_nc_u32_e32 v13, 56, v13
	v_lshlrev_b64 v[23:24], 4, v[14:15]
	v_add_co_u32 v21, vcc_lo, s2, v21
	v_add_co_ci_u32_e64 v22, null, s3, v22, vcc_lo
	v_add_co_u32 v25, vcc_lo, s4, v23
	v_add_co_ci_u32_e64 v26, null, s5, v24, vcc_lo
	global_load_dwordx4 v[21:24], v[21:22], off
	global_load_dwordx4 v[25:28], v[25:26], off
	s_waitcnt vmcnt(10)
	v_fma_f64 v[65:66], v[29:30], v[33:34], v[68:69]
	v_fma_f64 v[33:34], v[31:32], v[33:34], v[70:71]
	v_cmp_ge_i32_e32 vcc_lo, v11, v20
	s_or_b32 s10, vcc_lo, s10
	v_fma_f64 v[31:32], -v[31:32], v[35:36], v[65:66]
	v_fma_f64 v[29:30], v[29:30], v[35:36], v[33:34]
	s_waitcnt vmcnt(8)
	v_fma_f64 v[31:32], v[37:38], v[41:42], v[31:32]
	v_fma_f64 v[29:30], v[39:40], v[41:42], v[29:30]
	v_fma_f64 v[31:32], -v[39:40], v[43:44], v[31:32]
	v_fma_f64 v[29:30], v[37:38], v[43:44], v[29:30]
	s_waitcnt vmcnt(6)
	v_fma_f64 v[31:32], v[45:46], v[49:50], v[31:32]
	v_fma_f64 v[29:30], v[47:48], v[49:50], v[29:30]
	;; [unrolled: 5-line block ×5, first 2 shown]
	v_fma_f64 v[18:19], -v[23:24], v[27:28], v[18:19]
	v_fma_f64 v[16:17], v[21:22], v[27:28], v[16:17]
	s_andn2_b32 exec_lo, exec_lo, s10
	s_cbranch_execnz .LBB254_6
; %bb.7:
	s_or_b32 exec_lo, exec_lo, s10
.LBB254_8:
	s_or_b32 exec_lo, exec_lo, s9
	v_mbcnt_lo_u32_b32 v20, -1, 0
	v_xor_b32_e32 v11, 4, v20
	v_xor_b32_e32 v15, 2, v20
	v_cmp_gt_i32_e32 vcc_lo, 32, v11
	v_cndmask_b32_e32 v11, v20, v11, vcc_lo
	v_cmp_gt_i32_e32 vcc_lo, 32, v15
	v_lshlrev_b32_e32 v14, 2, v11
	v_cndmask_b32_e32 v15, v20, v15, vcc_lo
	ds_bpermute_b32 v11, v14, v18
	ds_bpermute_b32 v12, v14, v19
	;; [unrolled: 1-line block ×4, first 2 shown]
	s_waitcnt lgkmcnt(2)
	v_add_f64 v[11:12], v[18:19], v[11:12]
	v_lshlrev_b32_e32 v18, 2, v15
	s_waitcnt lgkmcnt(0)
	v_add_f64 v[13:14], v[16:17], v[13:14]
	ds_bpermute_b32 v15, v18, v11
	ds_bpermute_b32 v16, v18, v12
	ds_bpermute_b32 v17, v18, v13
	ds_bpermute_b32 v18, v18, v14
	s_waitcnt lgkmcnt(2)
	v_add_f64 v[11:12], v[11:12], v[15:16]
	v_xor_b32_e32 v15, 1, v20
	s_waitcnt lgkmcnt(0)
	v_add_f64 v[13:14], v[13:14], v[17:18]
	v_cmp_gt_i32_e32 vcc_lo, 32, v15
	v_cndmask_b32_e32 v15, v20, v15, vcc_lo
	v_cmp_eq_u32_e32 vcc_lo, 7, v0
	v_lshlrev_b32_e32 v18, 2, v15
	ds_bpermute_b32 v15, v18, v11
	ds_bpermute_b32 v16, v18, v12
	;; [unrolled: 1-line block ×4, first 2 shown]
	s_and_b32 exec_lo, exec_lo, vcc_lo
	s_cbranch_execz .LBB254_13
; %bb.9:
	s_waitcnt lgkmcnt(0)
	v_add_f64 v[13:14], v[13:14], v[17:18]
	v_add_f64 v[11:12], v[11:12], v[15:16]
	v_cmp_eq_f64_e32 vcc_lo, 0, v[1:2]
	v_cmp_eq_f64_e64 s0, 0, v[3:4]
	v_lshlrev_b64 v[9:10], 4, v[9:10]
	v_mul_f64 v[15:16], v[13:14], -v[7:8]
	v_mul_f64 v[13:14], v[5:6], v[13:14]
	s_and_b32 s0, vcc_lo, s0
	v_fma_f64 v[5:6], v[5:6], v[11:12], v[15:16]
	v_fma_f64 v[7:8], v[7:8], v[11:12], v[13:14]
	s_and_saveexec_b32 s1, s0
	s_xor_b32 s0, exec_lo, s1
	s_cbranch_execz .LBB254_11
; %bb.10:
	v_add_co_u32 v0, vcc_lo, s6, v9
	v_add_co_ci_u32_e64 v1, null, s7, v10, vcc_lo
                                        ; implicit-def: $vgpr9_vgpr10
	global_store_dwordx4 v[0:1], v[5:8], off
                                        ; implicit-def: $vgpr1_vgpr2
                                        ; implicit-def: $vgpr5_vgpr6
.LBB254_11:
	s_andn2_saveexec_b32 s0, s0
	s_cbranch_execz .LBB254_13
; %bb.12:
	v_add_co_u32 v13, vcc_lo, s6, v9
	v_add_co_ci_u32_e64 v14, null, s7, v10, vcc_lo
	global_load_dwordx4 v[9:12], v[13:14], off
	s_waitcnt vmcnt(0)
	v_fma_f64 v[5:6], v[1:2], v[9:10], v[5:6]
	v_fma_f64 v[7:8], v[3:4], v[9:10], v[7:8]
	v_fma_f64 v[3:4], -v[3:4], v[11:12], v[5:6]
	v_fma_f64 v[5:6], v[1:2], v[11:12], v[7:8]
	global_store_dwordx4 v[13:14], v[3:6], off
.LBB254_13:
	s_endpgm
	.section	.rodata,"a",@progbits
	.p2align	6, 0x0
	.amdhsa_kernel _ZN9rocsparseL19gebsrmvn_1xn_kernelILj128ELj7ELj8E21rocsparse_complex_numIdEEEvi20rocsparse_direction_NS_24const_host_device_scalarIT2_EEPKiS8_PKS5_SA_S6_PS5_21rocsparse_index_base_b
		.amdhsa_group_segment_fixed_size 0
		.amdhsa_private_segment_fixed_size 0
		.amdhsa_kernarg_size 88
		.amdhsa_user_sgpr_count 6
		.amdhsa_user_sgpr_private_segment_buffer 1
		.amdhsa_user_sgpr_dispatch_ptr 0
		.amdhsa_user_sgpr_queue_ptr 0
		.amdhsa_user_sgpr_kernarg_segment_ptr 1
		.amdhsa_user_sgpr_dispatch_id 0
		.amdhsa_user_sgpr_flat_scratch_init 0
		.amdhsa_user_sgpr_private_segment_size 0
		.amdhsa_wavefront_size32 1
		.amdhsa_uses_dynamic_stack 0
		.amdhsa_system_sgpr_private_segment_wavefront_offset 0
		.amdhsa_system_sgpr_workgroup_id_x 1
		.amdhsa_system_sgpr_workgroup_id_y 0
		.amdhsa_system_sgpr_workgroup_id_z 0
		.amdhsa_system_sgpr_workgroup_info 0
		.amdhsa_system_vgpr_workitem_id 0
		.amdhsa_next_free_vgpr 72
		.amdhsa_next_free_sgpr 13
		.amdhsa_reserve_vcc 1
		.amdhsa_reserve_flat_scratch 0
		.amdhsa_float_round_mode_32 0
		.amdhsa_float_round_mode_16_64 0
		.amdhsa_float_denorm_mode_32 3
		.amdhsa_float_denorm_mode_16_64 3
		.amdhsa_dx10_clamp 1
		.amdhsa_ieee_mode 1
		.amdhsa_fp16_overflow 0
		.amdhsa_workgroup_processor_mode 1
		.amdhsa_memory_ordered 1
		.amdhsa_forward_progress 1
		.amdhsa_shared_vgpr_count 0
		.amdhsa_exception_fp_ieee_invalid_op 0
		.amdhsa_exception_fp_denorm_src 0
		.amdhsa_exception_fp_ieee_div_zero 0
		.amdhsa_exception_fp_ieee_overflow 0
		.amdhsa_exception_fp_ieee_underflow 0
		.amdhsa_exception_fp_ieee_inexact 0
		.amdhsa_exception_int_div_zero 0
	.end_amdhsa_kernel
	.section	.text._ZN9rocsparseL19gebsrmvn_1xn_kernelILj128ELj7ELj8E21rocsparse_complex_numIdEEEvi20rocsparse_direction_NS_24const_host_device_scalarIT2_EEPKiS8_PKS5_SA_S6_PS5_21rocsparse_index_base_b,"axG",@progbits,_ZN9rocsparseL19gebsrmvn_1xn_kernelILj128ELj7ELj8E21rocsparse_complex_numIdEEEvi20rocsparse_direction_NS_24const_host_device_scalarIT2_EEPKiS8_PKS5_SA_S6_PS5_21rocsparse_index_base_b,comdat
.Lfunc_end254:
	.size	_ZN9rocsparseL19gebsrmvn_1xn_kernelILj128ELj7ELj8E21rocsparse_complex_numIdEEEvi20rocsparse_direction_NS_24const_host_device_scalarIT2_EEPKiS8_PKS5_SA_S6_PS5_21rocsparse_index_base_b, .Lfunc_end254-_ZN9rocsparseL19gebsrmvn_1xn_kernelILj128ELj7ELj8E21rocsparse_complex_numIdEEEvi20rocsparse_direction_NS_24const_host_device_scalarIT2_EEPKiS8_PKS5_SA_S6_PS5_21rocsparse_index_base_b
                                        ; -- End function
	.set _ZN9rocsparseL19gebsrmvn_1xn_kernelILj128ELj7ELj8E21rocsparse_complex_numIdEEEvi20rocsparse_direction_NS_24const_host_device_scalarIT2_EEPKiS8_PKS5_SA_S6_PS5_21rocsparse_index_base_b.num_vgpr, 72
	.set _ZN9rocsparseL19gebsrmvn_1xn_kernelILj128ELj7ELj8E21rocsparse_complex_numIdEEEvi20rocsparse_direction_NS_24const_host_device_scalarIT2_EEPKiS8_PKS5_SA_S6_PS5_21rocsparse_index_base_b.num_agpr, 0
	.set _ZN9rocsparseL19gebsrmvn_1xn_kernelILj128ELj7ELj8E21rocsparse_complex_numIdEEEvi20rocsparse_direction_NS_24const_host_device_scalarIT2_EEPKiS8_PKS5_SA_S6_PS5_21rocsparse_index_base_b.numbered_sgpr, 13
	.set _ZN9rocsparseL19gebsrmvn_1xn_kernelILj128ELj7ELj8E21rocsparse_complex_numIdEEEvi20rocsparse_direction_NS_24const_host_device_scalarIT2_EEPKiS8_PKS5_SA_S6_PS5_21rocsparse_index_base_b.num_named_barrier, 0
	.set _ZN9rocsparseL19gebsrmvn_1xn_kernelILj128ELj7ELj8E21rocsparse_complex_numIdEEEvi20rocsparse_direction_NS_24const_host_device_scalarIT2_EEPKiS8_PKS5_SA_S6_PS5_21rocsparse_index_base_b.private_seg_size, 0
	.set _ZN9rocsparseL19gebsrmvn_1xn_kernelILj128ELj7ELj8E21rocsparse_complex_numIdEEEvi20rocsparse_direction_NS_24const_host_device_scalarIT2_EEPKiS8_PKS5_SA_S6_PS5_21rocsparse_index_base_b.uses_vcc, 1
	.set _ZN9rocsparseL19gebsrmvn_1xn_kernelILj128ELj7ELj8E21rocsparse_complex_numIdEEEvi20rocsparse_direction_NS_24const_host_device_scalarIT2_EEPKiS8_PKS5_SA_S6_PS5_21rocsparse_index_base_b.uses_flat_scratch, 0
	.set _ZN9rocsparseL19gebsrmvn_1xn_kernelILj128ELj7ELj8E21rocsparse_complex_numIdEEEvi20rocsparse_direction_NS_24const_host_device_scalarIT2_EEPKiS8_PKS5_SA_S6_PS5_21rocsparse_index_base_b.has_dyn_sized_stack, 0
	.set _ZN9rocsparseL19gebsrmvn_1xn_kernelILj128ELj7ELj8E21rocsparse_complex_numIdEEEvi20rocsparse_direction_NS_24const_host_device_scalarIT2_EEPKiS8_PKS5_SA_S6_PS5_21rocsparse_index_base_b.has_recursion, 0
	.set _ZN9rocsparseL19gebsrmvn_1xn_kernelILj128ELj7ELj8E21rocsparse_complex_numIdEEEvi20rocsparse_direction_NS_24const_host_device_scalarIT2_EEPKiS8_PKS5_SA_S6_PS5_21rocsparse_index_base_b.has_indirect_call, 0
	.section	.AMDGPU.csdata,"",@progbits
; Kernel info:
; codeLenInByte = 1616
; TotalNumSgprs: 15
; NumVgprs: 72
; ScratchSize: 0
; MemoryBound: 0
; FloatMode: 240
; IeeeMode: 1
; LDSByteSize: 0 bytes/workgroup (compile time only)
; SGPRBlocks: 0
; VGPRBlocks: 8
; NumSGPRsForWavesPerEU: 15
; NumVGPRsForWavesPerEU: 72
; Occupancy: 12
; WaveLimiterHint : 1
; COMPUTE_PGM_RSRC2:SCRATCH_EN: 0
; COMPUTE_PGM_RSRC2:USER_SGPR: 6
; COMPUTE_PGM_RSRC2:TRAP_HANDLER: 0
; COMPUTE_PGM_RSRC2:TGID_X_EN: 1
; COMPUTE_PGM_RSRC2:TGID_Y_EN: 0
; COMPUTE_PGM_RSRC2:TGID_Z_EN: 0
; COMPUTE_PGM_RSRC2:TIDIG_COMP_CNT: 0
	.section	.text._ZN9rocsparseL19gebsrmvn_1xn_kernelILj128ELj7ELj16E21rocsparse_complex_numIdEEEvi20rocsparse_direction_NS_24const_host_device_scalarIT2_EEPKiS8_PKS5_SA_S6_PS5_21rocsparse_index_base_b,"axG",@progbits,_ZN9rocsparseL19gebsrmvn_1xn_kernelILj128ELj7ELj16E21rocsparse_complex_numIdEEEvi20rocsparse_direction_NS_24const_host_device_scalarIT2_EEPKiS8_PKS5_SA_S6_PS5_21rocsparse_index_base_b,comdat
	.globl	_ZN9rocsparseL19gebsrmvn_1xn_kernelILj128ELj7ELj16E21rocsparse_complex_numIdEEEvi20rocsparse_direction_NS_24const_host_device_scalarIT2_EEPKiS8_PKS5_SA_S6_PS5_21rocsparse_index_base_b ; -- Begin function _ZN9rocsparseL19gebsrmvn_1xn_kernelILj128ELj7ELj16E21rocsparse_complex_numIdEEEvi20rocsparse_direction_NS_24const_host_device_scalarIT2_EEPKiS8_PKS5_SA_S6_PS5_21rocsparse_index_base_b
	.p2align	8
	.type	_ZN9rocsparseL19gebsrmvn_1xn_kernelILj128ELj7ELj16E21rocsparse_complex_numIdEEEvi20rocsparse_direction_NS_24const_host_device_scalarIT2_EEPKiS8_PKS5_SA_S6_PS5_21rocsparse_index_base_b,@function
_ZN9rocsparseL19gebsrmvn_1xn_kernelILj128ELj7ELj16E21rocsparse_complex_numIdEEEvi20rocsparse_direction_NS_24const_host_device_scalarIT2_EEPKiS8_PKS5_SA_S6_PS5_21rocsparse_index_base_b: ; @_ZN9rocsparseL19gebsrmvn_1xn_kernelILj128ELj7ELj16E21rocsparse_complex_numIdEEEvi20rocsparse_direction_NS_24const_host_device_scalarIT2_EEPKiS8_PKS5_SA_S6_PS5_21rocsparse_index_base_b
; %bb.0:
	s_clause 0x1
	s_load_dwordx2 s[8:9], s[4:5], 0x50
	s_load_dwordx2 s[0:1], s[4:5], 0x8
	s_add_u32 s7, s4, 8
	s_addc_u32 s10, s5, 0
	s_add_u32 s11, s4, 56
	s_addc_u32 s12, s5, 0
	s_load_dwordx2 s[2:3], s[4:5], 0x38
	s_waitcnt lgkmcnt(0)
	s_bitcmp1_b32 s9, 0
	s_cselect_b32 s0, s7, s0
	s_cselect_b32 s1, s10, s1
	v_mov_b32_e32 v1, s0
	v_mov_b32_e32 v2, s1
	s_cselect_b32 s0, s11, s2
	s_cselect_b32 s1, s12, s3
	flat_load_dwordx4 v[5:8], v[1:2]
	v_mov_b32_e32 v1, s0
	v_mov_b32_e32 v2, s1
	flat_load_dwordx4 v[1:4], v[1:2]
	s_waitcnt vmcnt(1) lgkmcnt(1)
	v_cmp_eq_f64_e32 vcc_lo, 0, v[5:6]
	v_cmp_eq_f64_e64 s0, 0, v[7:8]
	s_and_b32 s2, vcc_lo, s0
	s_mov_b32 s0, -1
	s_and_saveexec_b32 s1, s2
	s_cbranch_execz .LBB255_2
; %bb.1:
	s_waitcnt vmcnt(0) lgkmcnt(0)
	v_cmp_neq_f64_e32 vcc_lo, 1.0, v[1:2]
	v_cmp_neq_f64_e64 s0, 0, v[3:4]
	s_or_b32 s0, vcc_lo, s0
	s_orn2_b32 s0, s0, exec_lo
.LBB255_2:
	s_or_b32 exec_lo, exec_lo, s1
	s_and_saveexec_b32 s1, s0
	s_cbranch_execz .LBB255_13
; %bb.3:
	s_load_dword s0, s[4:5], 0x0
	v_lshrrev_b32_e32 v9, 4, v0
	v_lshl_or_b32 v9, s6, 3, v9
	s_waitcnt lgkmcnt(0)
	v_cmp_gt_i32_e32 vcc_lo, s0, v9
	s_and_b32 exec_lo, exec_lo, vcc_lo
	s_cbranch_execz .LBB255_13
; %bb.4:
	s_clause 0x1
	s_load_dwordx2 s[0:1], s[4:5], 0x18
	s_load_dwordx2 s[6:7], s[4:5], 0x48
	v_ashrrev_i32_e32 v10, 31, v9
	v_and_b32_e32 v0, 15, v0
	v_mov_b32_e32 v16, 0
	v_mov_b32_e32 v18, 0
	;; [unrolled: 1-line block ×3, first 2 shown]
	v_lshlrev_b64 v[11:12], 2, v[9:10]
	v_subrev_nc_u32_e32 v13, s8, v0
	v_mov_b32_e32 v19, 0
	s_mov_b32 s9, exec_lo
	s_waitcnt lgkmcnt(0)
	v_add_co_u32 v11, vcc_lo, s0, v11
	v_add_co_ci_u32_e64 v12, null, s1, v12, vcc_lo
	global_load_dwordx2 v[11:12], v[11:12], off
	s_waitcnt vmcnt(0)
	v_subrev_nc_u32_e32 v20, s8, v12
	v_add_nc_u32_e32 v11, v11, v13
	v_cmpx_lt_i32_e64 v11, v20
	s_cbranch_execz .LBB255_8
; %bb.5:
	s_clause 0x1
	s_load_dwordx4 s[0:3], s[4:5], 0x20
	s_load_dwordx2 s[4:5], s[4:5], 0x30
	v_mad_u64_u32 v[13:14], null, v11, 7, 6
	v_mov_b32_e32 v16, 0
	v_mov_b32_e32 v18, 0
	;; [unrolled: 1-line block ×5, first 2 shown]
	s_mov_b32 s10, 0
.LBB255_6:                              ; =>This Inner Loop Header: Depth=1
	v_ashrrev_i32_e32 v12, 31, v11
	v_add_nc_u32_e32 v14, -6, v13
	v_mov_b32_e32 v66, v15
	v_lshlrev_b64 v[21:22], 2, v[11:12]
	v_add_nc_u32_e32 v11, 16, v11
	s_waitcnt lgkmcnt(0)
	v_add_co_u32 v21, vcc_lo, s0, v21
	v_add_co_ci_u32_e64 v22, null, s1, v22, vcc_lo
	global_load_dword v12, v[21:22], off
	v_lshlrev_b64 v[21:22], 4, v[14:15]
	v_add_nc_u32_e32 v14, -5, v13
	v_lshlrev_b64 v[29:30], 4, v[14:15]
	v_add_co_u32 v21, vcc_lo, s2, v21
	v_add_co_ci_u32_e64 v22, null, s3, v22, vcc_lo
	global_load_dwordx4 v[21:24], v[21:22], off
	s_waitcnt vmcnt(1)
	v_subrev_nc_u32_e32 v12, s8, v12
	v_mul_lo_u32 v65, v12, 7
	v_lshlrev_b64 v[25:26], 4, v[65:66]
	v_add_nc_u32_e32 v14, 1, v65
	v_lshlrev_b64 v[31:32], 4, v[14:15]
	v_add_co_u32 v25, vcc_lo, s4, v25
	v_add_co_ci_u32_e64 v26, null, s5, v26, vcc_lo
	v_add_co_u32 v29, vcc_lo, s2, v29
	v_add_co_ci_u32_e64 v30, null, s3, v30, vcc_lo
	global_load_dwordx4 v[25:28], v[25:26], off
	v_add_co_u32 v33, vcc_lo, s4, v31
	v_add_co_ci_u32_e64 v34, null, s5, v32, vcc_lo
	global_load_dwordx4 v[29:32], v[29:30], off
	global_load_dwordx4 v[33:36], v[33:34], off
	v_add_nc_u32_e32 v14, -4, v13
	v_lshlrev_b64 v[37:38], 4, v[14:15]
	v_add_nc_u32_e32 v14, 2, v65
	v_lshlrev_b64 v[39:40], 4, v[14:15]
	v_add_co_u32 v37, vcc_lo, s2, v37
	v_add_co_ci_u32_e64 v38, null, s3, v38, vcc_lo
	v_add_nc_u32_e32 v14, -3, v13
	v_add_co_u32 v41, vcc_lo, s4, v39
	v_add_co_ci_u32_e64 v42, null, s5, v40, vcc_lo
	global_load_dwordx4 v[37:40], v[37:38], off
	global_load_dwordx4 v[41:44], v[41:42], off
	v_lshlrev_b64 v[45:46], 4, v[14:15]
	v_add_nc_u32_e32 v14, 3, v65
	v_lshlrev_b64 v[47:48], 4, v[14:15]
	v_add_co_u32 v45, vcc_lo, s2, v45
	v_add_co_ci_u32_e64 v46, null, s3, v46, vcc_lo
	v_add_nc_u32_e32 v14, -2, v13
	v_add_co_u32 v49, vcc_lo, s4, v47
	v_add_co_ci_u32_e64 v50, null, s5, v48, vcc_lo
	global_load_dwordx4 v[45:48], v[45:46], off
	global_load_dwordx4 v[49:52], v[49:50], off
	;; [unrolled: 10-line block ×3, first 2 shown]
	v_lshlrev_b64 v[61:62], 4, v[14:15]
	v_add_nc_u32_e32 v14, 5, v65
	v_lshlrev_b64 v[63:64], 4, v[14:15]
	v_add_co_u32 v61, vcc_lo, s2, v61
	v_add_co_ci_u32_e64 v62, null, s3, v62, vcc_lo
	v_mov_b32_e32 v14, v15
	v_add_co_u32 v66, vcc_lo, s4, v63
	v_add_co_ci_u32_e64 v67, null, s5, v64, vcc_lo
	global_load_dwordx4 v[61:64], v[61:62], off
	s_waitcnt vmcnt(9)
	v_fma_f64 v[18:19], v[21:22], v[25:26], v[18:19]
	v_fma_f64 v[16:17], v[23:24], v[25:26], v[16:17]
	v_fma_f64 v[68:69], -v[23:24], v[27:28], v[18:19]
	v_fma_f64 v[70:71], v[21:22], v[27:28], v[16:17]
	global_load_dwordx4 v[16:19], v[66:67], off
	v_lshlrev_b64 v[21:22], 4, v[13:14]
	v_add_nc_u32_e32 v14, 6, v65
	v_add_nc_u32_e32 v13, 0x70, v13
	v_lshlrev_b64 v[23:24], 4, v[14:15]
	v_add_co_u32 v21, vcc_lo, s2, v21
	v_add_co_ci_u32_e64 v22, null, s3, v22, vcc_lo
	v_add_co_u32 v25, vcc_lo, s4, v23
	v_add_co_ci_u32_e64 v26, null, s5, v24, vcc_lo
	global_load_dwordx4 v[21:24], v[21:22], off
	global_load_dwordx4 v[25:28], v[25:26], off
	s_waitcnt vmcnt(10)
	v_fma_f64 v[65:66], v[29:30], v[33:34], v[68:69]
	v_fma_f64 v[33:34], v[31:32], v[33:34], v[70:71]
	v_cmp_ge_i32_e32 vcc_lo, v11, v20
	s_or_b32 s10, vcc_lo, s10
	v_fma_f64 v[31:32], -v[31:32], v[35:36], v[65:66]
	v_fma_f64 v[29:30], v[29:30], v[35:36], v[33:34]
	s_waitcnt vmcnt(8)
	v_fma_f64 v[31:32], v[37:38], v[41:42], v[31:32]
	v_fma_f64 v[29:30], v[39:40], v[41:42], v[29:30]
	v_fma_f64 v[31:32], -v[39:40], v[43:44], v[31:32]
	v_fma_f64 v[29:30], v[37:38], v[43:44], v[29:30]
	s_waitcnt vmcnt(6)
	v_fma_f64 v[31:32], v[45:46], v[49:50], v[31:32]
	v_fma_f64 v[29:30], v[47:48], v[49:50], v[29:30]
	v_fma_f64 v[31:32], -v[47:48], v[51:52], v[31:32]
	v_fma_f64 v[29:30], v[45:46], v[51:52], v[29:30]
	s_waitcnt vmcnt(4)
	v_fma_f64 v[31:32], v[53:54], v[57:58], v[31:32]
	v_fma_f64 v[29:30], v[55:56], v[57:58], v[29:30]
	v_fma_f64 v[31:32], -v[55:56], v[59:60], v[31:32]
	v_fma_f64 v[29:30], v[53:54], v[59:60], v[29:30]
	s_waitcnt vmcnt(2)
	v_fma_f64 v[31:32], v[61:62], v[16:17], v[31:32]
	v_fma_f64 v[16:17], v[63:64], v[16:17], v[29:30]
	v_fma_f64 v[29:30], -v[63:64], v[18:19], v[31:32]
	v_fma_f64 v[16:17], v[61:62], v[18:19], v[16:17]
	s_waitcnt vmcnt(0)
	v_fma_f64 v[18:19], v[21:22], v[25:26], v[29:30]
	v_fma_f64 v[16:17], v[23:24], v[25:26], v[16:17]
	v_fma_f64 v[18:19], -v[23:24], v[27:28], v[18:19]
	v_fma_f64 v[16:17], v[21:22], v[27:28], v[16:17]
	s_andn2_b32 exec_lo, exec_lo, s10
	s_cbranch_execnz .LBB255_6
; %bb.7:
	s_or_b32 exec_lo, exec_lo, s10
.LBB255_8:
	s_or_b32 exec_lo, exec_lo, s9
	v_mbcnt_lo_u32_b32 v20, -1, 0
	v_xor_b32_e32 v11, 8, v20
	v_xor_b32_e32 v15, 4, v20
	v_cmp_gt_i32_e32 vcc_lo, 32, v11
	v_cndmask_b32_e32 v11, v20, v11, vcc_lo
	v_cmp_gt_i32_e32 vcc_lo, 32, v15
	v_lshlrev_b32_e32 v14, 2, v11
	v_cndmask_b32_e32 v15, v20, v15, vcc_lo
	ds_bpermute_b32 v11, v14, v18
	ds_bpermute_b32 v12, v14, v19
	;; [unrolled: 1-line block ×4, first 2 shown]
	s_waitcnt lgkmcnt(2)
	v_add_f64 v[11:12], v[18:19], v[11:12]
	v_lshlrev_b32_e32 v18, 2, v15
	s_waitcnt lgkmcnt(0)
	v_add_f64 v[13:14], v[16:17], v[13:14]
	ds_bpermute_b32 v15, v18, v11
	ds_bpermute_b32 v16, v18, v12
	;; [unrolled: 1-line block ×4, first 2 shown]
	s_waitcnt lgkmcnt(2)
	v_add_f64 v[11:12], v[11:12], v[15:16]
	v_xor_b32_e32 v15, 2, v20
	s_waitcnt lgkmcnt(0)
	v_add_f64 v[13:14], v[13:14], v[17:18]
	v_cmp_gt_i32_e32 vcc_lo, 32, v15
	v_cndmask_b32_e32 v15, v20, v15, vcc_lo
	v_lshlrev_b32_e32 v18, 2, v15
	ds_bpermute_b32 v15, v18, v11
	ds_bpermute_b32 v16, v18, v12
	;; [unrolled: 1-line block ×4, first 2 shown]
	s_waitcnt lgkmcnt(2)
	v_add_f64 v[11:12], v[11:12], v[15:16]
	v_xor_b32_e32 v15, 1, v20
	s_waitcnt lgkmcnt(0)
	v_add_f64 v[13:14], v[13:14], v[17:18]
	v_cmp_gt_i32_e32 vcc_lo, 32, v15
	v_cndmask_b32_e32 v15, v20, v15, vcc_lo
	v_cmp_eq_u32_e32 vcc_lo, 15, v0
	v_lshlrev_b32_e32 v18, 2, v15
	ds_bpermute_b32 v15, v18, v11
	ds_bpermute_b32 v16, v18, v12
	;; [unrolled: 1-line block ×4, first 2 shown]
	s_and_b32 exec_lo, exec_lo, vcc_lo
	s_cbranch_execz .LBB255_13
; %bb.9:
	s_waitcnt lgkmcnt(0)
	v_add_f64 v[13:14], v[13:14], v[17:18]
	v_add_f64 v[11:12], v[11:12], v[15:16]
	v_cmp_eq_f64_e32 vcc_lo, 0, v[1:2]
	v_cmp_eq_f64_e64 s0, 0, v[3:4]
	v_lshlrev_b64 v[9:10], 4, v[9:10]
	v_mul_f64 v[15:16], v[13:14], -v[7:8]
	v_mul_f64 v[13:14], v[5:6], v[13:14]
	s_and_b32 s0, vcc_lo, s0
	v_fma_f64 v[5:6], v[5:6], v[11:12], v[15:16]
	v_fma_f64 v[7:8], v[7:8], v[11:12], v[13:14]
	s_and_saveexec_b32 s1, s0
	s_xor_b32 s0, exec_lo, s1
	s_cbranch_execz .LBB255_11
; %bb.10:
	v_add_co_u32 v0, vcc_lo, s6, v9
	v_add_co_ci_u32_e64 v1, null, s7, v10, vcc_lo
                                        ; implicit-def: $vgpr9_vgpr10
	global_store_dwordx4 v[0:1], v[5:8], off
                                        ; implicit-def: $vgpr1_vgpr2
                                        ; implicit-def: $vgpr5_vgpr6
.LBB255_11:
	s_andn2_saveexec_b32 s0, s0
	s_cbranch_execz .LBB255_13
; %bb.12:
	v_add_co_u32 v13, vcc_lo, s6, v9
	v_add_co_ci_u32_e64 v14, null, s7, v10, vcc_lo
	global_load_dwordx4 v[9:12], v[13:14], off
	s_waitcnt vmcnt(0)
	v_fma_f64 v[5:6], v[1:2], v[9:10], v[5:6]
	v_fma_f64 v[7:8], v[3:4], v[9:10], v[7:8]
	v_fma_f64 v[3:4], -v[3:4], v[11:12], v[5:6]
	v_fma_f64 v[5:6], v[1:2], v[11:12], v[7:8]
	global_store_dwordx4 v[13:14], v[3:6], off
.LBB255_13:
	s_endpgm
	.section	.rodata,"a",@progbits
	.p2align	6, 0x0
	.amdhsa_kernel _ZN9rocsparseL19gebsrmvn_1xn_kernelILj128ELj7ELj16E21rocsparse_complex_numIdEEEvi20rocsparse_direction_NS_24const_host_device_scalarIT2_EEPKiS8_PKS5_SA_S6_PS5_21rocsparse_index_base_b
		.amdhsa_group_segment_fixed_size 0
		.amdhsa_private_segment_fixed_size 0
		.amdhsa_kernarg_size 88
		.amdhsa_user_sgpr_count 6
		.amdhsa_user_sgpr_private_segment_buffer 1
		.amdhsa_user_sgpr_dispatch_ptr 0
		.amdhsa_user_sgpr_queue_ptr 0
		.amdhsa_user_sgpr_kernarg_segment_ptr 1
		.amdhsa_user_sgpr_dispatch_id 0
		.amdhsa_user_sgpr_flat_scratch_init 0
		.amdhsa_user_sgpr_private_segment_size 0
		.amdhsa_wavefront_size32 1
		.amdhsa_uses_dynamic_stack 0
		.amdhsa_system_sgpr_private_segment_wavefront_offset 0
		.amdhsa_system_sgpr_workgroup_id_x 1
		.amdhsa_system_sgpr_workgroup_id_y 0
		.amdhsa_system_sgpr_workgroup_id_z 0
		.amdhsa_system_sgpr_workgroup_info 0
		.amdhsa_system_vgpr_workitem_id 0
		.amdhsa_next_free_vgpr 72
		.amdhsa_next_free_sgpr 13
		.amdhsa_reserve_vcc 1
		.amdhsa_reserve_flat_scratch 0
		.amdhsa_float_round_mode_32 0
		.amdhsa_float_round_mode_16_64 0
		.amdhsa_float_denorm_mode_32 3
		.amdhsa_float_denorm_mode_16_64 3
		.amdhsa_dx10_clamp 1
		.amdhsa_ieee_mode 1
		.amdhsa_fp16_overflow 0
		.amdhsa_workgroup_processor_mode 1
		.amdhsa_memory_ordered 1
		.amdhsa_forward_progress 1
		.amdhsa_shared_vgpr_count 0
		.amdhsa_exception_fp_ieee_invalid_op 0
		.amdhsa_exception_fp_denorm_src 0
		.amdhsa_exception_fp_ieee_div_zero 0
		.amdhsa_exception_fp_ieee_overflow 0
		.amdhsa_exception_fp_ieee_underflow 0
		.amdhsa_exception_fp_ieee_inexact 0
		.amdhsa_exception_int_div_zero 0
	.end_amdhsa_kernel
	.section	.text._ZN9rocsparseL19gebsrmvn_1xn_kernelILj128ELj7ELj16E21rocsparse_complex_numIdEEEvi20rocsparse_direction_NS_24const_host_device_scalarIT2_EEPKiS8_PKS5_SA_S6_PS5_21rocsparse_index_base_b,"axG",@progbits,_ZN9rocsparseL19gebsrmvn_1xn_kernelILj128ELj7ELj16E21rocsparse_complex_numIdEEEvi20rocsparse_direction_NS_24const_host_device_scalarIT2_EEPKiS8_PKS5_SA_S6_PS5_21rocsparse_index_base_b,comdat
.Lfunc_end255:
	.size	_ZN9rocsparseL19gebsrmvn_1xn_kernelILj128ELj7ELj16E21rocsparse_complex_numIdEEEvi20rocsparse_direction_NS_24const_host_device_scalarIT2_EEPKiS8_PKS5_SA_S6_PS5_21rocsparse_index_base_b, .Lfunc_end255-_ZN9rocsparseL19gebsrmvn_1xn_kernelILj128ELj7ELj16E21rocsparse_complex_numIdEEEvi20rocsparse_direction_NS_24const_host_device_scalarIT2_EEPKiS8_PKS5_SA_S6_PS5_21rocsparse_index_base_b
                                        ; -- End function
	.set _ZN9rocsparseL19gebsrmvn_1xn_kernelILj128ELj7ELj16E21rocsparse_complex_numIdEEEvi20rocsparse_direction_NS_24const_host_device_scalarIT2_EEPKiS8_PKS5_SA_S6_PS5_21rocsparse_index_base_b.num_vgpr, 72
	.set _ZN9rocsparseL19gebsrmvn_1xn_kernelILj128ELj7ELj16E21rocsparse_complex_numIdEEEvi20rocsparse_direction_NS_24const_host_device_scalarIT2_EEPKiS8_PKS5_SA_S6_PS5_21rocsparse_index_base_b.num_agpr, 0
	.set _ZN9rocsparseL19gebsrmvn_1xn_kernelILj128ELj7ELj16E21rocsparse_complex_numIdEEEvi20rocsparse_direction_NS_24const_host_device_scalarIT2_EEPKiS8_PKS5_SA_S6_PS5_21rocsparse_index_base_b.numbered_sgpr, 13
	.set _ZN9rocsparseL19gebsrmvn_1xn_kernelILj128ELj7ELj16E21rocsparse_complex_numIdEEEvi20rocsparse_direction_NS_24const_host_device_scalarIT2_EEPKiS8_PKS5_SA_S6_PS5_21rocsparse_index_base_b.num_named_barrier, 0
	.set _ZN9rocsparseL19gebsrmvn_1xn_kernelILj128ELj7ELj16E21rocsparse_complex_numIdEEEvi20rocsparse_direction_NS_24const_host_device_scalarIT2_EEPKiS8_PKS5_SA_S6_PS5_21rocsparse_index_base_b.private_seg_size, 0
	.set _ZN9rocsparseL19gebsrmvn_1xn_kernelILj128ELj7ELj16E21rocsparse_complex_numIdEEEvi20rocsparse_direction_NS_24const_host_device_scalarIT2_EEPKiS8_PKS5_SA_S6_PS5_21rocsparse_index_base_b.uses_vcc, 1
	.set _ZN9rocsparseL19gebsrmvn_1xn_kernelILj128ELj7ELj16E21rocsparse_complex_numIdEEEvi20rocsparse_direction_NS_24const_host_device_scalarIT2_EEPKiS8_PKS5_SA_S6_PS5_21rocsparse_index_base_b.uses_flat_scratch, 0
	.set _ZN9rocsparseL19gebsrmvn_1xn_kernelILj128ELj7ELj16E21rocsparse_complex_numIdEEEvi20rocsparse_direction_NS_24const_host_device_scalarIT2_EEPKiS8_PKS5_SA_S6_PS5_21rocsparse_index_base_b.has_dyn_sized_stack, 0
	.set _ZN9rocsparseL19gebsrmvn_1xn_kernelILj128ELj7ELj16E21rocsparse_complex_numIdEEEvi20rocsparse_direction_NS_24const_host_device_scalarIT2_EEPKiS8_PKS5_SA_S6_PS5_21rocsparse_index_base_b.has_recursion, 0
	.set _ZN9rocsparseL19gebsrmvn_1xn_kernelILj128ELj7ELj16E21rocsparse_complex_numIdEEEvi20rocsparse_direction_NS_24const_host_device_scalarIT2_EEPKiS8_PKS5_SA_S6_PS5_21rocsparse_index_base_b.has_indirect_call, 0
	.section	.AMDGPU.csdata,"",@progbits
; Kernel info:
; codeLenInByte = 1692
; TotalNumSgprs: 15
; NumVgprs: 72
; ScratchSize: 0
; MemoryBound: 0
; FloatMode: 240
; IeeeMode: 1
; LDSByteSize: 0 bytes/workgroup (compile time only)
; SGPRBlocks: 0
; VGPRBlocks: 8
; NumSGPRsForWavesPerEU: 15
; NumVGPRsForWavesPerEU: 72
; Occupancy: 12
; WaveLimiterHint : 1
; COMPUTE_PGM_RSRC2:SCRATCH_EN: 0
; COMPUTE_PGM_RSRC2:USER_SGPR: 6
; COMPUTE_PGM_RSRC2:TRAP_HANDLER: 0
; COMPUTE_PGM_RSRC2:TGID_X_EN: 1
; COMPUTE_PGM_RSRC2:TGID_Y_EN: 0
; COMPUTE_PGM_RSRC2:TGID_Z_EN: 0
; COMPUTE_PGM_RSRC2:TIDIG_COMP_CNT: 0
	.section	.text._ZN9rocsparseL19gebsrmvn_1xn_kernelILj128ELj7ELj32E21rocsparse_complex_numIdEEEvi20rocsparse_direction_NS_24const_host_device_scalarIT2_EEPKiS8_PKS5_SA_S6_PS5_21rocsparse_index_base_b,"axG",@progbits,_ZN9rocsparseL19gebsrmvn_1xn_kernelILj128ELj7ELj32E21rocsparse_complex_numIdEEEvi20rocsparse_direction_NS_24const_host_device_scalarIT2_EEPKiS8_PKS5_SA_S6_PS5_21rocsparse_index_base_b,comdat
	.globl	_ZN9rocsparseL19gebsrmvn_1xn_kernelILj128ELj7ELj32E21rocsparse_complex_numIdEEEvi20rocsparse_direction_NS_24const_host_device_scalarIT2_EEPKiS8_PKS5_SA_S6_PS5_21rocsparse_index_base_b ; -- Begin function _ZN9rocsparseL19gebsrmvn_1xn_kernelILj128ELj7ELj32E21rocsparse_complex_numIdEEEvi20rocsparse_direction_NS_24const_host_device_scalarIT2_EEPKiS8_PKS5_SA_S6_PS5_21rocsparse_index_base_b
	.p2align	8
	.type	_ZN9rocsparseL19gebsrmvn_1xn_kernelILj128ELj7ELj32E21rocsparse_complex_numIdEEEvi20rocsparse_direction_NS_24const_host_device_scalarIT2_EEPKiS8_PKS5_SA_S6_PS5_21rocsparse_index_base_b,@function
_ZN9rocsparseL19gebsrmvn_1xn_kernelILj128ELj7ELj32E21rocsparse_complex_numIdEEEvi20rocsparse_direction_NS_24const_host_device_scalarIT2_EEPKiS8_PKS5_SA_S6_PS5_21rocsparse_index_base_b: ; @_ZN9rocsparseL19gebsrmvn_1xn_kernelILj128ELj7ELj32E21rocsparse_complex_numIdEEEvi20rocsparse_direction_NS_24const_host_device_scalarIT2_EEPKiS8_PKS5_SA_S6_PS5_21rocsparse_index_base_b
; %bb.0:
	s_clause 0x1
	s_load_dwordx2 s[8:9], s[4:5], 0x50
	s_load_dwordx2 s[0:1], s[4:5], 0x8
	s_add_u32 s7, s4, 8
	s_addc_u32 s10, s5, 0
	s_add_u32 s11, s4, 56
	s_addc_u32 s12, s5, 0
	s_load_dwordx2 s[2:3], s[4:5], 0x38
	s_waitcnt lgkmcnt(0)
	s_bitcmp1_b32 s9, 0
	s_cselect_b32 s0, s7, s0
	s_cselect_b32 s1, s10, s1
	v_mov_b32_e32 v1, s0
	v_mov_b32_e32 v2, s1
	s_cselect_b32 s0, s11, s2
	s_cselect_b32 s1, s12, s3
	flat_load_dwordx4 v[5:8], v[1:2]
	v_mov_b32_e32 v1, s0
	v_mov_b32_e32 v2, s1
	flat_load_dwordx4 v[1:4], v[1:2]
	s_waitcnt vmcnt(1) lgkmcnt(1)
	v_cmp_eq_f64_e32 vcc_lo, 0, v[5:6]
	v_cmp_eq_f64_e64 s0, 0, v[7:8]
	s_and_b32 s2, vcc_lo, s0
	s_mov_b32 s0, -1
	s_and_saveexec_b32 s1, s2
	s_cbranch_execz .LBB256_2
; %bb.1:
	s_waitcnt vmcnt(0) lgkmcnt(0)
	v_cmp_neq_f64_e32 vcc_lo, 1.0, v[1:2]
	v_cmp_neq_f64_e64 s0, 0, v[3:4]
	s_or_b32 s0, vcc_lo, s0
	s_orn2_b32 s0, s0, exec_lo
.LBB256_2:
	s_or_b32 exec_lo, exec_lo, s1
	s_and_saveexec_b32 s1, s0
	s_cbranch_execz .LBB256_13
; %bb.3:
	s_load_dword s0, s[4:5], 0x0
	v_lshrrev_b32_e32 v9, 5, v0
	v_lshl_or_b32 v9, s6, 2, v9
	s_waitcnt lgkmcnt(0)
	v_cmp_gt_i32_e32 vcc_lo, s0, v9
	s_and_b32 exec_lo, exec_lo, vcc_lo
	s_cbranch_execz .LBB256_13
; %bb.4:
	s_clause 0x1
	s_load_dwordx2 s[0:1], s[4:5], 0x18
	s_load_dwordx2 s[6:7], s[4:5], 0x48
	v_ashrrev_i32_e32 v10, 31, v9
	v_and_b32_e32 v0, 31, v0
	v_mov_b32_e32 v16, 0
	v_mov_b32_e32 v18, 0
	;; [unrolled: 1-line block ×3, first 2 shown]
	v_lshlrev_b64 v[11:12], 2, v[9:10]
	v_subrev_nc_u32_e32 v13, s8, v0
	v_mov_b32_e32 v19, 0
	s_mov_b32 s9, exec_lo
	s_waitcnt lgkmcnt(0)
	v_add_co_u32 v11, vcc_lo, s0, v11
	v_add_co_ci_u32_e64 v12, null, s1, v12, vcc_lo
	global_load_dwordx2 v[11:12], v[11:12], off
	s_waitcnt vmcnt(0)
	v_subrev_nc_u32_e32 v20, s8, v12
	v_add_nc_u32_e32 v11, v11, v13
	v_cmpx_lt_i32_e64 v11, v20
	s_cbranch_execz .LBB256_8
; %bb.5:
	s_clause 0x1
	s_load_dwordx4 s[0:3], s[4:5], 0x20
	s_load_dwordx2 s[4:5], s[4:5], 0x30
	v_mad_u64_u32 v[13:14], null, v11, 7, 6
	v_mov_b32_e32 v16, 0
	v_mov_b32_e32 v18, 0
	v_mov_b32_e32 v17, 0
	v_mov_b32_e32 v19, 0
	v_mov_b32_e32 v15, 0
	s_mov_b32 s10, 0
.LBB256_6:                              ; =>This Inner Loop Header: Depth=1
	v_ashrrev_i32_e32 v12, 31, v11
	v_add_nc_u32_e32 v14, -6, v13
	v_mov_b32_e32 v66, v15
	v_lshlrev_b64 v[21:22], 2, v[11:12]
	v_add_nc_u32_e32 v11, 32, v11
	s_waitcnt lgkmcnt(0)
	v_add_co_u32 v21, vcc_lo, s0, v21
	v_add_co_ci_u32_e64 v22, null, s1, v22, vcc_lo
	global_load_dword v12, v[21:22], off
	v_lshlrev_b64 v[21:22], 4, v[14:15]
	v_add_nc_u32_e32 v14, -5, v13
	v_lshlrev_b64 v[29:30], 4, v[14:15]
	v_add_co_u32 v21, vcc_lo, s2, v21
	v_add_co_ci_u32_e64 v22, null, s3, v22, vcc_lo
	global_load_dwordx4 v[21:24], v[21:22], off
	s_waitcnt vmcnt(1)
	v_subrev_nc_u32_e32 v12, s8, v12
	v_mul_lo_u32 v65, v12, 7
	v_lshlrev_b64 v[25:26], 4, v[65:66]
	v_add_nc_u32_e32 v14, 1, v65
	v_lshlrev_b64 v[31:32], 4, v[14:15]
	v_add_co_u32 v25, vcc_lo, s4, v25
	v_add_co_ci_u32_e64 v26, null, s5, v26, vcc_lo
	v_add_co_u32 v29, vcc_lo, s2, v29
	v_add_co_ci_u32_e64 v30, null, s3, v30, vcc_lo
	global_load_dwordx4 v[25:28], v[25:26], off
	v_add_co_u32 v33, vcc_lo, s4, v31
	v_add_co_ci_u32_e64 v34, null, s5, v32, vcc_lo
	global_load_dwordx4 v[29:32], v[29:30], off
	global_load_dwordx4 v[33:36], v[33:34], off
	v_add_nc_u32_e32 v14, -4, v13
	v_lshlrev_b64 v[37:38], 4, v[14:15]
	v_add_nc_u32_e32 v14, 2, v65
	v_lshlrev_b64 v[39:40], 4, v[14:15]
	v_add_co_u32 v37, vcc_lo, s2, v37
	v_add_co_ci_u32_e64 v38, null, s3, v38, vcc_lo
	v_add_nc_u32_e32 v14, -3, v13
	v_add_co_u32 v41, vcc_lo, s4, v39
	v_add_co_ci_u32_e64 v42, null, s5, v40, vcc_lo
	global_load_dwordx4 v[37:40], v[37:38], off
	global_load_dwordx4 v[41:44], v[41:42], off
	v_lshlrev_b64 v[45:46], 4, v[14:15]
	v_add_nc_u32_e32 v14, 3, v65
	v_lshlrev_b64 v[47:48], 4, v[14:15]
	v_add_co_u32 v45, vcc_lo, s2, v45
	v_add_co_ci_u32_e64 v46, null, s3, v46, vcc_lo
	v_add_nc_u32_e32 v14, -2, v13
	v_add_co_u32 v49, vcc_lo, s4, v47
	v_add_co_ci_u32_e64 v50, null, s5, v48, vcc_lo
	global_load_dwordx4 v[45:48], v[45:46], off
	global_load_dwordx4 v[49:52], v[49:50], off
	;; [unrolled: 10-line block ×3, first 2 shown]
	v_lshlrev_b64 v[61:62], 4, v[14:15]
	v_add_nc_u32_e32 v14, 5, v65
	v_lshlrev_b64 v[63:64], 4, v[14:15]
	v_add_co_u32 v61, vcc_lo, s2, v61
	v_add_co_ci_u32_e64 v62, null, s3, v62, vcc_lo
	v_mov_b32_e32 v14, v15
	v_add_co_u32 v66, vcc_lo, s4, v63
	v_add_co_ci_u32_e64 v67, null, s5, v64, vcc_lo
	global_load_dwordx4 v[61:64], v[61:62], off
	s_waitcnt vmcnt(9)
	v_fma_f64 v[18:19], v[21:22], v[25:26], v[18:19]
	v_fma_f64 v[16:17], v[23:24], v[25:26], v[16:17]
	v_fma_f64 v[68:69], -v[23:24], v[27:28], v[18:19]
	v_fma_f64 v[70:71], v[21:22], v[27:28], v[16:17]
	global_load_dwordx4 v[16:19], v[66:67], off
	v_lshlrev_b64 v[21:22], 4, v[13:14]
	v_add_nc_u32_e32 v14, 6, v65
	v_add_nc_u32_e32 v13, 0xe0, v13
	v_lshlrev_b64 v[23:24], 4, v[14:15]
	v_add_co_u32 v21, vcc_lo, s2, v21
	v_add_co_ci_u32_e64 v22, null, s3, v22, vcc_lo
	v_add_co_u32 v25, vcc_lo, s4, v23
	v_add_co_ci_u32_e64 v26, null, s5, v24, vcc_lo
	global_load_dwordx4 v[21:24], v[21:22], off
	global_load_dwordx4 v[25:28], v[25:26], off
	s_waitcnt vmcnt(10)
	v_fma_f64 v[65:66], v[29:30], v[33:34], v[68:69]
	v_fma_f64 v[33:34], v[31:32], v[33:34], v[70:71]
	v_cmp_ge_i32_e32 vcc_lo, v11, v20
	s_or_b32 s10, vcc_lo, s10
	v_fma_f64 v[31:32], -v[31:32], v[35:36], v[65:66]
	v_fma_f64 v[29:30], v[29:30], v[35:36], v[33:34]
	s_waitcnt vmcnt(8)
	v_fma_f64 v[31:32], v[37:38], v[41:42], v[31:32]
	v_fma_f64 v[29:30], v[39:40], v[41:42], v[29:30]
	v_fma_f64 v[31:32], -v[39:40], v[43:44], v[31:32]
	v_fma_f64 v[29:30], v[37:38], v[43:44], v[29:30]
	s_waitcnt vmcnt(6)
	v_fma_f64 v[31:32], v[45:46], v[49:50], v[31:32]
	v_fma_f64 v[29:30], v[47:48], v[49:50], v[29:30]
	v_fma_f64 v[31:32], -v[47:48], v[51:52], v[31:32]
	v_fma_f64 v[29:30], v[45:46], v[51:52], v[29:30]
	s_waitcnt vmcnt(4)
	v_fma_f64 v[31:32], v[53:54], v[57:58], v[31:32]
	v_fma_f64 v[29:30], v[55:56], v[57:58], v[29:30]
	v_fma_f64 v[31:32], -v[55:56], v[59:60], v[31:32]
	v_fma_f64 v[29:30], v[53:54], v[59:60], v[29:30]
	s_waitcnt vmcnt(2)
	v_fma_f64 v[31:32], v[61:62], v[16:17], v[31:32]
	v_fma_f64 v[16:17], v[63:64], v[16:17], v[29:30]
	v_fma_f64 v[29:30], -v[63:64], v[18:19], v[31:32]
	v_fma_f64 v[16:17], v[61:62], v[18:19], v[16:17]
	s_waitcnt vmcnt(0)
	v_fma_f64 v[18:19], v[21:22], v[25:26], v[29:30]
	v_fma_f64 v[16:17], v[23:24], v[25:26], v[16:17]
	v_fma_f64 v[18:19], -v[23:24], v[27:28], v[18:19]
	v_fma_f64 v[16:17], v[21:22], v[27:28], v[16:17]
	s_andn2_b32 exec_lo, exec_lo, s10
	s_cbranch_execnz .LBB256_6
; %bb.7:
	s_or_b32 exec_lo, exec_lo, s10
.LBB256_8:
	s_or_b32 exec_lo, exec_lo, s9
	v_mbcnt_lo_u32_b32 v20, -1, 0
	v_xor_b32_e32 v11, 16, v20
	v_xor_b32_e32 v15, 8, v20
	v_cmp_gt_i32_e32 vcc_lo, 32, v11
	v_cndmask_b32_e32 v11, v20, v11, vcc_lo
	v_cmp_gt_i32_e32 vcc_lo, 32, v15
	v_lshlrev_b32_e32 v14, 2, v11
	v_cndmask_b32_e32 v15, v20, v15, vcc_lo
	ds_bpermute_b32 v11, v14, v18
	ds_bpermute_b32 v12, v14, v19
	;; [unrolled: 1-line block ×4, first 2 shown]
	s_waitcnt lgkmcnt(2)
	v_add_f64 v[11:12], v[18:19], v[11:12]
	v_lshlrev_b32_e32 v18, 2, v15
	s_waitcnt lgkmcnt(0)
	v_add_f64 v[13:14], v[16:17], v[13:14]
	ds_bpermute_b32 v15, v18, v11
	ds_bpermute_b32 v16, v18, v12
	;; [unrolled: 1-line block ×4, first 2 shown]
	s_waitcnt lgkmcnt(2)
	v_add_f64 v[11:12], v[11:12], v[15:16]
	v_xor_b32_e32 v15, 4, v20
	s_waitcnt lgkmcnt(0)
	v_add_f64 v[13:14], v[13:14], v[17:18]
	v_cmp_gt_i32_e32 vcc_lo, 32, v15
	v_cndmask_b32_e32 v15, v20, v15, vcc_lo
	v_lshlrev_b32_e32 v18, 2, v15
	ds_bpermute_b32 v15, v18, v11
	ds_bpermute_b32 v16, v18, v12
	;; [unrolled: 1-line block ×4, first 2 shown]
	s_waitcnt lgkmcnt(2)
	v_add_f64 v[11:12], v[11:12], v[15:16]
	v_xor_b32_e32 v15, 2, v20
	s_waitcnt lgkmcnt(0)
	v_add_f64 v[13:14], v[13:14], v[17:18]
	v_cmp_gt_i32_e32 vcc_lo, 32, v15
	v_cndmask_b32_e32 v15, v20, v15, vcc_lo
	v_lshlrev_b32_e32 v18, 2, v15
	ds_bpermute_b32 v15, v18, v11
	ds_bpermute_b32 v16, v18, v12
	;; [unrolled: 1-line block ×4, first 2 shown]
	s_waitcnt lgkmcnt(2)
	v_add_f64 v[11:12], v[11:12], v[15:16]
	v_xor_b32_e32 v15, 1, v20
	s_waitcnt lgkmcnt(0)
	v_add_f64 v[13:14], v[13:14], v[17:18]
	v_cmp_gt_i32_e32 vcc_lo, 32, v15
	v_cndmask_b32_e32 v15, v20, v15, vcc_lo
	v_cmp_eq_u32_e32 vcc_lo, 31, v0
	v_lshlrev_b32_e32 v18, 2, v15
	ds_bpermute_b32 v15, v18, v11
	ds_bpermute_b32 v16, v18, v12
	;; [unrolled: 1-line block ×4, first 2 shown]
	s_and_b32 exec_lo, exec_lo, vcc_lo
	s_cbranch_execz .LBB256_13
; %bb.9:
	s_waitcnt lgkmcnt(0)
	v_add_f64 v[13:14], v[13:14], v[17:18]
	v_add_f64 v[11:12], v[11:12], v[15:16]
	v_cmp_eq_f64_e32 vcc_lo, 0, v[1:2]
	v_cmp_eq_f64_e64 s0, 0, v[3:4]
	v_lshlrev_b64 v[9:10], 4, v[9:10]
	v_mul_f64 v[15:16], v[13:14], -v[7:8]
	v_mul_f64 v[13:14], v[5:6], v[13:14]
	s_and_b32 s0, vcc_lo, s0
	v_fma_f64 v[5:6], v[5:6], v[11:12], v[15:16]
	v_fma_f64 v[7:8], v[7:8], v[11:12], v[13:14]
	s_and_saveexec_b32 s1, s0
	s_xor_b32 s0, exec_lo, s1
	s_cbranch_execz .LBB256_11
; %bb.10:
	v_add_co_u32 v0, vcc_lo, s6, v9
	v_add_co_ci_u32_e64 v1, null, s7, v10, vcc_lo
                                        ; implicit-def: $vgpr9_vgpr10
	global_store_dwordx4 v[0:1], v[5:8], off
                                        ; implicit-def: $vgpr1_vgpr2
                                        ; implicit-def: $vgpr5_vgpr6
.LBB256_11:
	s_andn2_saveexec_b32 s0, s0
	s_cbranch_execz .LBB256_13
; %bb.12:
	v_add_co_u32 v13, vcc_lo, s6, v9
	v_add_co_ci_u32_e64 v14, null, s7, v10, vcc_lo
	global_load_dwordx4 v[9:12], v[13:14], off
	s_waitcnt vmcnt(0)
	v_fma_f64 v[5:6], v[1:2], v[9:10], v[5:6]
	v_fma_f64 v[7:8], v[3:4], v[9:10], v[7:8]
	v_fma_f64 v[3:4], -v[3:4], v[11:12], v[5:6]
	v_fma_f64 v[5:6], v[1:2], v[11:12], v[7:8]
	global_store_dwordx4 v[13:14], v[3:6], off
.LBB256_13:
	s_endpgm
	.section	.rodata,"a",@progbits
	.p2align	6, 0x0
	.amdhsa_kernel _ZN9rocsparseL19gebsrmvn_1xn_kernelILj128ELj7ELj32E21rocsparse_complex_numIdEEEvi20rocsparse_direction_NS_24const_host_device_scalarIT2_EEPKiS8_PKS5_SA_S6_PS5_21rocsparse_index_base_b
		.amdhsa_group_segment_fixed_size 0
		.amdhsa_private_segment_fixed_size 0
		.amdhsa_kernarg_size 88
		.amdhsa_user_sgpr_count 6
		.amdhsa_user_sgpr_private_segment_buffer 1
		.amdhsa_user_sgpr_dispatch_ptr 0
		.amdhsa_user_sgpr_queue_ptr 0
		.amdhsa_user_sgpr_kernarg_segment_ptr 1
		.amdhsa_user_sgpr_dispatch_id 0
		.amdhsa_user_sgpr_flat_scratch_init 0
		.amdhsa_user_sgpr_private_segment_size 0
		.amdhsa_wavefront_size32 1
		.amdhsa_uses_dynamic_stack 0
		.amdhsa_system_sgpr_private_segment_wavefront_offset 0
		.amdhsa_system_sgpr_workgroup_id_x 1
		.amdhsa_system_sgpr_workgroup_id_y 0
		.amdhsa_system_sgpr_workgroup_id_z 0
		.amdhsa_system_sgpr_workgroup_info 0
		.amdhsa_system_vgpr_workitem_id 0
		.amdhsa_next_free_vgpr 72
		.amdhsa_next_free_sgpr 13
		.amdhsa_reserve_vcc 1
		.amdhsa_reserve_flat_scratch 0
		.amdhsa_float_round_mode_32 0
		.amdhsa_float_round_mode_16_64 0
		.amdhsa_float_denorm_mode_32 3
		.amdhsa_float_denorm_mode_16_64 3
		.amdhsa_dx10_clamp 1
		.amdhsa_ieee_mode 1
		.amdhsa_fp16_overflow 0
		.amdhsa_workgroup_processor_mode 1
		.amdhsa_memory_ordered 1
		.amdhsa_forward_progress 1
		.amdhsa_shared_vgpr_count 0
		.amdhsa_exception_fp_ieee_invalid_op 0
		.amdhsa_exception_fp_denorm_src 0
		.amdhsa_exception_fp_ieee_div_zero 0
		.amdhsa_exception_fp_ieee_overflow 0
		.amdhsa_exception_fp_ieee_underflow 0
		.amdhsa_exception_fp_ieee_inexact 0
		.amdhsa_exception_int_div_zero 0
	.end_amdhsa_kernel
	.section	.text._ZN9rocsparseL19gebsrmvn_1xn_kernelILj128ELj7ELj32E21rocsparse_complex_numIdEEEvi20rocsparse_direction_NS_24const_host_device_scalarIT2_EEPKiS8_PKS5_SA_S6_PS5_21rocsparse_index_base_b,"axG",@progbits,_ZN9rocsparseL19gebsrmvn_1xn_kernelILj128ELj7ELj32E21rocsparse_complex_numIdEEEvi20rocsparse_direction_NS_24const_host_device_scalarIT2_EEPKiS8_PKS5_SA_S6_PS5_21rocsparse_index_base_b,comdat
.Lfunc_end256:
	.size	_ZN9rocsparseL19gebsrmvn_1xn_kernelILj128ELj7ELj32E21rocsparse_complex_numIdEEEvi20rocsparse_direction_NS_24const_host_device_scalarIT2_EEPKiS8_PKS5_SA_S6_PS5_21rocsparse_index_base_b, .Lfunc_end256-_ZN9rocsparseL19gebsrmvn_1xn_kernelILj128ELj7ELj32E21rocsparse_complex_numIdEEEvi20rocsparse_direction_NS_24const_host_device_scalarIT2_EEPKiS8_PKS5_SA_S6_PS5_21rocsparse_index_base_b
                                        ; -- End function
	.set _ZN9rocsparseL19gebsrmvn_1xn_kernelILj128ELj7ELj32E21rocsparse_complex_numIdEEEvi20rocsparse_direction_NS_24const_host_device_scalarIT2_EEPKiS8_PKS5_SA_S6_PS5_21rocsparse_index_base_b.num_vgpr, 72
	.set _ZN9rocsparseL19gebsrmvn_1xn_kernelILj128ELj7ELj32E21rocsparse_complex_numIdEEEvi20rocsparse_direction_NS_24const_host_device_scalarIT2_EEPKiS8_PKS5_SA_S6_PS5_21rocsparse_index_base_b.num_agpr, 0
	.set _ZN9rocsparseL19gebsrmvn_1xn_kernelILj128ELj7ELj32E21rocsparse_complex_numIdEEEvi20rocsparse_direction_NS_24const_host_device_scalarIT2_EEPKiS8_PKS5_SA_S6_PS5_21rocsparse_index_base_b.numbered_sgpr, 13
	.set _ZN9rocsparseL19gebsrmvn_1xn_kernelILj128ELj7ELj32E21rocsparse_complex_numIdEEEvi20rocsparse_direction_NS_24const_host_device_scalarIT2_EEPKiS8_PKS5_SA_S6_PS5_21rocsparse_index_base_b.num_named_barrier, 0
	.set _ZN9rocsparseL19gebsrmvn_1xn_kernelILj128ELj7ELj32E21rocsparse_complex_numIdEEEvi20rocsparse_direction_NS_24const_host_device_scalarIT2_EEPKiS8_PKS5_SA_S6_PS5_21rocsparse_index_base_b.private_seg_size, 0
	.set _ZN9rocsparseL19gebsrmvn_1xn_kernelILj128ELj7ELj32E21rocsparse_complex_numIdEEEvi20rocsparse_direction_NS_24const_host_device_scalarIT2_EEPKiS8_PKS5_SA_S6_PS5_21rocsparse_index_base_b.uses_vcc, 1
	.set _ZN9rocsparseL19gebsrmvn_1xn_kernelILj128ELj7ELj32E21rocsparse_complex_numIdEEEvi20rocsparse_direction_NS_24const_host_device_scalarIT2_EEPKiS8_PKS5_SA_S6_PS5_21rocsparse_index_base_b.uses_flat_scratch, 0
	.set _ZN9rocsparseL19gebsrmvn_1xn_kernelILj128ELj7ELj32E21rocsparse_complex_numIdEEEvi20rocsparse_direction_NS_24const_host_device_scalarIT2_EEPKiS8_PKS5_SA_S6_PS5_21rocsparse_index_base_b.has_dyn_sized_stack, 0
	.set _ZN9rocsparseL19gebsrmvn_1xn_kernelILj128ELj7ELj32E21rocsparse_complex_numIdEEEvi20rocsparse_direction_NS_24const_host_device_scalarIT2_EEPKiS8_PKS5_SA_S6_PS5_21rocsparse_index_base_b.has_recursion, 0
	.set _ZN9rocsparseL19gebsrmvn_1xn_kernelILj128ELj7ELj32E21rocsparse_complex_numIdEEEvi20rocsparse_direction_NS_24const_host_device_scalarIT2_EEPKiS8_PKS5_SA_S6_PS5_21rocsparse_index_base_b.has_indirect_call, 0
	.section	.AMDGPU.csdata,"",@progbits
; Kernel info:
; codeLenInByte = 1764
; TotalNumSgprs: 15
; NumVgprs: 72
; ScratchSize: 0
; MemoryBound: 0
; FloatMode: 240
; IeeeMode: 1
; LDSByteSize: 0 bytes/workgroup (compile time only)
; SGPRBlocks: 0
; VGPRBlocks: 8
; NumSGPRsForWavesPerEU: 15
; NumVGPRsForWavesPerEU: 72
; Occupancy: 12
; WaveLimiterHint : 1
; COMPUTE_PGM_RSRC2:SCRATCH_EN: 0
; COMPUTE_PGM_RSRC2:USER_SGPR: 6
; COMPUTE_PGM_RSRC2:TRAP_HANDLER: 0
; COMPUTE_PGM_RSRC2:TGID_X_EN: 1
; COMPUTE_PGM_RSRC2:TGID_Y_EN: 0
; COMPUTE_PGM_RSRC2:TGID_Z_EN: 0
; COMPUTE_PGM_RSRC2:TIDIG_COMP_CNT: 0
	.section	.text._ZN9rocsparseL19gebsrmvn_1xn_kernelILj128ELj7ELj64E21rocsparse_complex_numIdEEEvi20rocsparse_direction_NS_24const_host_device_scalarIT2_EEPKiS8_PKS5_SA_S6_PS5_21rocsparse_index_base_b,"axG",@progbits,_ZN9rocsparseL19gebsrmvn_1xn_kernelILj128ELj7ELj64E21rocsparse_complex_numIdEEEvi20rocsparse_direction_NS_24const_host_device_scalarIT2_EEPKiS8_PKS5_SA_S6_PS5_21rocsparse_index_base_b,comdat
	.globl	_ZN9rocsparseL19gebsrmvn_1xn_kernelILj128ELj7ELj64E21rocsparse_complex_numIdEEEvi20rocsparse_direction_NS_24const_host_device_scalarIT2_EEPKiS8_PKS5_SA_S6_PS5_21rocsparse_index_base_b ; -- Begin function _ZN9rocsparseL19gebsrmvn_1xn_kernelILj128ELj7ELj64E21rocsparse_complex_numIdEEEvi20rocsparse_direction_NS_24const_host_device_scalarIT2_EEPKiS8_PKS5_SA_S6_PS5_21rocsparse_index_base_b
	.p2align	8
	.type	_ZN9rocsparseL19gebsrmvn_1xn_kernelILj128ELj7ELj64E21rocsparse_complex_numIdEEEvi20rocsparse_direction_NS_24const_host_device_scalarIT2_EEPKiS8_PKS5_SA_S6_PS5_21rocsparse_index_base_b,@function
_ZN9rocsparseL19gebsrmvn_1xn_kernelILj128ELj7ELj64E21rocsparse_complex_numIdEEEvi20rocsparse_direction_NS_24const_host_device_scalarIT2_EEPKiS8_PKS5_SA_S6_PS5_21rocsparse_index_base_b: ; @_ZN9rocsparseL19gebsrmvn_1xn_kernelILj128ELj7ELj64E21rocsparse_complex_numIdEEEvi20rocsparse_direction_NS_24const_host_device_scalarIT2_EEPKiS8_PKS5_SA_S6_PS5_21rocsparse_index_base_b
; %bb.0:
	s_clause 0x1
	s_load_dwordx2 s[8:9], s[4:5], 0x50
	s_load_dwordx2 s[0:1], s[4:5], 0x8
	s_add_u32 s7, s4, 8
	s_addc_u32 s10, s5, 0
	s_add_u32 s11, s4, 56
	s_addc_u32 s12, s5, 0
	s_load_dwordx2 s[2:3], s[4:5], 0x38
	s_waitcnt lgkmcnt(0)
	s_bitcmp1_b32 s9, 0
	s_cselect_b32 s0, s7, s0
	s_cselect_b32 s1, s10, s1
	v_mov_b32_e32 v1, s0
	v_mov_b32_e32 v2, s1
	s_cselect_b32 s0, s11, s2
	s_cselect_b32 s1, s12, s3
	flat_load_dwordx4 v[5:8], v[1:2]
	v_mov_b32_e32 v1, s0
	v_mov_b32_e32 v2, s1
	flat_load_dwordx4 v[1:4], v[1:2]
	s_waitcnt vmcnt(1) lgkmcnt(1)
	v_cmp_eq_f64_e32 vcc_lo, 0, v[5:6]
	v_cmp_eq_f64_e64 s0, 0, v[7:8]
	s_and_b32 s2, vcc_lo, s0
	s_mov_b32 s0, -1
	s_and_saveexec_b32 s1, s2
	s_cbranch_execz .LBB257_2
; %bb.1:
	s_waitcnt vmcnt(0) lgkmcnt(0)
	v_cmp_neq_f64_e32 vcc_lo, 1.0, v[1:2]
	v_cmp_neq_f64_e64 s0, 0, v[3:4]
	s_or_b32 s0, vcc_lo, s0
	s_orn2_b32 s0, s0, exec_lo
.LBB257_2:
	s_or_b32 exec_lo, exec_lo, s1
	s_and_saveexec_b32 s1, s0
	s_cbranch_execz .LBB257_13
; %bb.3:
	s_load_dword s0, s[4:5], 0x0
	v_lshrrev_b32_e32 v9, 6, v0
	v_lshl_or_b32 v9, s6, 1, v9
	s_waitcnt lgkmcnt(0)
	v_cmp_gt_i32_e32 vcc_lo, s0, v9
	s_and_b32 exec_lo, exec_lo, vcc_lo
	s_cbranch_execz .LBB257_13
; %bb.4:
	s_clause 0x1
	s_load_dwordx2 s[0:1], s[4:5], 0x18
	s_load_dwordx2 s[6:7], s[4:5], 0x48
	v_ashrrev_i32_e32 v10, 31, v9
	v_and_b32_e32 v0, 63, v0
	v_mov_b32_e32 v14, 0
	v_mov_b32_e32 v18, 0
	;; [unrolled: 1-line block ×3, first 2 shown]
	v_lshlrev_b64 v[11:12], 2, v[9:10]
	v_subrev_nc_u32_e32 v13, s8, v0
	v_mov_b32_e32 v19, 0
	s_mov_b32 s9, exec_lo
	s_waitcnt lgkmcnt(0)
	v_add_co_u32 v11, vcc_lo, s0, v11
	v_add_co_ci_u32_e64 v12, null, s1, v12, vcc_lo
	global_load_dwordx2 v[11:12], v[11:12], off
	s_waitcnt vmcnt(0)
	v_subrev_nc_u32_e32 v20, s8, v12
	v_add_nc_u32_e32 v11, v11, v13
	v_cmpx_lt_i32_e64 v11, v20
	s_cbranch_execz .LBB257_8
; %bb.5:
	s_clause 0x1
	s_load_dwordx4 s[0:3], s[4:5], 0x20
	s_load_dwordx2 s[4:5], s[4:5], 0x30
	v_mad_u64_u32 v[13:14], null, v11, 7, 6
	v_mov_b32_e32 v14, 0
	v_mov_b32_e32 v18, 0
	;; [unrolled: 1-line block ×5, first 2 shown]
	s_mov_b32 s10, 0
.LBB257_6:                              ; =>This Inner Loop Header: Depth=1
	v_ashrrev_i32_e32 v12, 31, v11
	v_add_nc_u32_e32 v16, -6, v13
	v_mov_b32_e32 v66, v17
	v_lshlrev_b64 v[21:22], 2, v[11:12]
	v_add_nc_u32_e32 v11, 64, v11
	s_waitcnt lgkmcnt(0)
	v_add_co_u32 v21, vcc_lo, s0, v21
	v_add_co_ci_u32_e64 v22, null, s1, v22, vcc_lo
	global_load_dword v12, v[21:22], off
	v_lshlrev_b64 v[21:22], 4, v[16:17]
	v_add_nc_u32_e32 v16, -5, v13
	v_lshlrev_b64 v[29:30], 4, v[16:17]
	v_add_co_u32 v21, vcc_lo, s2, v21
	v_add_co_ci_u32_e64 v22, null, s3, v22, vcc_lo
	global_load_dwordx4 v[21:24], v[21:22], off
	s_waitcnt vmcnt(1)
	v_subrev_nc_u32_e32 v12, s8, v12
	v_mul_lo_u32 v65, v12, 7
	v_lshlrev_b64 v[25:26], 4, v[65:66]
	v_add_nc_u32_e32 v16, 1, v65
	v_lshlrev_b64 v[31:32], 4, v[16:17]
	v_add_co_u32 v25, vcc_lo, s4, v25
	v_add_co_ci_u32_e64 v26, null, s5, v26, vcc_lo
	v_add_co_u32 v29, vcc_lo, s2, v29
	v_add_co_ci_u32_e64 v30, null, s3, v30, vcc_lo
	global_load_dwordx4 v[25:28], v[25:26], off
	v_add_co_u32 v33, vcc_lo, s4, v31
	v_add_co_ci_u32_e64 v34, null, s5, v32, vcc_lo
	global_load_dwordx4 v[29:32], v[29:30], off
	global_load_dwordx4 v[33:36], v[33:34], off
	v_add_nc_u32_e32 v16, -4, v13
	v_lshlrev_b64 v[37:38], 4, v[16:17]
	v_add_nc_u32_e32 v16, 2, v65
	v_lshlrev_b64 v[39:40], 4, v[16:17]
	v_add_co_u32 v37, vcc_lo, s2, v37
	v_add_co_ci_u32_e64 v38, null, s3, v38, vcc_lo
	v_add_nc_u32_e32 v16, -3, v13
	v_add_co_u32 v41, vcc_lo, s4, v39
	v_add_co_ci_u32_e64 v42, null, s5, v40, vcc_lo
	global_load_dwordx4 v[37:40], v[37:38], off
	global_load_dwordx4 v[41:44], v[41:42], off
	v_lshlrev_b64 v[45:46], 4, v[16:17]
	v_add_nc_u32_e32 v16, 3, v65
	v_lshlrev_b64 v[47:48], 4, v[16:17]
	v_add_co_u32 v45, vcc_lo, s2, v45
	v_add_co_ci_u32_e64 v46, null, s3, v46, vcc_lo
	v_add_nc_u32_e32 v16, -2, v13
	v_add_co_u32 v49, vcc_lo, s4, v47
	v_add_co_ci_u32_e64 v50, null, s5, v48, vcc_lo
	global_load_dwordx4 v[45:48], v[45:46], off
	global_load_dwordx4 v[49:52], v[49:50], off
	;; [unrolled: 10-line block ×3, first 2 shown]
	v_lshlrev_b64 v[61:62], 4, v[16:17]
	v_add_nc_u32_e32 v16, 5, v65
	v_lshlrev_b64 v[63:64], 4, v[16:17]
	v_add_co_u32 v61, vcc_lo, s2, v61
	v_add_co_ci_u32_e64 v62, null, s3, v62, vcc_lo
	v_add_nc_u32_e32 v16, 6, v65
	v_add_co_u32 v66, vcc_lo, s4, v63
	v_add_co_ci_u32_e64 v67, null, s5, v64, vcc_lo
	global_load_dwordx4 v[61:64], v[61:62], off
	s_waitcnt vmcnt(9)
	v_fma_f64 v[18:19], v[21:22], v[25:26], v[18:19]
	v_fma_f64 v[14:15], v[23:24], v[25:26], v[14:15]
	v_lshlrev_b64 v[25:26], 4, v[16:17]
	v_fma_f64 v[18:19], -v[23:24], v[27:28], v[18:19]
	v_fma_f64 v[69:70], v[21:22], v[27:28], v[14:15]
	global_load_dwordx4 v[21:24], v[66:67], off
	v_mov_b32_e32 v14, v17
	v_lshlrev_b64 v[14:15], 4, v[13:14]
	v_add_nc_u32_e32 v13, 0x1c0, v13
	v_add_co_u32 v14, vcc_lo, s2, v14
	v_add_co_ci_u32_e64 v15, null, s3, v15, vcc_lo
	v_add_co_u32 v65, vcc_lo, s4, v25
	v_add_co_ci_u32_e64 v66, null, s5, v26, vcc_lo
	global_load_dwordx4 v[25:28], v[14:15], off
	global_load_dwordx4 v[65:68], v[65:66], off
	s_waitcnt vmcnt(10)
	v_fma_f64 v[14:15], v[29:30], v[33:34], v[18:19]
	v_fma_f64 v[18:19], v[31:32], v[33:34], v[69:70]
	v_cmp_ge_i32_e32 vcc_lo, v11, v20
	s_or_b32 s10, vcc_lo, s10
	v_fma_f64 v[14:15], -v[31:32], v[35:36], v[14:15]
	v_fma_f64 v[18:19], v[29:30], v[35:36], v[18:19]
	s_waitcnt vmcnt(8)
	v_fma_f64 v[14:15], v[37:38], v[41:42], v[14:15]
	v_fma_f64 v[18:19], v[39:40], v[41:42], v[18:19]
	v_fma_f64 v[14:15], -v[39:40], v[43:44], v[14:15]
	v_fma_f64 v[18:19], v[37:38], v[43:44], v[18:19]
	s_waitcnt vmcnt(6)
	v_fma_f64 v[14:15], v[45:46], v[49:50], v[14:15]
	v_fma_f64 v[18:19], v[47:48], v[49:50], v[18:19]
	v_fma_f64 v[14:15], -v[47:48], v[51:52], v[14:15]
	v_fma_f64 v[18:19], v[45:46], v[51:52], v[18:19]
	s_waitcnt vmcnt(4)
	v_fma_f64 v[14:15], v[53:54], v[57:58], v[14:15]
	v_fma_f64 v[18:19], v[55:56], v[57:58], v[18:19]
	v_fma_f64 v[14:15], -v[55:56], v[59:60], v[14:15]
	v_fma_f64 v[18:19], v[53:54], v[59:60], v[18:19]
	s_waitcnt vmcnt(2)
	v_fma_f64 v[14:15], v[61:62], v[21:22], v[14:15]
	v_fma_f64 v[18:19], v[63:64], v[21:22], v[18:19]
	v_fma_f64 v[14:15], -v[63:64], v[23:24], v[14:15]
	v_fma_f64 v[18:19], v[61:62], v[23:24], v[18:19]
	s_waitcnt vmcnt(0)
	v_fma_f64 v[14:15], v[25:26], v[65:66], v[14:15]
	v_fma_f64 v[21:22], v[27:28], v[65:66], v[18:19]
	v_fma_f64 v[18:19], -v[27:28], v[67:68], v[14:15]
	v_fma_f64 v[14:15], v[25:26], v[67:68], v[21:22]
	s_andn2_b32 exec_lo, exec_lo, s10
	s_cbranch_execnz .LBB257_6
; %bb.7:
	s_or_b32 exec_lo, exec_lo, s10
.LBB257_8:
	s_or_b32 exec_lo, exec_lo, s9
	v_mbcnt_lo_u32_b32 v20, -1, 0
	v_or_b32_e32 v11, 32, v20
	v_cmp_gt_i32_e32 vcc_lo, 32, v11
	v_cndmask_b32_e32 v11, v20, v11, vcc_lo
	v_lshlrev_b32_e32 v13, 2, v11
	ds_bpermute_b32 v11, v13, v18
	ds_bpermute_b32 v12, v13, v19
	ds_bpermute_b32 v16, v13, v14
	ds_bpermute_b32 v17, v13, v15
	s_waitcnt lgkmcnt(2)
	v_add_f64 v[11:12], v[18:19], v[11:12]
	s_waitcnt lgkmcnt(0)
	v_add_f64 v[13:14], v[14:15], v[16:17]
	v_xor_b32_e32 v15, 16, v20
	v_cmp_gt_i32_e32 vcc_lo, 32, v15
	v_cndmask_b32_e32 v15, v20, v15, vcc_lo
	v_lshlrev_b32_e32 v18, 2, v15
	ds_bpermute_b32 v15, v18, v11
	ds_bpermute_b32 v16, v18, v12
	ds_bpermute_b32 v17, v18, v13
	ds_bpermute_b32 v18, v18, v14
	s_waitcnt lgkmcnt(2)
	v_add_f64 v[11:12], v[11:12], v[15:16]
	v_xor_b32_e32 v15, 8, v20
	s_waitcnt lgkmcnt(0)
	v_add_f64 v[13:14], v[13:14], v[17:18]
	v_cmp_gt_i32_e32 vcc_lo, 32, v15
	v_cndmask_b32_e32 v15, v20, v15, vcc_lo
	v_lshlrev_b32_e32 v18, 2, v15
	ds_bpermute_b32 v15, v18, v11
	ds_bpermute_b32 v16, v18, v12
	ds_bpermute_b32 v17, v18, v13
	ds_bpermute_b32 v18, v18, v14
	s_waitcnt lgkmcnt(2)
	v_add_f64 v[11:12], v[11:12], v[15:16]
	v_xor_b32_e32 v15, 4, v20
	s_waitcnt lgkmcnt(0)
	v_add_f64 v[13:14], v[13:14], v[17:18]
	;; [unrolled: 12-line block ×4, first 2 shown]
	v_cmp_gt_i32_e32 vcc_lo, 32, v15
	v_cndmask_b32_e32 v15, v20, v15, vcc_lo
	v_cmp_eq_u32_e32 vcc_lo, 63, v0
	v_lshlrev_b32_e32 v18, 2, v15
	ds_bpermute_b32 v15, v18, v11
	ds_bpermute_b32 v16, v18, v12
	ds_bpermute_b32 v17, v18, v13
	ds_bpermute_b32 v18, v18, v14
	s_and_b32 exec_lo, exec_lo, vcc_lo
	s_cbranch_execz .LBB257_13
; %bb.9:
	s_waitcnt lgkmcnt(0)
	v_add_f64 v[13:14], v[13:14], v[17:18]
	v_add_f64 v[11:12], v[11:12], v[15:16]
	v_cmp_eq_f64_e32 vcc_lo, 0, v[1:2]
	v_cmp_eq_f64_e64 s0, 0, v[3:4]
	v_lshlrev_b64 v[9:10], 4, v[9:10]
	v_mul_f64 v[15:16], v[13:14], -v[7:8]
	v_mul_f64 v[13:14], v[5:6], v[13:14]
	s_and_b32 s0, vcc_lo, s0
	v_fma_f64 v[5:6], v[5:6], v[11:12], v[15:16]
	v_fma_f64 v[7:8], v[7:8], v[11:12], v[13:14]
	s_and_saveexec_b32 s1, s0
	s_xor_b32 s0, exec_lo, s1
	s_cbranch_execz .LBB257_11
; %bb.10:
	v_add_co_u32 v0, vcc_lo, s6, v9
	v_add_co_ci_u32_e64 v1, null, s7, v10, vcc_lo
                                        ; implicit-def: $vgpr9_vgpr10
	global_store_dwordx4 v[0:1], v[5:8], off
                                        ; implicit-def: $vgpr1_vgpr2
                                        ; implicit-def: $vgpr5_vgpr6
.LBB257_11:
	s_andn2_saveexec_b32 s0, s0
	s_cbranch_execz .LBB257_13
; %bb.12:
	v_add_co_u32 v13, vcc_lo, s6, v9
	v_add_co_ci_u32_e64 v14, null, s7, v10, vcc_lo
	global_load_dwordx4 v[9:12], v[13:14], off
	s_waitcnt vmcnt(0)
	v_fma_f64 v[5:6], v[1:2], v[9:10], v[5:6]
	v_fma_f64 v[7:8], v[3:4], v[9:10], v[7:8]
	v_fma_f64 v[3:4], -v[3:4], v[11:12], v[5:6]
	v_fma_f64 v[5:6], v[1:2], v[11:12], v[7:8]
	global_store_dwordx4 v[13:14], v[3:6], off
.LBB257_13:
	s_endpgm
	.section	.rodata,"a",@progbits
	.p2align	6, 0x0
	.amdhsa_kernel _ZN9rocsparseL19gebsrmvn_1xn_kernelILj128ELj7ELj64E21rocsparse_complex_numIdEEEvi20rocsparse_direction_NS_24const_host_device_scalarIT2_EEPKiS8_PKS5_SA_S6_PS5_21rocsparse_index_base_b
		.amdhsa_group_segment_fixed_size 0
		.amdhsa_private_segment_fixed_size 0
		.amdhsa_kernarg_size 88
		.amdhsa_user_sgpr_count 6
		.amdhsa_user_sgpr_private_segment_buffer 1
		.amdhsa_user_sgpr_dispatch_ptr 0
		.amdhsa_user_sgpr_queue_ptr 0
		.amdhsa_user_sgpr_kernarg_segment_ptr 1
		.amdhsa_user_sgpr_dispatch_id 0
		.amdhsa_user_sgpr_flat_scratch_init 0
		.amdhsa_user_sgpr_private_segment_size 0
		.amdhsa_wavefront_size32 1
		.amdhsa_uses_dynamic_stack 0
		.amdhsa_system_sgpr_private_segment_wavefront_offset 0
		.amdhsa_system_sgpr_workgroup_id_x 1
		.amdhsa_system_sgpr_workgroup_id_y 0
		.amdhsa_system_sgpr_workgroup_id_z 0
		.amdhsa_system_sgpr_workgroup_info 0
		.amdhsa_system_vgpr_workitem_id 0
		.amdhsa_next_free_vgpr 71
		.amdhsa_next_free_sgpr 13
		.amdhsa_reserve_vcc 1
		.amdhsa_reserve_flat_scratch 0
		.amdhsa_float_round_mode_32 0
		.amdhsa_float_round_mode_16_64 0
		.amdhsa_float_denorm_mode_32 3
		.amdhsa_float_denorm_mode_16_64 3
		.amdhsa_dx10_clamp 1
		.amdhsa_ieee_mode 1
		.amdhsa_fp16_overflow 0
		.amdhsa_workgroup_processor_mode 1
		.amdhsa_memory_ordered 1
		.amdhsa_forward_progress 1
		.amdhsa_shared_vgpr_count 0
		.amdhsa_exception_fp_ieee_invalid_op 0
		.amdhsa_exception_fp_denorm_src 0
		.amdhsa_exception_fp_ieee_div_zero 0
		.amdhsa_exception_fp_ieee_overflow 0
		.amdhsa_exception_fp_ieee_underflow 0
		.amdhsa_exception_fp_ieee_inexact 0
		.amdhsa_exception_int_div_zero 0
	.end_amdhsa_kernel
	.section	.text._ZN9rocsparseL19gebsrmvn_1xn_kernelILj128ELj7ELj64E21rocsparse_complex_numIdEEEvi20rocsparse_direction_NS_24const_host_device_scalarIT2_EEPKiS8_PKS5_SA_S6_PS5_21rocsparse_index_base_b,"axG",@progbits,_ZN9rocsparseL19gebsrmvn_1xn_kernelILj128ELj7ELj64E21rocsparse_complex_numIdEEEvi20rocsparse_direction_NS_24const_host_device_scalarIT2_EEPKiS8_PKS5_SA_S6_PS5_21rocsparse_index_base_b,comdat
.Lfunc_end257:
	.size	_ZN9rocsparseL19gebsrmvn_1xn_kernelILj128ELj7ELj64E21rocsparse_complex_numIdEEEvi20rocsparse_direction_NS_24const_host_device_scalarIT2_EEPKiS8_PKS5_SA_S6_PS5_21rocsparse_index_base_b, .Lfunc_end257-_ZN9rocsparseL19gebsrmvn_1xn_kernelILj128ELj7ELj64E21rocsparse_complex_numIdEEEvi20rocsparse_direction_NS_24const_host_device_scalarIT2_EEPKiS8_PKS5_SA_S6_PS5_21rocsparse_index_base_b
                                        ; -- End function
	.set _ZN9rocsparseL19gebsrmvn_1xn_kernelILj128ELj7ELj64E21rocsparse_complex_numIdEEEvi20rocsparse_direction_NS_24const_host_device_scalarIT2_EEPKiS8_PKS5_SA_S6_PS5_21rocsparse_index_base_b.num_vgpr, 71
	.set _ZN9rocsparseL19gebsrmvn_1xn_kernelILj128ELj7ELj64E21rocsparse_complex_numIdEEEvi20rocsparse_direction_NS_24const_host_device_scalarIT2_EEPKiS8_PKS5_SA_S6_PS5_21rocsparse_index_base_b.num_agpr, 0
	.set _ZN9rocsparseL19gebsrmvn_1xn_kernelILj128ELj7ELj64E21rocsparse_complex_numIdEEEvi20rocsparse_direction_NS_24const_host_device_scalarIT2_EEPKiS8_PKS5_SA_S6_PS5_21rocsparse_index_base_b.numbered_sgpr, 13
	.set _ZN9rocsparseL19gebsrmvn_1xn_kernelILj128ELj7ELj64E21rocsparse_complex_numIdEEEvi20rocsparse_direction_NS_24const_host_device_scalarIT2_EEPKiS8_PKS5_SA_S6_PS5_21rocsparse_index_base_b.num_named_barrier, 0
	.set _ZN9rocsparseL19gebsrmvn_1xn_kernelILj128ELj7ELj64E21rocsparse_complex_numIdEEEvi20rocsparse_direction_NS_24const_host_device_scalarIT2_EEPKiS8_PKS5_SA_S6_PS5_21rocsparse_index_base_b.private_seg_size, 0
	.set _ZN9rocsparseL19gebsrmvn_1xn_kernelILj128ELj7ELj64E21rocsparse_complex_numIdEEEvi20rocsparse_direction_NS_24const_host_device_scalarIT2_EEPKiS8_PKS5_SA_S6_PS5_21rocsparse_index_base_b.uses_vcc, 1
	.set _ZN9rocsparseL19gebsrmvn_1xn_kernelILj128ELj7ELj64E21rocsparse_complex_numIdEEEvi20rocsparse_direction_NS_24const_host_device_scalarIT2_EEPKiS8_PKS5_SA_S6_PS5_21rocsparse_index_base_b.uses_flat_scratch, 0
	.set _ZN9rocsparseL19gebsrmvn_1xn_kernelILj128ELj7ELj64E21rocsparse_complex_numIdEEEvi20rocsparse_direction_NS_24const_host_device_scalarIT2_EEPKiS8_PKS5_SA_S6_PS5_21rocsparse_index_base_b.has_dyn_sized_stack, 0
	.set _ZN9rocsparseL19gebsrmvn_1xn_kernelILj128ELj7ELj64E21rocsparse_complex_numIdEEEvi20rocsparse_direction_NS_24const_host_device_scalarIT2_EEPKiS8_PKS5_SA_S6_PS5_21rocsparse_index_base_b.has_recursion, 0
	.set _ZN9rocsparseL19gebsrmvn_1xn_kernelILj128ELj7ELj64E21rocsparse_complex_numIdEEEvi20rocsparse_direction_NS_24const_host_device_scalarIT2_EEPKiS8_PKS5_SA_S6_PS5_21rocsparse_index_base_b.has_indirect_call, 0
	.section	.AMDGPU.csdata,"",@progbits
; Kernel info:
; codeLenInByte = 1836
; TotalNumSgprs: 15
; NumVgprs: 71
; ScratchSize: 0
; MemoryBound: 0
; FloatMode: 240
; IeeeMode: 1
; LDSByteSize: 0 bytes/workgroup (compile time only)
; SGPRBlocks: 0
; VGPRBlocks: 8
; NumSGPRsForWavesPerEU: 15
; NumVGPRsForWavesPerEU: 71
; Occupancy: 12
; WaveLimiterHint : 1
; COMPUTE_PGM_RSRC2:SCRATCH_EN: 0
; COMPUTE_PGM_RSRC2:USER_SGPR: 6
; COMPUTE_PGM_RSRC2:TRAP_HANDLER: 0
; COMPUTE_PGM_RSRC2:TGID_X_EN: 1
; COMPUTE_PGM_RSRC2:TGID_Y_EN: 0
; COMPUTE_PGM_RSRC2:TGID_Z_EN: 0
; COMPUTE_PGM_RSRC2:TIDIG_COMP_CNT: 0
	.section	.text._ZN9rocsparseL19gebsrmvn_1xn_kernelILj128ELj8ELj4E21rocsparse_complex_numIdEEEvi20rocsparse_direction_NS_24const_host_device_scalarIT2_EEPKiS8_PKS5_SA_S6_PS5_21rocsparse_index_base_b,"axG",@progbits,_ZN9rocsparseL19gebsrmvn_1xn_kernelILj128ELj8ELj4E21rocsparse_complex_numIdEEEvi20rocsparse_direction_NS_24const_host_device_scalarIT2_EEPKiS8_PKS5_SA_S6_PS5_21rocsparse_index_base_b,comdat
	.globl	_ZN9rocsparseL19gebsrmvn_1xn_kernelILj128ELj8ELj4E21rocsparse_complex_numIdEEEvi20rocsparse_direction_NS_24const_host_device_scalarIT2_EEPKiS8_PKS5_SA_S6_PS5_21rocsparse_index_base_b ; -- Begin function _ZN9rocsparseL19gebsrmvn_1xn_kernelILj128ELj8ELj4E21rocsparse_complex_numIdEEEvi20rocsparse_direction_NS_24const_host_device_scalarIT2_EEPKiS8_PKS5_SA_S6_PS5_21rocsparse_index_base_b
	.p2align	8
	.type	_ZN9rocsparseL19gebsrmvn_1xn_kernelILj128ELj8ELj4E21rocsparse_complex_numIdEEEvi20rocsparse_direction_NS_24const_host_device_scalarIT2_EEPKiS8_PKS5_SA_S6_PS5_21rocsparse_index_base_b,@function
_ZN9rocsparseL19gebsrmvn_1xn_kernelILj128ELj8ELj4E21rocsparse_complex_numIdEEEvi20rocsparse_direction_NS_24const_host_device_scalarIT2_EEPKiS8_PKS5_SA_S6_PS5_21rocsparse_index_base_b: ; @_ZN9rocsparseL19gebsrmvn_1xn_kernelILj128ELj8ELj4E21rocsparse_complex_numIdEEEvi20rocsparse_direction_NS_24const_host_device_scalarIT2_EEPKiS8_PKS5_SA_S6_PS5_21rocsparse_index_base_b
; %bb.0:
	s_clause 0x1
	s_load_dwordx2 s[8:9], s[4:5], 0x50
	s_load_dwordx2 s[0:1], s[4:5], 0x8
	s_add_u32 s7, s4, 8
	s_addc_u32 s10, s5, 0
	s_add_u32 s11, s4, 56
	s_addc_u32 s12, s5, 0
	s_load_dwordx2 s[2:3], s[4:5], 0x38
	s_waitcnt lgkmcnt(0)
	s_bitcmp1_b32 s9, 0
	s_cselect_b32 s0, s7, s0
	s_cselect_b32 s1, s10, s1
	v_mov_b32_e32 v1, s0
	v_mov_b32_e32 v2, s1
	s_cselect_b32 s0, s11, s2
	s_cselect_b32 s1, s12, s3
	flat_load_dwordx4 v[5:8], v[1:2]
	v_mov_b32_e32 v1, s0
	v_mov_b32_e32 v2, s1
	flat_load_dwordx4 v[1:4], v[1:2]
	s_waitcnt vmcnt(1) lgkmcnt(1)
	v_cmp_eq_f64_e32 vcc_lo, 0, v[5:6]
	v_cmp_eq_f64_e64 s0, 0, v[7:8]
	s_and_b32 s2, vcc_lo, s0
	s_mov_b32 s0, -1
	s_and_saveexec_b32 s1, s2
	s_cbranch_execz .LBB258_2
; %bb.1:
	s_waitcnt vmcnt(0) lgkmcnt(0)
	v_cmp_neq_f64_e32 vcc_lo, 1.0, v[1:2]
	v_cmp_neq_f64_e64 s0, 0, v[3:4]
	s_or_b32 s0, vcc_lo, s0
	s_orn2_b32 s0, s0, exec_lo
.LBB258_2:
	s_or_b32 exec_lo, exec_lo, s1
	s_and_saveexec_b32 s1, s0
	s_cbranch_execz .LBB258_13
; %bb.3:
	s_load_dword s0, s[4:5], 0x0
	v_lshrrev_b32_e32 v9, 2, v0
	v_lshl_or_b32 v9, s6, 5, v9
	s_waitcnt lgkmcnt(0)
	v_cmp_gt_i32_e32 vcc_lo, s0, v9
	s_and_b32 exec_lo, exec_lo, vcc_lo
	s_cbranch_execz .LBB258_13
; %bb.4:
	s_clause 0x1
	s_load_dwordx2 s[0:1], s[4:5], 0x18
	s_load_dwordx2 s[6:7], s[4:5], 0x48
	v_ashrrev_i32_e32 v10, 31, v9
	v_and_b32_e32 v0, 3, v0
	v_mov_b32_e32 v15, 0
	v_mov_b32_e32 v17, 0
	;; [unrolled: 1-line block ×3, first 2 shown]
	v_lshlrev_b64 v[11:12], 2, v[9:10]
	v_subrev_nc_u32_e32 v13, s8, v0
	v_mov_b32_e32 v18, 0
	s_mov_b32 s9, exec_lo
	s_waitcnt lgkmcnt(0)
	v_add_co_u32 v11, vcc_lo, s0, v11
	v_add_co_ci_u32_e64 v12, null, s1, v12, vcc_lo
	global_load_dwordx2 v[11:12], v[11:12], off
	s_waitcnt vmcnt(0)
	v_subrev_nc_u32_e32 v19, s8, v12
	v_add_nc_u32_e32 v11, v11, v13
	v_cmpx_lt_i32_e64 v11, v19
	s_cbranch_execz .LBB258_8
; %bb.5:
	s_clause 0x1
	s_load_dwordx4 s[0:3], s[4:5], 0x20
	s_load_dwordx2 s[4:5], s[4:5], 0x30
	v_mov_b32_e32 v15, 0
	v_mov_b32_e32 v17, 0
	v_lshlrev_b32_e32 v13, 3, v11
	v_mov_b32_e32 v16, 0
	v_mov_b32_e32 v18, 0
	;; [unrolled: 1-line block ×3, first 2 shown]
	s_mov_b32 s10, 0
.LBB258_6:                              ; =>This Inner Loop Header: Depth=1
	v_ashrrev_i32_e32 v12, 31, v11
	v_mov_b32_e32 v23, v14
	v_lshlrev_b64 v[20:21], 2, v[11:12]
	v_add_nc_u32_e32 v11, 4, v11
	s_waitcnt lgkmcnt(0)
	v_add_co_u32 v20, vcc_lo, s0, v20
	v_add_co_ci_u32_e64 v21, null, s1, v21, vcc_lo
	global_load_dword v12, v[20:21], off
	v_lshlrev_b64 v[20:21], 4, v[13:14]
	v_add_nc_u32_e32 v13, 32, v13
	v_add_co_u32 v76, vcc_lo, s2, v20
	v_add_co_ci_u32_e64 v77, null, s3, v21, vcc_lo
	s_waitcnt vmcnt(0)
	v_subrev_nc_u32_e32 v12, s8, v12
	v_lshlrev_b32_e32 v22, 3, v12
	v_lshlrev_b64 v[22:23], 4, v[22:23]
	v_add_co_u32 v80, vcc_lo, s4, v22
	v_add_co_ci_u32_e64 v81, null, s5, v23, vcc_lo
	v_cmp_ge_i32_e32 vcc_lo, v11, v19
	s_clause 0x1
	global_load_dwordx4 v[20:23], v[76:77], off offset:16
	global_load_dwordx4 v[24:27], v[76:77], off
	s_clause 0x1
	global_load_dwordx4 v[28:31], v[80:81], off
	global_load_dwordx4 v[32:35], v[80:81], off offset:16
	global_load_dwordx4 v[36:39], v[76:77], off offset:32
	;; [unrolled: 1-line block ×13, first 2 shown]
	s_or_b32 s10, vcc_lo, s10
	s_waitcnt vmcnt(13)
	v_fma_f64 v[17:18], v[24:25], v[28:29], v[17:18]
	v_fma_f64 v[15:16], v[26:27], v[28:29], v[15:16]
	v_fma_f64 v[17:18], -v[26:27], v[30:31], v[17:18]
	v_fma_f64 v[15:16], v[24:25], v[30:31], v[15:16]
	s_waitcnt vmcnt(12)
	v_fma_f64 v[17:18], v[20:21], v[32:33], v[17:18]
	v_fma_f64 v[15:16], v[22:23], v[32:33], v[15:16]
	v_fma_f64 v[17:18], -v[22:23], v[34:35], v[17:18]
	v_fma_f64 v[15:16], v[20:21], v[34:35], v[15:16]
	;; [unrolled: 5-line block ×8, first 2 shown]
	s_andn2_b32 exec_lo, exec_lo, s10
	s_cbranch_execnz .LBB258_6
; %bb.7:
	s_or_b32 exec_lo, exec_lo, s10
.LBB258_8:
	s_or_b32 exec_lo, exec_lo, s9
	v_mbcnt_lo_u32_b32 v19, -1, 0
	v_xor_b32_e32 v11, 2, v19
	v_cmp_gt_i32_e32 vcc_lo, 32, v11
	v_cndmask_b32_e32 v11, v19, v11, vcc_lo
	v_lshlrev_b32_e32 v14, 2, v11
	ds_bpermute_b32 v11, v14, v17
	ds_bpermute_b32 v12, v14, v18
	;; [unrolled: 1-line block ×4, first 2 shown]
	s_waitcnt lgkmcnt(2)
	v_add_f64 v[11:12], v[17:18], v[11:12]
	s_waitcnt lgkmcnt(0)
	v_add_f64 v[13:14], v[15:16], v[13:14]
	v_xor_b32_e32 v15, 1, v19
	v_cmp_gt_i32_e32 vcc_lo, 32, v15
	v_cndmask_b32_e32 v15, v19, v15, vcc_lo
	v_cmp_eq_u32_e32 vcc_lo, 3, v0
	v_lshlrev_b32_e32 v18, 2, v15
	ds_bpermute_b32 v15, v18, v11
	ds_bpermute_b32 v16, v18, v12
	;; [unrolled: 1-line block ×4, first 2 shown]
	s_and_b32 exec_lo, exec_lo, vcc_lo
	s_cbranch_execz .LBB258_13
; %bb.9:
	s_waitcnt lgkmcnt(0)
	v_add_f64 v[13:14], v[13:14], v[17:18]
	v_add_f64 v[11:12], v[11:12], v[15:16]
	v_cmp_eq_f64_e32 vcc_lo, 0, v[1:2]
	v_cmp_eq_f64_e64 s0, 0, v[3:4]
	v_lshlrev_b64 v[9:10], 4, v[9:10]
	v_mul_f64 v[15:16], v[13:14], -v[7:8]
	v_mul_f64 v[13:14], v[5:6], v[13:14]
	s_and_b32 s0, vcc_lo, s0
	v_fma_f64 v[5:6], v[5:6], v[11:12], v[15:16]
	v_fma_f64 v[7:8], v[7:8], v[11:12], v[13:14]
	s_and_saveexec_b32 s1, s0
	s_xor_b32 s0, exec_lo, s1
	s_cbranch_execz .LBB258_11
; %bb.10:
	v_add_co_u32 v0, vcc_lo, s6, v9
	v_add_co_ci_u32_e64 v1, null, s7, v10, vcc_lo
                                        ; implicit-def: $vgpr9_vgpr10
	global_store_dwordx4 v[0:1], v[5:8], off
                                        ; implicit-def: $vgpr1_vgpr2
                                        ; implicit-def: $vgpr5_vgpr6
.LBB258_11:
	s_andn2_saveexec_b32 s0, s0
	s_cbranch_execz .LBB258_13
; %bb.12:
	v_add_co_u32 v13, vcc_lo, s6, v9
	v_add_co_ci_u32_e64 v14, null, s7, v10, vcc_lo
	global_load_dwordx4 v[9:12], v[13:14], off
	s_waitcnt vmcnt(0)
	v_fma_f64 v[5:6], v[1:2], v[9:10], v[5:6]
	v_fma_f64 v[7:8], v[3:4], v[9:10], v[7:8]
	v_fma_f64 v[3:4], -v[3:4], v[11:12], v[5:6]
	v_fma_f64 v[5:6], v[1:2], v[11:12], v[7:8]
	global_store_dwordx4 v[13:14], v[3:6], off
.LBB258_13:
	s_endpgm
	.section	.rodata,"a",@progbits
	.p2align	6, 0x0
	.amdhsa_kernel _ZN9rocsparseL19gebsrmvn_1xn_kernelILj128ELj8ELj4E21rocsparse_complex_numIdEEEvi20rocsparse_direction_NS_24const_host_device_scalarIT2_EEPKiS8_PKS5_SA_S6_PS5_21rocsparse_index_base_b
		.amdhsa_group_segment_fixed_size 0
		.amdhsa_private_segment_fixed_size 0
		.amdhsa_kernarg_size 88
		.amdhsa_user_sgpr_count 6
		.amdhsa_user_sgpr_private_segment_buffer 1
		.amdhsa_user_sgpr_dispatch_ptr 0
		.amdhsa_user_sgpr_queue_ptr 0
		.amdhsa_user_sgpr_kernarg_segment_ptr 1
		.amdhsa_user_sgpr_dispatch_id 0
		.amdhsa_user_sgpr_flat_scratch_init 0
		.amdhsa_user_sgpr_private_segment_size 0
		.amdhsa_wavefront_size32 1
		.amdhsa_uses_dynamic_stack 0
		.amdhsa_system_sgpr_private_segment_wavefront_offset 0
		.amdhsa_system_sgpr_workgroup_id_x 1
		.amdhsa_system_sgpr_workgroup_id_y 0
		.amdhsa_system_sgpr_workgroup_id_z 0
		.amdhsa_system_sgpr_workgroup_info 0
		.amdhsa_system_vgpr_workitem_id 0
		.amdhsa_next_free_vgpr 84
		.amdhsa_next_free_sgpr 13
		.amdhsa_reserve_vcc 1
		.amdhsa_reserve_flat_scratch 0
		.amdhsa_float_round_mode_32 0
		.amdhsa_float_round_mode_16_64 0
		.amdhsa_float_denorm_mode_32 3
		.amdhsa_float_denorm_mode_16_64 3
		.amdhsa_dx10_clamp 1
		.amdhsa_ieee_mode 1
		.amdhsa_fp16_overflow 0
		.amdhsa_workgroup_processor_mode 1
		.amdhsa_memory_ordered 1
		.amdhsa_forward_progress 1
		.amdhsa_shared_vgpr_count 0
		.amdhsa_exception_fp_ieee_invalid_op 0
		.amdhsa_exception_fp_denorm_src 0
		.amdhsa_exception_fp_ieee_div_zero 0
		.amdhsa_exception_fp_ieee_overflow 0
		.amdhsa_exception_fp_ieee_underflow 0
		.amdhsa_exception_fp_ieee_inexact 0
		.amdhsa_exception_int_div_zero 0
	.end_amdhsa_kernel
	.section	.text._ZN9rocsparseL19gebsrmvn_1xn_kernelILj128ELj8ELj4E21rocsparse_complex_numIdEEEvi20rocsparse_direction_NS_24const_host_device_scalarIT2_EEPKiS8_PKS5_SA_S6_PS5_21rocsparse_index_base_b,"axG",@progbits,_ZN9rocsparseL19gebsrmvn_1xn_kernelILj128ELj8ELj4E21rocsparse_complex_numIdEEEvi20rocsparse_direction_NS_24const_host_device_scalarIT2_EEPKiS8_PKS5_SA_S6_PS5_21rocsparse_index_base_b,comdat
.Lfunc_end258:
	.size	_ZN9rocsparseL19gebsrmvn_1xn_kernelILj128ELj8ELj4E21rocsparse_complex_numIdEEEvi20rocsparse_direction_NS_24const_host_device_scalarIT2_EEPKiS8_PKS5_SA_S6_PS5_21rocsparse_index_base_b, .Lfunc_end258-_ZN9rocsparseL19gebsrmvn_1xn_kernelILj128ELj8ELj4E21rocsparse_complex_numIdEEEvi20rocsparse_direction_NS_24const_host_device_scalarIT2_EEPKiS8_PKS5_SA_S6_PS5_21rocsparse_index_base_b
                                        ; -- End function
	.set _ZN9rocsparseL19gebsrmvn_1xn_kernelILj128ELj8ELj4E21rocsparse_complex_numIdEEEvi20rocsparse_direction_NS_24const_host_device_scalarIT2_EEPKiS8_PKS5_SA_S6_PS5_21rocsparse_index_base_b.num_vgpr, 84
	.set _ZN9rocsparseL19gebsrmvn_1xn_kernelILj128ELj8ELj4E21rocsparse_complex_numIdEEEvi20rocsparse_direction_NS_24const_host_device_scalarIT2_EEPKiS8_PKS5_SA_S6_PS5_21rocsparse_index_base_b.num_agpr, 0
	.set _ZN9rocsparseL19gebsrmvn_1xn_kernelILj128ELj8ELj4E21rocsparse_complex_numIdEEEvi20rocsparse_direction_NS_24const_host_device_scalarIT2_EEPKiS8_PKS5_SA_S6_PS5_21rocsparse_index_base_b.numbered_sgpr, 13
	.set _ZN9rocsparseL19gebsrmvn_1xn_kernelILj128ELj8ELj4E21rocsparse_complex_numIdEEEvi20rocsparse_direction_NS_24const_host_device_scalarIT2_EEPKiS8_PKS5_SA_S6_PS5_21rocsparse_index_base_b.num_named_barrier, 0
	.set _ZN9rocsparseL19gebsrmvn_1xn_kernelILj128ELj8ELj4E21rocsparse_complex_numIdEEEvi20rocsparse_direction_NS_24const_host_device_scalarIT2_EEPKiS8_PKS5_SA_S6_PS5_21rocsparse_index_base_b.private_seg_size, 0
	.set _ZN9rocsparseL19gebsrmvn_1xn_kernelILj128ELj8ELj4E21rocsparse_complex_numIdEEEvi20rocsparse_direction_NS_24const_host_device_scalarIT2_EEPKiS8_PKS5_SA_S6_PS5_21rocsparse_index_base_b.uses_vcc, 1
	.set _ZN9rocsparseL19gebsrmvn_1xn_kernelILj128ELj8ELj4E21rocsparse_complex_numIdEEEvi20rocsparse_direction_NS_24const_host_device_scalarIT2_EEPKiS8_PKS5_SA_S6_PS5_21rocsparse_index_base_b.uses_flat_scratch, 0
	.set _ZN9rocsparseL19gebsrmvn_1xn_kernelILj128ELj8ELj4E21rocsparse_complex_numIdEEEvi20rocsparse_direction_NS_24const_host_device_scalarIT2_EEPKiS8_PKS5_SA_S6_PS5_21rocsparse_index_base_b.has_dyn_sized_stack, 0
	.set _ZN9rocsparseL19gebsrmvn_1xn_kernelILj128ELj8ELj4E21rocsparse_complex_numIdEEEvi20rocsparse_direction_NS_24const_host_device_scalarIT2_EEPKiS8_PKS5_SA_S6_PS5_21rocsparse_index_base_b.has_recursion, 0
	.set _ZN9rocsparseL19gebsrmvn_1xn_kernelILj128ELj8ELj4E21rocsparse_complex_numIdEEEvi20rocsparse_direction_NS_24const_host_device_scalarIT2_EEPKiS8_PKS5_SA_S6_PS5_21rocsparse_index_base_b.has_indirect_call, 0
	.section	.AMDGPU.csdata,"",@progbits
; Kernel info:
; codeLenInByte = 1256
; TotalNumSgprs: 15
; NumVgprs: 84
; ScratchSize: 0
; MemoryBound: 1
; FloatMode: 240
; IeeeMode: 1
; LDSByteSize: 0 bytes/workgroup (compile time only)
; SGPRBlocks: 0
; VGPRBlocks: 10
; NumSGPRsForWavesPerEU: 15
; NumVGPRsForWavesPerEU: 84
; Occupancy: 10
; WaveLimiterHint : 1
; COMPUTE_PGM_RSRC2:SCRATCH_EN: 0
; COMPUTE_PGM_RSRC2:USER_SGPR: 6
; COMPUTE_PGM_RSRC2:TRAP_HANDLER: 0
; COMPUTE_PGM_RSRC2:TGID_X_EN: 1
; COMPUTE_PGM_RSRC2:TGID_Y_EN: 0
; COMPUTE_PGM_RSRC2:TGID_Z_EN: 0
; COMPUTE_PGM_RSRC2:TIDIG_COMP_CNT: 0
	.section	.text._ZN9rocsparseL19gebsrmvn_1xn_kernelILj128ELj8ELj8E21rocsparse_complex_numIdEEEvi20rocsparse_direction_NS_24const_host_device_scalarIT2_EEPKiS8_PKS5_SA_S6_PS5_21rocsparse_index_base_b,"axG",@progbits,_ZN9rocsparseL19gebsrmvn_1xn_kernelILj128ELj8ELj8E21rocsparse_complex_numIdEEEvi20rocsparse_direction_NS_24const_host_device_scalarIT2_EEPKiS8_PKS5_SA_S6_PS5_21rocsparse_index_base_b,comdat
	.globl	_ZN9rocsparseL19gebsrmvn_1xn_kernelILj128ELj8ELj8E21rocsparse_complex_numIdEEEvi20rocsparse_direction_NS_24const_host_device_scalarIT2_EEPKiS8_PKS5_SA_S6_PS5_21rocsparse_index_base_b ; -- Begin function _ZN9rocsparseL19gebsrmvn_1xn_kernelILj128ELj8ELj8E21rocsparse_complex_numIdEEEvi20rocsparse_direction_NS_24const_host_device_scalarIT2_EEPKiS8_PKS5_SA_S6_PS5_21rocsparse_index_base_b
	.p2align	8
	.type	_ZN9rocsparseL19gebsrmvn_1xn_kernelILj128ELj8ELj8E21rocsparse_complex_numIdEEEvi20rocsparse_direction_NS_24const_host_device_scalarIT2_EEPKiS8_PKS5_SA_S6_PS5_21rocsparse_index_base_b,@function
_ZN9rocsparseL19gebsrmvn_1xn_kernelILj128ELj8ELj8E21rocsparse_complex_numIdEEEvi20rocsparse_direction_NS_24const_host_device_scalarIT2_EEPKiS8_PKS5_SA_S6_PS5_21rocsparse_index_base_b: ; @_ZN9rocsparseL19gebsrmvn_1xn_kernelILj128ELj8ELj8E21rocsparse_complex_numIdEEEvi20rocsparse_direction_NS_24const_host_device_scalarIT2_EEPKiS8_PKS5_SA_S6_PS5_21rocsparse_index_base_b
; %bb.0:
	s_clause 0x1
	s_load_dwordx2 s[8:9], s[4:5], 0x50
	s_load_dwordx2 s[0:1], s[4:5], 0x8
	s_add_u32 s7, s4, 8
	s_addc_u32 s10, s5, 0
	s_add_u32 s11, s4, 56
	s_addc_u32 s12, s5, 0
	s_load_dwordx2 s[2:3], s[4:5], 0x38
	s_waitcnt lgkmcnt(0)
	s_bitcmp1_b32 s9, 0
	s_cselect_b32 s0, s7, s0
	s_cselect_b32 s1, s10, s1
	v_mov_b32_e32 v1, s0
	v_mov_b32_e32 v2, s1
	s_cselect_b32 s0, s11, s2
	s_cselect_b32 s1, s12, s3
	flat_load_dwordx4 v[5:8], v[1:2]
	v_mov_b32_e32 v1, s0
	v_mov_b32_e32 v2, s1
	flat_load_dwordx4 v[1:4], v[1:2]
	s_waitcnt vmcnt(1) lgkmcnt(1)
	v_cmp_eq_f64_e32 vcc_lo, 0, v[5:6]
	v_cmp_eq_f64_e64 s0, 0, v[7:8]
	s_and_b32 s2, vcc_lo, s0
	s_mov_b32 s0, -1
	s_and_saveexec_b32 s1, s2
	s_cbranch_execz .LBB259_2
; %bb.1:
	s_waitcnt vmcnt(0) lgkmcnt(0)
	v_cmp_neq_f64_e32 vcc_lo, 1.0, v[1:2]
	v_cmp_neq_f64_e64 s0, 0, v[3:4]
	s_or_b32 s0, vcc_lo, s0
	s_orn2_b32 s0, s0, exec_lo
.LBB259_2:
	s_or_b32 exec_lo, exec_lo, s1
	s_and_saveexec_b32 s1, s0
	s_cbranch_execz .LBB259_13
; %bb.3:
	s_load_dword s0, s[4:5], 0x0
	v_lshrrev_b32_e32 v9, 3, v0
	v_lshl_or_b32 v9, s6, 4, v9
	s_waitcnt lgkmcnt(0)
	v_cmp_gt_i32_e32 vcc_lo, s0, v9
	s_and_b32 exec_lo, exec_lo, vcc_lo
	s_cbranch_execz .LBB259_13
; %bb.4:
	s_clause 0x1
	s_load_dwordx2 s[0:1], s[4:5], 0x18
	s_load_dwordx2 s[6:7], s[4:5], 0x48
	v_ashrrev_i32_e32 v10, 31, v9
	v_and_b32_e32 v0, 7, v0
	v_mov_b32_e32 v15, 0
	v_mov_b32_e32 v17, 0
	;; [unrolled: 1-line block ×3, first 2 shown]
	v_lshlrev_b64 v[11:12], 2, v[9:10]
	v_subrev_nc_u32_e32 v13, s8, v0
	v_mov_b32_e32 v18, 0
	s_mov_b32 s9, exec_lo
	s_waitcnt lgkmcnt(0)
	v_add_co_u32 v11, vcc_lo, s0, v11
	v_add_co_ci_u32_e64 v12, null, s1, v12, vcc_lo
	global_load_dwordx2 v[11:12], v[11:12], off
	s_waitcnt vmcnt(0)
	v_subrev_nc_u32_e32 v19, s8, v12
	v_add_nc_u32_e32 v11, v11, v13
	v_cmpx_lt_i32_e64 v11, v19
	s_cbranch_execz .LBB259_8
; %bb.5:
	s_clause 0x1
	s_load_dwordx4 s[0:3], s[4:5], 0x20
	s_load_dwordx2 s[4:5], s[4:5], 0x30
	v_mov_b32_e32 v15, 0
	v_mov_b32_e32 v17, 0
	v_lshlrev_b32_e32 v13, 3, v11
	v_mov_b32_e32 v16, 0
	v_mov_b32_e32 v18, 0
	;; [unrolled: 1-line block ×3, first 2 shown]
	s_mov_b32 s10, 0
.LBB259_6:                              ; =>This Inner Loop Header: Depth=1
	v_ashrrev_i32_e32 v12, 31, v11
	v_mov_b32_e32 v23, v14
	v_lshlrev_b64 v[20:21], 2, v[11:12]
	v_add_nc_u32_e32 v11, 8, v11
	s_waitcnt lgkmcnt(0)
	v_add_co_u32 v20, vcc_lo, s0, v20
	v_add_co_ci_u32_e64 v21, null, s1, v21, vcc_lo
	global_load_dword v12, v[20:21], off
	v_lshlrev_b64 v[20:21], 4, v[13:14]
	v_add_nc_u32_e32 v13, 64, v13
	v_add_co_u32 v76, vcc_lo, s2, v20
	v_add_co_ci_u32_e64 v77, null, s3, v21, vcc_lo
	s_waitcnt vmcnt(0)
	v_subrev_nc_u32_e32 v12, s8, v12
	v_lshlrev_b32_e32 v22, 3, v12
	v_lshlrev_b64 v[22:23], 4, v[22:23]
	v_add_co_u32 v80, vcc_lo, s4, v22
	v_add_co_ci_u32_e64 v81, null, s5, v23, vcc_lo
	v_cmp_ge_i32_e32 vcc_lo, v11, v19
	s_clause 0x1
	global_load_dwordx4 v[20:23], v[76:77], off offset:16
	global_load_dwordx4 v[24:27], v[76:77], off
	s_clause 0x1
	global_load_dwordx4 v[28:31], v[80:81], off
	global_load_dwordx4 v[32:35], v[80:81], off offset:16
	global_load_dwordx4 v[36:39], v[76:77], off offset:32
	;; [unrolled: 1-line block ×13, first 2 shown]
	s_or_b32 s10, vcc_lo, s10
	s_waitcnt vmcnt(13)
	v_fma_f64 v[17:18], v[24:25], v[28:29], v[17:18]
	v_fma_f64 v[15:16], v[26:27], v[28:29], v[15:16]
	v_fma_f64 v[17:18], -v[26:27], v[30:31], v[17:18]
	v_fma_f64 v[15:16], v[24:25], v[30:31], v[15:16]
	s_waitcnt vmcnt(12)
	v_fma_f64 v[17:18], v[20:21], v[32:33], v[17:18]
	v_fma_f64 v[15:16], v[22:23], v[32:33], v[15:16]
	v_fma_f64 v[17:18], -v[22:23], v[34:35], v[17:18]
	v_fma_f64 v[15:16], v[20:21], v[34:35], v[15:16]
	s_waitcnt vmcnt(10)
	v_fma_f64 v[17:18], v[36:37], v[40:41], v[17:18]
	v_fma_f64 v[15:16], v[38:39], v[40:41], v[15:16]
	v_fma_f64 v[17:18], -v[38:39], v[42:43], v[17:18]
	v_fma_f64 v[15:16], v[36:37], v[42:43], v[15:16]
	s_waitcnt vmcnt(8)
	v_fma_f64 v[17:18], v[44:45], v[48:49], v[17:18]
	v_fma_f64 v[15:16], v[46:47], v[48:49], v[15:16]
	v_fma_f64 v[17:18], -v[46:47], v[50:51], v[17:18]
	v_fma_f64 v[15:16], v[44:45], v[50:51], v[15:16]
	s_waitcnt vmcnt(6)
	v_fma_f64 v[17:18], v[52:53], v[56:57], v[17:18]
	v_fma_f64 v[15:16], v[54:55], v[56:57], v[15:16]
	v_fma_f64 v[17:18], -v[54:55], v[58:59], v[17:18]
	v_fma_f64 v[15:16], v[52:53], v[58:59], v[15:16]
	s_waitcnt vmcnt(4)
	v_fma_f64 v[17:18], v[60:61], v[64:65], v[17:18]
	v_fma_f64 v[15:16], v[62:63], v[64:65], v[15:16]
	v_fma_f64 v[17:18], -v[62:63], v[66:67], v[17:18]
	v_fma_f64 v[15:16], v[60:61], v[66:67], v[15:16]
	s_waitcnt vmcnt(2)
	v_fma_f64 v[17:18], v[68:69], v[72:73], v[17:18]
	v_fma_f64 v[15:16], v[70:71], v[72:73], v[15:16]
	v_fma_f64 v[17:18], -v[70:71], v[74:75], v[17:18]
	v_fma_f64 v[15:16], v[68:69], v[74:75], v[15:16]
	s_waitcnt vmcnt(0)
	v_fma_f64 v[17:18], v[76:77], v[80:81], v[17:18]
	v_fma_f64 v[15:16], v[78:79], v[80:81], v[15:16]
	v_fma_f64 v[17:18], -v[78:79], v[82:83], v[17:18]
	v_fma_f64 v[15:16], v[76:77], v[82:83], v[15:16]
	s_andn2_b32 exec_lo, exec_lo, s10
	s_cbranch_execnz .LBB259_6
; %bb.7:
	s_or_b32 exec_lo, exec_lo, s10
.LBB259_8:
	s_or_b32 exec_lo, exec_lo, s9
	v_mbcnt_lo_u32_b32 v19, -1, 0
	v_xor_b32_e32 v11, 4, v19
	v_cmp_gt_i32_e32 vcc_lo, 32, v11
	v_cndmask_b32_e32 v11, v19, v11, vcc_lo
	v_lshlrev_b32_e32 v14, 2, v11
	ds_bpermute_b32 v11, v14, v17
	ds_bpermute_b32 v12, v14, v18
	;; [unrolled: 1-line block ×4, first 2 shown]
	s_waitcnt lgkmcnt(2)
	v_add_f64 v[11:12], v[17:18], v[11:12]
	s_waitcnt lgkmcnt(0)
	v_add_f64 v[13:14], v[15:16], v[13:14]
	v_xor_b32_e32 v15, 2, v19
	v_cmp_gt_i32_e32 vcc_lo, 32, v15
	v_cndmask_b32_e32 v15, v19, v15, vcc_lo
	v_lshlrev_b32_e32 v18, 2, v15
	ds_bpermute_b32 v15, v18, v11
	ds_bpermute_b32 v16, v18, v12
	;; [unrolled: 1-line block ×4, first 2 shown]
	s_waitcnt lgkmcnt(2)
	v_add_f64 v[11:12], v[11:12], v[15:16]
	v_xor_b32_e32 v15, 1, v19
	s_waitcnt lgkmcnt(0)
	v_add_f64 v[13:14], v[13:14], v[17:18]
	v_cmp_gt_i32_e32 vcc_lo, 32, v15
	v_cndmask_b32_e32 v15, v19, v15, vcc_lo
	v_cmp_eq_u32_e32 vcc_lo, 7, v0
	v_lshlrev_b32_e32 v18, 2, v15
	ds_bpermute_b32 v15, v18, v11
	ds_bpermute_b32 v16, v18, v12
	;; [unrolled: 1-line block ×4, first 2 shown]
	s_and_b32 exec_lo, exec_lo, vcc_lo
	s_cbranch_execz .LBB259_13
; %bb.9:
	s_waitcnt lgkmcnt(0)
	v_add_f64 v[13:14], v[13:14], v[17:18]
	v_add_f64 v[11:12], v[11:12], v[15:16]
	v_cmp_eq_f64_e32 vcc_lo, 0, v[1:2]
	v_cmp_eq_f64_e64 s0, 0, v[3:4]
	v_lshlrev_b64 v[9:10], 4, v[9:10]
	v_mul_f64 v[15:16], v[13:14], -v[7:8]
	v_mul_f64 v[13:14], v[5:6], v[13:14]
	s_and_b32 s0, vcc_lo, s0
	v_fma_f64 v[5:6], v[5:6], v[11:12], v[15:16]
	v_fma_f64 v[7:8], v[7:8], v[11:12], v[13:14]
	s_and_saveexec_b32 s1, s0
	s_xor_b32 s0, exec_lo, s1
	s_cbranch_execz .LBB259_11
; %bb.10:
	v_add_co_u32 v0, vcc_lo, s6, v9
	v_add_co_ci_u32_e64 v1, null, s7, v10, vcc_lo
                                        ; implicit-def: $vgpr9_vgpr10
	global_store_dwordx4 v[0:1], v[5:8], off
                                        ; implicit-def: $vgpr1_vgpr2
                                        ; implicit-def: $vgpr5_vgpr6
.LBB259_11:
	s_andn2_saveexec_b32 s0, s0
	s_cbranch_execz .LBB259_13
; %bb.12:
	v_add_co_u32 v13, vcc_lo, s6, v9
	v_add_co_ci_u32_e64 v14, null, s7, v10, vcc_lo
	global_load_dwordx4 v[9:12], v[13:14], off
	s_waitcnt vmcnt(0)
	v_fma_f64 v[5:6], v[1:2], v[9:10], v[5:6]
	v_fma_f64 v[7:8], v[3:4], v[9:10], v[7:8]
	v_fma_f64 v[3:4], -v[3:4], v[11:12], v[5:6]
	v_fma_f64 v[5:6], v[1:2], v[11:12], v[7:8]
	global_store_dwordx4 v[13:14], v[3:6], off
.LBB259_13:
	s_endpgm
	.section	.rodata,"a",@progbits
	.p2align	6, 0x0
	.amdhsa_kernel _ZN9rocsparseL19gebsrmvn_1xn_kernelILj128ELj8ELj8E21rocsparse_complex_numIdEEEvi20rocsparse_direction_NS_24const_host_device_scalarIT2_EEPKiS8_PKS5_SA_S6_PS5_21rocsparse_index_base_b
		.amdhsa_group_segment_fixed_size 0
		.amdhsa_private_segment_fixed_size 0
		.amdhsa_kernarg_size 88
		.amdhsa_user_sgpr_count 6
		.amdhsa_user_sgpr_private_segment_buffer 1
		.amdhsa_user_sgpr_dispatch_ptr 0
		.amdhsa_user_sgpr_queue_ptr 0
		.amdhsa_user_sgpr_kernarg_segment_ptr 1
		.amdhsa_user_sgpr_dispatch_id 0
		.amdhsa_user_sgpr_flat_scratch_init 0
		.amdhsa_user_sgpr_private_segment_size 0
		.amdhsa_wavefront_size32 1
		.amdhsa_uses_dynamic_stack 0
		.amdhsa_system_sgpr_private_segment_wavefront_offset 0
		.amdhsa_system_sgpr_workgroup_id_x 1
		.amdhsa_system_sgpr_workgroup_id_y 0
		.amdhsa_system_sgpr_workgroup_id_z 0
		.amdhsa_system_sgpr_workgroup_info 0
		.amdhsa_system_vgpr_workitem_id 0
		.amdhsa_next_free_vgpr 84
		.amdhsa_next_free_sgpr 13
		.amdhsa_reserve_vcc 1
		.amdhsa_reserve_flat_scratch 0
		.amdhsa_float_round_mode_32 0
		.amdhsa_float_round_mode_16_64 0
		.amdhsa_float_denorm_mode_32 3
		.amdhsa_float_denorm_mode_16_64 3
		.amdhsa_dx10_clamp 1
		.amdhsa_ieee_mode 1
		.amdhsa_fp16_overflow 0
		.amdhsa_workgroup_processor_mode 1
		.amdhsa_memory_ordered 1
		.amdhsa_forward_progress 1
		.amdhsa_shared_vgpr_count 0
		.amdhsa_exception_fp_ieee_invalid_op 0
		.amdhsa_exception_fp_denorm_src 0
		.amdhsa_exception_fp_ieee_div_zero 0
		.amdhsa_exception_fp_ieee_overflow 0
		.amdhsa_exception_fp_ieee_underflow 0
		.amdhsa_exception_fp_ieee_inexact 0
		.amdhsa_exception_int_div_zero 0
	.end_amdhsa_kernel
	.section	.text._ZN9rocsparseL19gebsrmvn_1xn_kernelILj128ELj8ELj8E21rocsparse_complex_numIdEEEvi20rocsparse_direction_NS_24const_host_device_scalarIT2_EEPKiS8_PKS5_SA_S6_PS5_21rocsparse_index_base_b,"axG",@progbits,_ZN9rocsparseL19gebsrmvn_1xn_kernelILj128ELj8ELj8E21rocsparse_complex_numIdEEEvi20rocsparse_direction_NS_24const_host_device_scalarIT2_EEPKiS8_PKS5_SA_S6_PS5_21rocsparse_index_base_b,comdat
.Lfunc_end259:
	.size	_ZN9rocsparseL19gebsrmvn_1xn_kernelILj128ELj8ELj8E21rocsparse_complex_numIdEEEvi20rocsparse_direction_NS_24const_host_device_scalarIT2_EEPKiS8_PKS5_SA_S6_PS5_21rocsparse_index_base_b, .Lfunc_end259-_ZN9rocsparseL19gebsrmvn_1xn_kernelILj128ELj8ELj8E21rocsparse_complex_numIdEEEvi20rocsparse_direction_NS_24const_host_device_scalarIT2_EEPKiS8_PKS5_SA_S6_PS5_21rocsparse_index_base_b
                                        ; -- End function
	.set _ZN9rocsparseL19gebsrmvn_1xn_kernelILj128ELj8ELj8E21rocsparse_complex_numIdEEEvi20rocsparse_direction_NS_24const_host_device_scalarIT2_EEPKiS8_PKS5_SA_S6_PS5_21rocsparse_index_base_b.num_vgpr, 84
	.set _ZN9rocsparseL19gebsrmvn_1xn_kernelILj128ELj8ELj8E21rocsparse_complex_numIdEEEvi20rocsparse_direction_NS_24const_host_device_scalarIT2_EEPKiS8_PKS5_SA_S6_PS5_21rocsparse_index_base_b.num_agpr, 0
	.set _ZN9rocsparseL19gebsrmvn_1xn_kernelILj128ELj8ELj8E21rocsparse_complex_numIdEEEvi20rocsparse_direction_NS_24const_host_device_scalarIT2_EEPKiS8_PKS5_SA_S6_PS5_21rocsparse_index_base_b.numbered_sgpr, 13
	.set _ZN9rocsparseL19gebsrmvn_1xn_kernelILj128ELj8ELj8E21rocsparse_complex_numIdEEEvi20rocsparse_direction_NS_24const_host_device_scalarIT2_EEPKiS8_PKS5_SA_S6_PS5_21rocsparse_index_base_b.num_named_barrier, 0
	.set _ZN9rocsparseL19gebsrmvn_1xn_kernelILj128ELj8ELj8E21rocsparse_complex_numIdEEEvi20rocsparse_direction_NS_24const_host_device_scalarIT2_EEPKiS8_PKS5_SA_S6_PS5_21rocsparse_index_base_b.private_seg_size, 0
	.set _ZN9rocsparseL19gebsrmvn_1xn_kernelILj128ELj8ELj8E21rocsparse_complex_numIdEEEvi20rocsparse_direction_NS_24const_host_device_scalarIT2_EEPKiS8_PKS5_SA_S6_PS5_21rocsparse_index_base_b.uses_vcc, 1
	.set _ZN9rocsparseL19gebsrmvn_1xn_kernelILj128ELj8ELj8E21rocsparse_complex_numIdEEEvi20rocsparse_direction_NS_24const_host_device_scalarIT2_EEPKiS8_PKS5_SA_S6_PS5_21rocsparse_index_base_b.uses_flat_scratch, 0
	.set _ZN9rocsparseL19gebsrmvn_1xn_kernelILj128ELj8ELj8E21rocsparse_complex_numIdEEEvi20rocsparse_direction_NS_24const_host_device_scalarIT2_EEPKiS8_PKS5_SA_S6_PS5_21rocsparse_index_base_b.has_dyn_sized_stack, 0
	.set _ZN9rocsparseL19gebsrmvn_1xn_kernelILj128ELj8ELj8E21rocsparse_complex_numIdEEEvi20rocsparse_direction_NS_24const_host_device_scalarIT2_EEPKiS8_PKS5_SA_S6_PS5_21rocsparse_index_base_b.has_recursion, 0
	.set _ZN9rocsparseL19gebsrmvn_1xn_kernelILj128ELj8ELj8E21rocsparse_complex_numIdEEEvi20rocsparse_direction_NS_24const_host_device_scalarIT2_EEPKiS8_PKS5_SA_S6_PS5_21rocsparse_index_base_b.has_indirect_call, 0
	.section	.AMDGPU.csdata,"",@progbits
; Kernel info:
; codeLenInByte = 1328
; TotalNumSgprs: 15
; NumVgprs: 84
; ScratchSize: 0
; MemoryBound: 1
; FloatMode: 240
; IeeeMode: 1
; LDSByteSize: 0 bytes/workgroup (compile time only)
; SGPRBlocks: 0
; VGPRBlocks: 10
; NumSGPRsForWavesPerEU: 15
; NumVGPRsForWavesPerEU: 84
; Occupancy: 10
; WaveLimiterHint : 1
; COMPUTE_PGM_RSRC2:SCRATCH_EN: 0
; COMPUTE_PGM_RSRC2:USER_SGPR: 6
; COMPUTE_PGM_RSRC2:TRAP_HANDLER: 0
; COMPUTE_PGM_RSRC2:TGID_X_EN: 1
; COMPUTE_PGM_RSRC2:TGID_Y_EN: 0
; COMPUTE_PGM_RSRC2:TGID_Z_EN: 0
; COMPUTE_PGM_RSRC2:TIDIG_COMP_CNT: 0
	.section	.text._ZN9rocsparseL19gebsrmvn_1xn_kernelILj128ELj8ELj16E21rocsparse_complex_numIdEEEvi20rocsparse_direction_NS_24const_host_device_scalarIT2_EEPKiS8_PKS5_SA_S6_PS5_21rocsparse_index_base_b,"axG",@progbits,_ZN9rocsparseL19gebsrmvn_1xn_kernelILj128ELj8ELj16E21rocsparse_complex_numIdEEEvi20rocsparse_direction_NS_24const_host_device_scalarIT2_EEPKiS8_PKS5_SA_S6_PS5_21rocsparse_index_base_b,comdat
	.globl	_ZN9rocsparseL19gebsrmvn_1xn_kernelILj128ELj8ELj16E21rocsparse_complex_numIdEEEvi20rocsparse_direction_NS_24const_host_device_scalarIT2_EEPKiS8_PKS5_SA_S6_PS5_21rocsparse_index_base_b ; -- Begin function _ZN9rocsparseL19gebsrmvn_1xn_kernelILj128ELj8ELj16E21rocsparse_complex_numIdEEEvi20rocsparse_direction_NS_24const_host_device_scalarIT2_EEPKiS8_PKS5_SA_S6_PS5_21rocsparse_index_base_b
	.p2align	8
	.type	_ZN9rocsparseL19gebsrmvn_1xn_kernelILj128ELj8ELj16E21rocsparse_complex_numIdEEEvi20rocsparse_direction_NS_24const_host_device_scalarIT2_EEPKiS8_PKS5_SA_S6_PS5_21rocsparse_index_base_b,@function
_ZN9rocsparseL19gebsrmvn_1xn_kernelILj128ELj8ELj16E21rocsparse_complex_numIdEEEvi20rocsparse_direction_NS_24const_host_device_scalarIT2_EEPKiS8_PKS5_SA_S6_PS5_21rocsparse_index_base_b: ; @_ZN9rocsparseL19gebsrmvn_1xn_kernelILj128ELj8ELj16E21rocsparse_complex_numIdEEEvi20rocsparse_direction_NS_24const_host_device_scalarIT2_EEPKiS8_PKS5_SA_S6_PS5_21rocsparse_index_base_b
; %bb.0:
	s_clause 0x1
	s_load_dwordx2 s[8:9], s[4:5], 0x50
	s_load_dwordx2 s[0:1], s[4:5], 0x8
	s_add_u32 s7, s4, 8
	s_addc_u32 s10, s5, 0
	s_add_u32 s11, s4, 56
	s_addc_u32 s12, s5, 0
	s_load_dwordx2 s[2:3], s[4:5], 0x38
	s_waitcnt lgkmcnt(0)
	s_bitcmp1_b32 s9, 0
	s_cselect_b32 s0, s7, s0
	s_cselect_b32 s1, s10, s1
	v_mov_b32_e32 v1, s0
	v_mov_b32_e32 v2, s1
	s_cselect_b32 s0, s11, s2
	s_cselect_b32 s1, s12, s3
	flat_load_dwordx4 v[5:8], v[1:2]
	v_mov_b32_e32 v1, s0
	v_mov_b32_e32 v2, s1
	flat_load_dwordx4 v[1:4], v[1:2]
	s_waitcnt vmcnt(1) lgkmcnt(1)
	v_cmp_eq_f64_e32 vcc_lo, 0, v[5:6]
	v_cmp_eq_f64_e64 s0, 0, v[7:8]
	s_and_b32 s2, vcc_lo, s0
	s_mov_b32 s0, -1
	s_and_saveexec_b32 s1, s2
	s_cbranch_execz .LBB260_2
; %bb.1:
	s_waitcnt vmcnt(0) lgkmcnt(0)
	v_cmp_neq_f64_e32 vcc_lo, 1.0, v[1:2]
	v_cmp_neq_f64_e64 s0, 0, v[3:4]
	s_or_b32 s0, vcc_lo, s0
	s_orn2_b32 s0, s0, exec_lo
.LBB260_2:
	s_or_b32 exec_lo, exec_lo, s1
	s_and_saveexec_b32 s1, s0
	s_cbranch_execz .LBB260_13
; %bb.3:
	s_load_dword s0, s[4:5], 0x0
	v_lshrrev_b32_e32 v9, 4, v0
	v_lshl_or_b32 v9, s6, 3, v9
	s_waitcnt lgkmcnt(0)
	v_cmp_gt_i32_e32 vcc_lo, s0, v9
	s_and_b32 exec_lo, exec_lo, vcc_lo
	s_cbranch_execz .LBB260_13
; %bb.4:
	s_clause 0x1
	s_load_dwordx2 s[0:1], s[4:5], 0x18
	s_load_dwordx2 s[6:7], s[4:5], 0x48
	v_ashrrev_i32_e32 v10, 31, v9
	v_and_b32_e32 v0, 15, v0
	v_mov_b32_e32 v17, 0
	v_mov_b32_e32 v18, 0
	s_mov_b32 s9, exec_lo
	v_lshlrev_b64 v[11:12], 2, v[9:10]
	v_subrev_nc_u32_e32 v13, s8, v0
	s_waitcnt lgkmcnt(0)
	v_add_co_u32 v11, vcc_lo, s0, v11
	v_add_co_ci_u32_e64 v12, null, s1, v12, vcc_lo
	global_load_dwordx2 v[11:12], v[11:12], off
	s_waitcnt vmcnt(0)
	v_add_nc_u32_e32 v11, v11, v13
	v_mov_b32_e32 v13, 0
	v_subrev_nc_u32_e32 v19, s8, v12
	v_mov_b32_e32 v14, 0
	v_cmpx_lt_i32_e64 v11, v19
	s_cbranch_execz .LBB260_8
; %bb.5:
	s_clause 0x1
	s_load_dwordx4 s[0:3], s[4:5], 0x20
	s_load_dwordx2 s[4:5], s[4:5], 0x30
	v_mov_b32_e32 v13, 0
	v_mov_b32_e32 v17, 0
	v_lshlrev_b32_e32 v15, 3, v11
	v_mov_b32_e32 v14, 0
	v_mov_b32_e32 v18, 0
	;; [unrolled: 1-line block ×3, first 2 shown]
	s_mov_b32 s10, 0
.LBB260_6:                              ; =>This Inner Loop Header: Depth=1
	v_ashrrev_i32_e32 v12, 31, v11
	v_mov_b32_e32 v23, v16
	v_lshlrev_b64 v[20:21], 2, v[11:12]
	v_add_nc_u32_e32 v11, 16, v11
	s_waitcnt lgkmcnt(0)
	v_add_co_u32 v20, vcc_lo, s0, v20
	v_add_co_ci_u32_e64 v21, null, s1, v21, vcc_lo
	global_load_dword v12, v[20:21], off
	v_lshlrev_b64 v[20:21], 4, v[15:16]
	v_add_nc_u32_e32 v15, 0x80, v15
	v_add_co_u32 v76, vcc_lo, s2, v20
	v_add_co_ci_u32_e64 v77, null, s3, v21, vcc_lo
	s_waitcnt vmcnt(0)
	v_subrev_nc_u32_e32 v12, s8, v12
	v_lshlrev_b32_e32 v22, 3, v12
	v_lshlrev_b64 v[22:23], 4, v[22:23]
	v_add_co_u32 v80, vcc_lo, s4, v22
	v_add_co_ci_u32_e64 v81, null, s5, v23, vcc_lo
	v_cmp_ge_i32_e32 vcc_lo, v11, v19
	s_clause 0x1
	global_load_dwordx4 v[20:23], v[76:77], off offset:16
	global_load_dwordx4 v[24:27], v[76:77], off
	s_clause 0x1
	global_load_dwordx4 v[28:31], v[80:81], off
	global_load_dwordx4 v[32:35], v[80:81], off offset:16
	global_load_dwordx4 v[36:39], v[76:77], off offset:32
	;; [unrolled: 1-line block ×13, first 2 shown]
	s_or_b32 s10, vcc_lo, s10
	s_waitcnt vmcnt(13)
	v_fma_f64 v[17:18], v[24:25], v[28:29], v[17:18]
	v_fma_f64 v[12:13], v[26:27], v[28:29], v[13:14]
	v_fma_f64 v[17:18], -v[26:27], v[30:31], v[17:18]
	v_fma_f64 v[12:13], v[24:25], v[30:31], v[12:13]
	s_waitcnt vmcnt(12)
	v_fma_f64 v[17:18], v[20:21], v[32:33], v[17:18]
	v_fma_f64 v[12:13], v[22:23], v[32:33], v[12:13]
	v_fma_f64 v[17:18], -v[22:23], v[34:35], v[17:18]
	v_fma_f64 v[12:13], v[20:21], v[34:35], v[12:13]
	;; [unrolled: 5-line block ×8, first 2 shown]
	s_andn2_b32 exec_lo, exec_lo, s10
	s_cbranch_execnz .LBB260_6
; %bb.7:
	s_or_b32 exec_lo, exec_lo, s10
.LBB260_8:
	s_or_b32 exec_lo, exec_lo, s9
	v_mbcnt_lo_u32_b32 v19, -1, 0
	v_xor_b32_e32 v11, 8, v19
	v_cmp_gt_i32_e32 vcc_lo, 32, v11
	v_cndmask_b32_e32 v11, v19, v11, vcc_lo
	v_lshlrev_b32_e32 v16, 2, v11
	ds_bpermute_b32 v11, v16, v17
	ds_bpermute_b32 v12, v16, v18
	ds_bpermute_b32 v15, v16, v13
	ds_bpermute_b32 v16, v16, v14
	s_waitcnt lgkmcnt(2)
	v_add_f64 v[11:12], v[17:18], v[11:12]
	s_waitcnt lgkmcnt(0)
	v_add_f64 v[13:14], v[13:14], v[15:16]
	v_xor_b32_e32 v15, 4, v19
	v_cmp_gt_i32_e32 vcc_lo, 32, v15
	v_cndmask_b32_e32 v15, v19, v15, vcc_lo
	v_lshlrev_b32_e32 v18, 2, v15
	ds_bpermute_b32 v15, v18, v11
	ds_bpermute_b32 v16, v18, v12
	;; [unrolled: 1-line block ×4, first 2 shown]
	s_waitcnt lgkmcnt(2)
	v_add_f64 v[11:12], v[11:12], v[15:16]
	v_xor_b32_e32 v15, 2, v19
	s_waitcnt lgkmcnt(0)
	v_add_f64 v[13:14], v[13:14], v[17:18]
	v_cmp_gt_i32_e32 vcc_lo, 32, v15
	v_cndmask_b32_e32 v15, v19, v15, vcc_lo
	v_lshlrev_b32_e32 v18, 2, v15
	ds_bpermute_b32 v15, v18, v11
	ds_bpermute_b32 v16, v18, v12
	;; [unrolled: 1-line block ×4, first 2 shown]
	s_waitcnt lgkmcnt(2)
	v_add_f64 v[11:12], v[11:12], v[15:16]
	v_xor_b32_e32 v15, 1, v19
	s_waitcnt lgkmcnt(0)
	v_add_f64 v[13:14], v[13:14], v[17:18]
	v_cmp_gt_i32_e32 vcc_lo, 32, v15
	v_cndmask_b32_e32 v15, v19, v15, vcc_lo
	v_cmp_eq_u32_e32 vcc_lo, 15, v0
	v_lshlrev_b32_e32 v18, 2, v15
	ds_bpermute_b32 v15, v18, v11
	ds_bpermute_b32 v16, v18, v12
	;; [unrolled: 1-line block ×4, first 2 shown]
	s_and_b32 exec_lo, exec_lo, vcc_lo
	s_cbranch_execz .LBB260_13
; %bb.9:
	s_waitcnt lgkmcnt(0)
	v_add_f64 v[13:14], v[13:14], v[17:18]
	v_add_f64 v[11:12], v[11:12], v[15:16]
	v_cmp_eq_f64_e32 vcc_lo, 0, v[1:2]
	v_cmp_eq_f64_e64 s0, 0, v[3:4]
	v_lshlrev_b64 v[9:10], 4, v[9:10]
	v_mul_f64 v[15:16], v[13:14], -v[7:8]
	v_mul_f64 v[13:14], v[5:6], v[13:14]
	s_and_b32 s0, vcc_lo, s0
	v_fma_f64 v[5:6], v[5:6], v[11:12], v[15:16]
	v_fma_f64 v[7:8], v[7:8], v[11:12], v[13:14]
	s_and_saveexec_b32 s1, s0
	s_xor_b32 s0, exec_lo, s1
	s_cbranch_execz .LBB260_11
; %bb.10:
	v_add_co_u32 v0, vcc_lo, s6, v9
	v_add_co_ci_u32_e64 v1, null, s7, v10, vcc_lo
                                        ; implicit-def: $vgpr9_vgpr10
	global_store_dwordx4 v[0:1], v[5:8], off
                                        ; implicit-def: $vgpr1_vgpr2
                                        ; implicit-def: $vgpr5_vgpr6
.LBB260_11:
	s_andn2_saveexec_b32 s0, s0
	s_cbranch_execz .LBB260_13
; %bb.12:
	v_add_co_u32 v13, vcc_lo, s6, v9
	v_add_co_ci_u32_e64 v14, null, s7, v10, vcc_lo
	global_load_dwordx4 v[9:12], v[13:14], off
	s_waitcnt vmcnt(0)
	v_fma_f64 v[5:6], v[1:2], v[9:10], v[5:6]
	v_fma_f64 v[7:8], v[3:4], v[9:10], v[7:8]
	v_fma_f64 v[3:4], -v[3:4], v[11:12], v[5:6]
	v_fma_f64 v[5:6], v[1:2], v[11:12], v[7:8]
	global_store_dwordx4 v[13:14], v[3:6], off
.LBB260_13:
	s_endpgm
	.section	.rodata,"a",@progbits
	.p2align	6, 0x0
	.amdhsa_kernel _ZN9rocsparseL19gebsrmvn_1xn_kernelILj128ELj8ELj16E21rocsparse_complex_numIdEEEvi20rocsparse_direction_NS_24const_host_device_scalarIT2_EEPKiS8_PKS5_SA_S6_PS5_21rocsparse_index_base_b
		.amdhsa_group_segment_fixed_size 0
		.amdhsa_private_segment_fixed_size 0
		.amdhsa_kernarg_size 88
		.amdhsa_user_sgpr_count 6
		.amdhsa_user_sgpr_private_segment_buffer 1
		.amdhsa_user_sgpr_dispatch_ptr 0
		.amdhsa_user_sgpr_queue_ptr 0
		.amdhsa_user_sgpr_kernarg_segment_ptr 1
		.amdhsa_user_sgpr_dispatch_id 0
		.amdhsa_user_sgpr_flat_scratch_init 0
		.amdhsa_user_sgpr_private_segment_size 0
		.amdhsa_wavefront_size32 1
		.amdhsa_uses_dynamic_stack 0
		.amdhsa_system_sgpr_private_segment_wavefront_offset 0
		.amdhsa_system_sgpr_workgroup_id_x 1
		.amdhsa_system_sgpr_workgroup_id_y 0
		.amdhsa_system_sgpr_workgroup_id_z 0
		.amdhsa_system_sgpr_workgroup_info 0
		.amdhsa_system_vgpr_workitem_id 0
		.amdhsa_next_free_vgpr 84
		.amdhsa_next_free_sgpr 13
		.amdhsa_reserve_vcc 1
		.amdhsa_reserve_flat_scratch 0
		.amdhsa_float_round_mode_32 0
		.amdhsa_float_round_mode_16_64 0
		.amdhsa_float_denorm_mode_32 3
		.amdhsa_float_denorm_mode_16_64 3
		.amdhsa_dx10_clamp 1
		.amdhsa_ieee_mode 1
		.amdhsa_fp16_overflow 0
		.amdhsa_workgroup_processor_mode 1
		.amdhsa_memory_ordered 1
		.amdhsa_forward_progress 1
		.amdhsa_shared_vgpr_count 0
		.amdhsa_exception_fp_ieee_invalid_op 0
		.amdhsa_exception_fp_denorm_src 0
		.amdhsa_exception_fp_ieee_div_zero 0
		.amdhsa_exception_fp_ieee_overflow 0
		.amdhsa_exception_fp_ieee_underflow 0
		.amdhsa_exception_fp_ieee_inexact 0
		.amdhsa_exception_int_div_zero 0
	.end_amdhsa_kernel
	.section	.text._ZN9rocsparseL19gebsrmvn_1xn_kernelILj128ELj8ELj16E21rocsparse_complex_numIdEEEvi20rocsparse_direction_NS_24const_host_device_scalarIT2_EEPKiS8_PKS5_SA_S6_PS5_21rocsparse_index_base_b,"axG",@progbits,_ZN9rocsparseL19gebsrmvn_1xn_kernelILj128ELj8ELj16E21rocsparse_complex_numIdEEEvi20rocsparse_direction_NS_24const_host_device_scalarIT2_EEPKiS8_PKS5_SA_S6_PS5_21rocsparse_index_base_b,comdat
.Lfunc_end260:
	.size	_ZN9rocsparseL19gebsrmvn_1xn_kernelILj128ELj8ELj16E21rocsparse_complex_numIdEEEvi20rocsparse_direction_NS_24const_host_device_scalarIT2_EEPKiS8_PKS5_SA_S6_PS5_21rocsparse_index_base_b, .Lfunc_end260-_ZN9rocsparseL19gebsrmvn_1xn_kernelILj128ELj8ELj16E21rocsparse_complex_numIdEEEvi20rocsparse_direction_NS_24const_host_device_scalarIT2_EEPKiS8_PKS5_SA_S6_PS5_21rocsparse_index_base_b
                                        ; -- End function
	.set _ZN9rocsparseL19gebsrmvn_1xn_kernelILj128ELj8ELj16E21rocsparse_complex_numIdEEEvi20rocsparse_direction_NS_24const_host_device_scalarIT2_EEPKiS8_PKS5_SA_S6_PS5_21rocsparse_index_base_b.num_vgpr, 84
	.set _ZN9rocsparseL19gebsrmvn_1xn_kernelILj128ELj8ELj16E21rocsparse_complex_numIdEEEvi20rocsparse_direction_NS_24const_host_device_scalarIT2_EEPKiS8_PKS5_SA_S6_PS5_21rocsparse_index_base_b.num_agpr, 0
	.set _ZN9rocsparseL19gebsrmvn_1xn_kernelILj128ELj8ELj16E21rocsparse_complex_numIdEEEvi20rocsparse_direction_NS_24const_host_device_scalarIT2_EEPKiS8_PKS5_SA_S6_PS5_21rocsparse_index_base_b.numbered_sgpr, 13
	.set _ZN9rocsparseL19gebsrmvn_1xn_kernelILj128ELj8ELj16E21rocsparse_complex_numIdEEEvi20rocsparse_direction_NS_24const_host_device_scalarIT2_EEPKiS8_PKS5_SA_S6_PS5_21rocsparse_index_base_b.num_named_barrier, 0
	.set _ZN9rocsparseL19gebsrmvn_1xn_kernelILj128ELj8ELj16E21rocsparse_complex_numIdEEEvi20rocsparse_direction_NS_24const_host_device_scalarIT2_EEPKiS8_PKS5_SA_S6_PS5_21rocsparse_index_base_b.private_seg_size, 0
	.set _ZN9rocsparseL19gebsrmvn_1xn_kernelILj128ELj8ELj16E21rocsparse_complex_numIdEEEvi20rocsparse_direction_NS_24const_host_device_scalarIT2_EEPKiS8_PKS5_SA_S6_PS5_21rocsparse_index_base_b.uses_vcc, 1
	.set _ZN9rocsparseL19gebsrmvn_1xn_kernelILj128ELj8ELj16E21rocsparse_complex_numIdEEEvi20rocsparse_direction_NS_24const_host_device_scalarIT2_EEPKiS8_PKS5_SA_S6_PS5_21rocsparse_index_base_b.uses_flat_scratch, 0
	.set _ZN9rocsparseL19gebsrmvn_1xn_kernelILj128ELj8ELj16E21rocsparse_complex_numIdEEEvi20rocsparse_direction_NS_24const_host_device_scalarIT2_EEPKiS8_PKS5_SA_S6_PS5_21rocsparse_index_base_b.has_dyn_sized_stack, 0
	.set _ZN9rocsparseL19gebsrmvn_1xn_kernelILj128ELj8ELj16E21rocsparse_complex_numIdEEEvi20rocsparse_direction_NS_24const_host_device_scalarIT2_EEPKiS8_PKS5_SA_S6_PS5_21rocsparse_index_base_b.has_recursion, 0
	.set _ZN9rocsparseL19gebsrmvn_1xn_kernelILj128ELj8ELj16E21rocsparse_complex_numIdEEEvi20rocsparse_direction_NS_24const_host_device_scalarIT2_EEPKiS8_PKS5_SA_S6_PS5_21rocsparse_index_base_b.has_indirect_call, 0
	.section	.AMDGPU.csdata,"",@progbits
; Kernel info:
; codeLenInByte = 1404
; TotalNumSgprs: 15
; NumVgprs: 84
; ScratchSize: 0
; MemoryBound: 1
; FloatMode: 240
; IeeeMode: 1
; LDSByteSize: 0 bytes/workgroup (compile time only)
; SGPRBlocks: 0
; VGPRBlocks: 10
; NumSGPRsForWavesPerEU: 15
; NumVGPRsForWavesPerEU: 84
; Occupancy: 10
; WaveLimiterHint : 1
; COMPUTE_PGM_RSRC2:SCRATCH_EN: 0
; COMPUTE_PGM_RSRC2:USER_SGPR: 6
; COMPUTE_PGM_RSRC2:TRAP_HANDLER: 0
; COMPUTE_PGM_RSRC2:TGID_X_EN: 1
; COMPUTE_PGM_RSRC2:TGID_Y_EN: 0
; COMPUTE_PGM_RSRC2:TGID_Z_EN: 0
; COMPUTE_PGM_RSRC2:TIDIG_COMP_CNT: 0
	.section	.text._ZN9rocsparseL19gebsrmvn_1xn_kernelILj128ELj8ELj32E21rocsparse_complex_numIdEEEvi20rocsparse_direction_NS_24const_host_device_scalarIT2_EEPKiS8_PKS5_SA_S6_PS5_21rocsparse_index_base_b,"axG",@progbits,_ZN9rocsparseL19gebsrmvn_1xn_kernelILj128ELj8ELj32E21rocsparse_complex_numIdEEEvi20rocsparse_direction_NS_24const_host_device_scalarIT2_EEPKiS8_PKS5_SA_S6_PS5_21rocsparse_index_base_b,comdat
	.globl	_ZN9rocsparseL19gebsrmvn_1xn_kernelILj128ELj8ELj32E21rocsparse_complex_numIdEEEvi20rocsparse_direction_NS_24const_host_device_scalarIT2_EEPKiS8_PKS5_SA_S6_PS5_21rocsparse_index_base_b ; -- Begin function _ZN9rocsparseL19gebsrmvn_1xn_kernelILj128ELj8ELj32E21rocsparse_complex_numIdEEEvi20rocsparse_direction_NS_24const_host_device_scalarIT2_EEPKiS8_PKS5_SA_S6_PS5_21rocsparse_index_base_b
	.p2align	8
	.type	_ZN9rocsparseL19gebsrmvn_1xn_kernelILj128ELj8ELj32E21rocsparse_complex_numIdEEEvi20rocsparse_direction_NS_24const_host_device_scalarIT2_EEPKiS8_PKS5_SA_S6_PS5_21rocsparse_index_base_b,@function
_ZN9rocsparseL19gebsrmvn_1xn_kernelILj128ELj8ELj32E21rocsparse_complex_numIdEEEvi20rocsparse_direction_NS_24const_host_device_scalarIT2_EEPKiS8_PKS5_SA_S6_PS5_21rocsparse_index_base_b: ; @_ZN9rocsparseL19gebsrmvn_1xn_kernelILj128ELj8ELj32E21rocsparse_complex_numIdEEEvi20rocsparse_direction_NS_24const_host_device_scalarIT2_EEPKiS8_PKS5_SA_S6_PS5_21rocsparse_index_base_b
; %bb.0:
	s_clause 0x1
	s_load_dwordx2 s[8:9], s[4:5], 0x50
	s_load_dwordx2 s[0:1], s[4:5], 0x8
	s_add_u32 s7, s4, 8
	s_addc_u32 s10, s5, 0
	s_add_u32 s11, s4, 56
	s_addc_u32 s12, s5, 0
	s_load_dwordx2 s[2:3], s[4:5], 0x38
	s_waitcnt lgkmcnt(0)
	s_bitcmp1_b32 s9, 0
	s_cselect_b32 s0, s7, s0
	s_cselect_b32 s1, s10, s1
	v_mov_b32_e32 v1, s0
	v_mov_b32_e32 v2, s1
	s_cselect_b32 s0, s11, s2
	s_cselect_b32 s1, s12, s3
	flat_load_dwordx4 v[5:8], v[1:2]
	v_mov_b32_e32 v1, s0
	v_mov_b32_e32 v2, s1
	flat_load_dwordx4 v[1:4], v[1:2]
	s_waitcnt vmcnt(1) lgkmcnt(1)
	v_cmp_eq_f64_e32 vcc_lo, 0, v[5:6]
	v_cmp_eq_f64_e64 s0, 0, v[7:8]
	s_and_b32 s2, vcc_lo, s0
	s_mov_b32 s0, -1
	s_and_saveexec_b32 s1, s2
	s_cbranch_execz .LBB261_2
; %bb.1:
	s_waitcnt vmcnt(0) lgkmcnt(0)
	v_cmp_neq_f64_e32 vcc_lo, 1.0, v[1:2]
	v_cmp_neq_f64_e64 s0, 0, v[3:4]
	s_or_b32 s0, vcc_lo, s0
	s_orn2_b32 s0, s0, exec_lo
.LBB261_2:
	s_or_b32 exec_lo, exec_lo, s1
	s_and_saveexec_b32 s1, s0
	s_cbranch_execz .LBB261_13
; %bb.3:
	s_load_dword s0, s[4:5], 0x0
	v_lshrrev_b32_e32 v9, 5, v0
	v_lshl_or_b32 v9, s6, 2, v9
	s_waitcnt lgkmcnt(0)
	v_cmp_gt_i32_e32 vcc_lo, s0, v9
	s_and_b32 exec_lo, exec_lo, vcc_lo
	s_cbranch_execz .LBB261_13
; %bb.4:
	s_clause 0x1
	s_load_dwordx2 s[0:1], s[4:5], 0x18
	s_load_dwordx2 s[6:7], s[4:5], 0x48
	v_ashrrev_i32_e32 v10, 31, v9
	v_and_b32_e32 v0, 31, v0
	v_mov_b32_e32 v15, 0
	v_mov_b32_e32 v16, 0
	s_mov_b32 s9, exec_lo
	v_lshlrev_b64 v[11:12], 2, v[9:10]
	v_subrev_nc_u32_e32 v13, s8, v0
	s_waitcnt lgkmcnt(0)
	v_add_co_u32 v11, vcc_lo, s0, v11
	v_add_co_ci_u32_e64 v12, null, s1, v12, vcc_lo
	global_load_dwordx2 v[11:12], v[11:12], off
	s_waitcnt vmcnt(0)
	v_subrev_nc_u32_e32 v19, s8, v12
	v_add_nc_u32_e32 v13, v11, v13
	v_mov_b32_e32 v11, 0
	v_mov_b32_e32 v12, 0
	v_cmpx_lt_i32_e64 v13, v19
	s_cbranch_execz .LBB261_8
; %bb.5:
	s_clause 0x1
	s_load_dwordx4 s[0:3], s[4:5], 0x20
	s_load_dwordx2 s[4:5], s[4:5], 0x30
	v_mov_b32_e32 v11, 0
	v_mov_b32_e32 v15, 0
	v_lshlrev_b32_e32 v17, 3, v13
	v_mov_b32_e32 v12, 0
	v_mov_b32_e32 v16, 0
	;; [unrolled: 1-line block ×3, first 2 shown]
	s_mov_b32 s10, 0
.LBB261_6:                              ; =>This Inner Loop Header: Depth=1
	v_ashrrev_i32_e32 v14, 31, v13
	v_mov_b32_e32 v23, v18
	v_lshlrev_b64 v[20:21], 2, v[13:14]
	v_add_nc_u32_e32 v13, 32, v13
	s_waitcnt lgkmcnt(0)
	v_add_co_u32 v20, vcc_lo, s0, v20
	v_add_co_ci_u32_e64 v21, null, s1, v21, vcc_lo
	global_load_dword v14, v[20:21], off
	v_lshlrev_b64 v[20:21], 4, v[17:18]
	v_add_nc_u32_e32 v17, 0x100, v17
	v_add_co_u32 v76, vcc_lo, s2, v20
	v_add_co_ci_u32_e64 v77, null, s3, v21, vcc_lo
	s_waitcnt vmcnt(0)
	v_subrev_nc_u32_e32 v14, s8, v14
	v_lshlrev_b32_e32 v22, 3, v14
	v_lshlrev_b64 v[22:23], 4, v[22:23]
	v_add_co_u32 v80, vcc_lo, s4, v22
	v_add_co_ci_u32_e64 v81, null, s5, v23, vcc_lo
	v_cmp_ge_i32_e32 vcc_lo, v13, v19
	s_clause 0x1
	global_load_dwordx4 v[20:23], v[76:77], off offset:16
	global_load_dwordx4 v[24:27], v[76:77], off
	s_clause 0x1
	global_load_dwordx4 v[28:31], v[80:81], off
	global_load_dwordx4 v[32:35], v[80:81], off offset:16
	global_load_dwordx4 v[36:39], v[76:77], off offset:32
	;; [unrolled: 1-line block ×13, first 2 shown]
	s_or_b32 s10, vcc_lo, s10
	s_waitcnt vmcnt(13)
	v_fma_f64 v[14:15], v[24:25], v[28:29], v[15:16]
	v_fma_f64 v[11:12], v[26:27], v[28:29], v[11:12]
	v_fma_f64 v[14:15], -v[26:27], v[30:31], v[14:15]
	v_fma_f64 v[11:12], v[24:25], v[30:31], v[11:12]
	s_waitcnt vmcnt(12)
	v_fma_f64 v[14:15], v[20:21], v[32:33], v[14:15]
	v_fma_f64 v[11:12], v[22:23], v[32:33], v[11:12]
	v_fma_f64 v[14:15], -v[22:23], v[34:35], v[14:15]
	v_fma_f64 v[11:12], v[20:21], v[34:35], v[11:12]
	;; [unrolled: 5-line block ×8, first 2 shown]
	s_andn2_b32 exec_lo, exec_lo, s10
	s_cbranch_execnz .LBB261_6
; %bb.7:
	s_or_b32 exec_lo, exec_lo, s10
.LBB261_8:
	s_or_b32 exec_lo, exec_lo, s9
	v_mbcnt_lo_u32_b32 v19, -1, 0
	v_xor_b32_e32 v13, 16, v19
	v_cmp_gt_i32_e32 vcc_lo, 32, v13
	v_cndmask_b32_e32 v13, v19, v13, vcc_lo
	v_lshlrev_b32_e32 v18, 2, v13
	ds_bpermute_b32 v13, v18, v15
	ds_bpermute_b32 v14, v18, v16
	;; [unrolled: 1-line block ×4, first 2 shown]
	s_waitcnt lgkmcnt(2)
	v_add_f64 v[13:14], v[15:16], v[13:14]
	v_xor_b32_e32 v15, 8, v19
	s_waitcnt lgkmcnt(0)
	v_add_f64 v[11:12], v[11:12], v[17:18]
	v_cmp_gt_i32_e32 vcc_lo, 32, v15
	v_cndmask_b32_e32 v15, v19, v15, vcc_lo
	v_lshlrev_b32_e32 v18, 2, v15
	ds_bpermute_b32 v15, v18, v13
	ds_bpermute_b32 v16, v18, v14
	;; [unrolled: 1-line block ×4, first 2 shown]
	s_waitcnt lgkmcnt(2)
	v_add_f64 v[13:14], v[13:14], v[15:16]
	v_xor_b32_e32 v15, 4, v19
	s_waitcnt lgkmcnt(0)
	v_add_f64 v[11:12], v[11:12], v[17:18]
	v_cmp_gt_i32_e32 vcc_lo, 32, v15
	v_cndmask_b32_e32 v15, v19, v15, vcc_lo
	v_lshlrev_b32_e32 v18, 2, v15
	ds_bpermute_b32 v15, v18, v13
	ds_bpermute_b32 v16, v18, v14
	;; [unrolled: 1-line block ×4, first 2 shown]
	s_waitcnt lgkmcnt(2)
	v_add_f64 v[13:14], v[13:14], v[15:16]
	s_waitcnt lgkmcnt(0)
	v_add_f64 v[15:16], v[11:12], v[17:18]
	v_xor_b32_e32 v11, 2, v19
	v_cmp_gt_i32_e32 vcc_lo, 32, v11
	v_cndmask_b32_e32 v11, v19, v11, vcc_lo
	v_lshlrev_b32_e32 v18, 2, v11
	ds_bpermute_b32 v11, v18, v13
	ds_bpermute_b32 v12, v18, v14
	;; [unrolled: 1-line block ×4, first 2 shown]
	s_waitcnt lgkmcnt(2)
	v_add_f64 v[11:12], v[13:14], v[11:12]
	s_waitcnt lgkmcnt(0)
	v_add_f64 v[13:14], v[15:16], v[17:18]
	v_xor_b32_e32 v15, 1, v19
	v_cmp_gt_i32_e32 vcc_lo, 32, v15
	v_cndmask_b32_e32 v15, v19, v15, vcc_lo
	v_cmp_eq_u32_e32 vcc_lo, 31, v0
	v_lshlrev_b32_e32 v18, 2, v15
	ds_bpermute_b32 v15, v18, v11
	ds_bpermute_b32 v16, v18, v12
	;; [unrolled: 1-line block ×4, first 2 shown]
	s_and_b32 exec_lo, exec_lo, vcc_lo
	s_cbranch_execz .LBB261_13
; %bb.9:
	s_waitcnt lgkmcnt(0)
	v_add_f64 v[13:14], v[13:14], v[17:18]
	v_add_f64 v[11:12], v[11:12], v[15:16]
	v_cmp_eq_f64_e32 vcc_lo, 0, v[1:2]
	v_cmp_eq_f64_e64 s0, 0, v[3:4]
	v_lshlrev_b64 v[9:10], 4, v[9:10]
	v_mul_f64 v[15:16], v[13:14], -v[7:8]
	v_mul_f64 v[13:14], v[5:6], v[13:14]
	s_and_b32 s0, vcc_lo, s0
	v_fma_f64 v[5:6], v[5:6], v[11:12], v[15:16]
	v_fma_f64 v[7:8], v[7:8], v[11:12], v[13:14]
	s_and_saveexec_b32 s1, s0
	s_xor_b32 s0, exec_lo, s1
	s_cbranch_execz .LBB261_11
; %bb.10:
	v_add_co_u32 v0, vcc_lo, s6, v9
	v_add_co_ci_u32_e64 v1, null, s7, v10, vcc_lo
                                        ; implicit-def: $vgpr9_vgpr10
	global_store_dwordx4 v[0:1], v[5:8], off
                                        ; implicit-def: $vgpr1_vgpr2
                                        ; implicit-def: $vgpr5_vgpr6
.LBB261_11:
	s_andn2_saveexec_b32 s0, s0
	s_cbranch_execz .LBB261_13
; %bb.12:
	v_add_co_u32 v13, vcc_lo, s6, v9
	v_add_co_ci_u32_e64 v14, null, s7, v10, vcc_lo
	global_load_dwordx4 v[9:12], v[13:14], off
	s_waitcnt vmcnt(0)
	v_fma_f64 v[5:6], v[1:2], v[9:10], v[5:6]
	v_fma_f64 v[7:8], v[3:4], v[9:10], v[7:8]
	v_fma_f64 v[3:4], -v[3:4], v[11:12], v[5:6]
	v_fma_f64 v[5:6], v[1:2], v[11:12], v[7:8]
	global_store_dwordx4 v[13:14], v[3:6], off
.LBB261_13:
	s_endpgm
	.section	.rodata,"a",@progbits
	.p2align	6, 0x0
	.amdhsa_kernel _ZN9rocsparseL19gebsrmvn_1xn_kernelILj128ELj8ELj32E21rocsparse_complex_numIdEEEvi20rocsparse_direction_NS_24const_host_device_scalarIT2_EEPKiS8_PKS5_SA_S6_PS5_21rocsparse_index_base_b
		.amdhsa_group_segment_fixed_size 0
		.amdhsa_private_segment_fixed_size 0
		.amdhsa_kernarg_size 88
		.amdhsa_user_sgpr_count 6
		.amdhsa_user_sgpr_private_segment_buffer 1
		.amdhsa_user_sgpr_dispatch_ptr 0
		.amdhsa_user_sgpr_queue_ptr 0
		.amdhsa_user_sgpr_kernarg_segment_ptr 1
		.amdhsa_user_sgpr_dispatch_id 0
		.amdhsa_user_sgpr_flat_scratch_init 0
		.amdhsa_user_sgpr_private_segment_size 0
		.amdhsa_wavefront_size32 1
		.amdhsa_uses_dynamic_stack 0
		.amdhsa_system_sgpr_private_segment_wavefront_offset 0
		.amdhsa_system_sgpr_workgroup_id_x 1
		.amdhsa_system_sgpr_workgroup_id_y 0
		.amdhsa_system_sgpr_workgroup_id_z 0
		.amdhsa_system_sgpr_workgroup_info 0
		.amdhsa_system_vgpr_workitem_id 0
		.amdhsa_next_free_vgpr 84
		.amdhsa_next_free_sgpr 13
		.amdhsa_reserve_vcc 1
		.amdhsa_reserve_flat_scratch 0
		.amdhsa_float_round_mode_32 0
		.amdhsa_float_round_mode_16_64 0
		.amdhsa_float_denorm_mode_32 3
		.amdhsa_float_denorm_mode_16_64 3
		.amdhsa_dx10_clamp 1
		.amdhsa_ieee_mode 1
		.amdhsa_fp16_overflow 0
		.amdhsa_workgroup_processor_mode 1
		.amdhsa_memory_ordered 1
		.amdhsa_forward_progress 1
		.amdhsa_shared_vgpr_count 0
		.amdhsa_exception_fp_ieee_invalid_op 0
		.amdhsa_exception_fp_denorm_src 0
		.amdhsa_exception_fp_ieee_div_zero 0
		.amdhsa_exception_fp_ieee_overflow 0
		.amdhsa_exception_fp_ieee_underflow 0
		.amdhsa_exception_fp_ieee_inexact 0
		.amdhsa_exception_int_div_zero 0
	.end_amdhsa_kernel
	.section	.text._ZN9rocsparseL19gebsrmvn_1xn_kernelILj128ELj8ELj32E21rocsparse_complex_numIdEEEvi20rocsparse_direction_NS_24const_host_device_scalarIT2_EEPKiS8_PKS5_SA_S6_PS5_21rocsparse_index_base_b,"axG",@progbits,_ZN9rocsparseL19gebsrmvn_1xn_kernelILj128ELj8ELj32E21rocsparse_complex_numIdEEEvi20rocsparse_direction_NS_24const_host_device_scalarIT2_EEPKiS8_PKS5_SA_S6_PS5_21rocsparse_index_base_b,comdat
.Lfunc_end261:
	.size	_ZN9rocsparseL19gebsrmvn_1xn_kernelILj128ELj8ELj32E21rocsparse_complex_numIdEEEvi20rocsparse_direction_NS_24const_host_device_scalarIT2_EEPKiS8_PKS5_SA_S6_PS5_21rocsparse_index_base_b, .Lfunc_end261-_ZN9rocsparseL19gebsrmvn_1xn_kernelILj128ELj8ELj32E21rocsparse_complex_numIdEEEvi20rocsparse_direction_NS_24const_host_device_scalarIT2_EEPKiS8_PKS5_SA_S6_PS5_21rocsparse_index_base_b
                                        ; -- End function
	.set _ZN9rocsparseL19gebsrmvn_1xn_kernelILj128ELj8ELj32E21rocsparse_complex_numIdEEEvi20rocsparse_direction_NS_24const_host_device_scalarIT2_EEPKiS8_PKS5_SA_S6_PS5_21rocsparse_index_base_b.num_vgpr, 84
	.set _ZN9rocsparseL19gebsrmvn_1xn_kernelILj128ELj8ELj32E21rocsparse_complex_numIdEEEvi20rocsparse_direction_NS_24const_host_device_scalarIT2_EEPKiS8_PKS5_SA_S6_PS5_21rocsparse_index_base_b.num_agpr, 0
	.set _ZN9rocsparseL19gebsrmvn_1xn_kernelILj128ELj8ELj32E21rocsparse_complex_numIdEEEvi20rocsparse_direction_NS_24const_host_device_scalarIT2_EEPKiS8_PKS5_SA_S6_PS5_21rocsparse_index_base_b.numbered_sgpr, 13
	.set _ZN9rocsparseL19gebsrmvn_1xn_kernelILj128ELj8ELj32E21rocsparse_complex_numIdEEEvi20rocsparse_direction_NS_24const_host_device_scalarIT2_EEPKiS8_PKS5_SA_S6_PS5_21rocsparse_index_base_b.num_named_barrier, 0
	.set _ZN9rocsparseL19gebsrmvn_1xn_kernelILj128ELj8ELj32E21rocsparse_complex_numIdEEEvi20rocsparse_direction_NS_24const_host_device_scalarIT2_EEPKiS8_PKS5_SA_S6_PS5_21rocsparse_index_base_b.private_seg_size, 0
	.set _ZN9rocsparseL19gebsrmvn_1xn_kernelILj128ELj8ELj32E21rocsparse_complex_numIdEEEvi20rocsparse_direction_NS_24const_host_device_scalarIT2_EEPKiS8_PKS5_SA_S6_PS5_21rocsparse_index_base_b.uses_vcc, 1
	.set _ZN9rocsparseL19gebsrmvn_1xn_kernelILj128ELj8ELj32E21rocsparse_complex_numIdEEEvi20rocsparse_direction_NS_24const_host_device_scalarIT2_EEPKiS8_PKS5_SA_S6_PS5_21rocsparse_index_base_b.uses_flat_scratch, 0
	.set _ZN9rocsparseL19gebsrmvn_1xn_kernelILj128ELj8ELj32E21rocsparse_complex_numIdEEEvi20rocsparse_direction_NS_24const_host_device_scalarIT2_EEPKiS8_PKS5_SA_S6_PS5_21rocsparse_index_base_b.has_dyn_sized_stack, 0
	.set _ZN9rocsparseL19gebsrmvn_1xn_kernelILj128ELj8ELj32E21rocsparse_complex_numIdEEEvi20rocsparse_direction_NS_24const_host_device_scalarIT2_EEPKiS8_PKS5_SA_S6_PS5_21rocsparse_index_base_b.has_recursion, 0
	.set _ZN9rocsparseL19gebsrmvn_1xn_kernelILj128ELj8ELj32E21rocsparse_complex_numIdEEEvi20rocsparse_direction_NS_24const_host_device_scalarIT2_EEPKiS8_PKS5_SA_S6_PS5_21rocsparse_index_base_b.has_indirect_call, 0
	.section	.AMDGPU.csdata,"",@progbits
; Kernel info:
; codeLenInByte = 1476
; TotalNumSgprs: 15
; NumVgprs: 84
; ScratchSize: 0
; MemoryBound: 1
; FloatMode: 240
; IeeeMode: 1
; LDSByteSize: 0 bytes/workgroup (compile time only)
; SGPRBlocks: 0
; VGPRBlocks: 10
; NumSGPRsForWavesPerEU: 15
; NumVGPRsForWavesPerEU: 84
; Occupancy: 10
; WaveLimiterHint : 1
; COMPUTE_PGM_RSRC2:SCRATCH_EN: 0
; COMPUTE_PGM_RSRC2:USER_SGPR: 6
; COMPUTE_PGM_RSRC2:TRAP_HANDLER: 0
; COMPUTE_PGM_RSRC2:TGID_X_EN: 1
; COMPUTE_PGM_RSRC2:TGID_Y_EN: 0
; COMPUTE_PGM_RSRC2:TGID_Z_EN: 0
; COMPUTE_PGM_RSRC2:TIDIG_COMP_CNT: 0
	.section	.text._ZN9rocsparseL19gebsrmvn_1xn_kernelILj128ELj8ELj64E21rocsparse_complex_numIdEEEvi20rocsparse_direction_NS_24const_host_device_scalarIT2_EEPKiS8_PKS5_SA_S6_PS5_21rocsparse_index_base_b,"axG",@progbits,_ZN9rocsparseL19gebsrmvn_1xn_kernelILj128ELj8ELj64E21rocsparse_complex_numIdEEEvi20rocsparse_direction_NS_24const_host_device_scalarIT2_EEPKiS8_PKS5_SA_S6_PS5_21rocsparse_index_base_b,comdat
	.globl	_ZN9rocsparseL19gebsrmvn_1xn_kernelILj128ELj8ELj64E21rocsparse_complex_numIdEEEvi20rocsparse_direction_NS_24const_host_device_scalarIT2_EEPKiS8_PKS5_SA_S6_PS5_21rocsparse_index_base_b ; -- Begin function _ZN9rocsparseL19gebsrmvn_1xn_kernelILj128ELj8ELj64E21rocsparse_complex_numIdEEEvi20rocsparse_direction_NS_24const_host_device_scalarIT2_EEPKiS8_PKS5_SA_S6_PS5_21rocsparse_index_base_b
	.p2align	8
	.type	_ZN9rocsparseL19gebsrmvn_1xn_kernelILj128ELj8ELj64E21rocsparse_complex_numIdEEEvi20rocsparse_direction_NS_24const_host_device_scalarIT2_EEPKiS8_PKS5_SA_S6_PS5_21rocsparse_index_base_b,@function
_ZN9rocsparseL19gebsrmvn_1xn_kernelILj128ELj8ELj64E21rocsparse_complex_numIdEEEvi20rocsparse_direction_NS_24const_host_device_scalarIT2_EEPKiS8_PKS5_SA_S6_PS5_21rocsparse_index_base_b: ; @_ZN9rocsparseL19gebsrmvn_1xn_kernelILj128ELj8ELj64E21rocsparse_complex_numIdEEEvi20rocsparse_direction_NS_24const_host_device_scalarIT2_EEPKiS8_PKS5_SA_S6_PS5_21rocsparse_index_base_b
; %bb.0:
	s_clause 0x1
	s_load_dwordx2 s[8:9], s[4:5], 0x50
	s_load_dwordx2 s[0:1], s[4:5], 0x8
	s_add_u32 s7, s4, 8
	s_addc_u32 s10, s5, 0
	s_add_u32 s11, s4, 56
	s_addc_u32 s12, s5, 0
	s_load_dwordx2 s[2:3], s[4:5], 0x38
	s_waitcnt lgkmcnt(0)
	s_bitcmp1_b32 s9, 0
	s_cselect_b32 s0, s7, s0
	s_cselect_b32 s1, s10, s1
	v_mov_b32_e32 v1, s0
	v_mov_b32_e32 v2, s1
	s_cselect_b32 s0, s11, s2
	s_cselect_b32 s1, s12, s3
	flat_load_dwordx4 v[5:8], v[1:2]
	v_mov_b32_e32 v1, s0
	v_mov_b32_e32 v2, s1
	flat_load_dwordx4 v[1:4], v[1:2]
	s_waitcnt vmcnt(1) lgkmcnt(1)
	v_cmp_eq_f64_e32 vcc_lo, 0, v[5:6]
	v_cmp_eq_f64_e64 s0, 0, v[7:8]
	s_and_b32 s2, vcc_lo, s0
	s_mov_b32 s0, -1
	s_and_saveexec_b32 s1, s2
	s_cbranch_execz .LBB262_2
; %bb.1:
	s_waitcnt vmcnt(0) lgkmcnt(0)
	v_cmp_neq_f64_e32 vcc_lo, 1.0, v[1:2]
	v_cmp_neq_f64_e64 s0, 0, v[3:4]
	s_or_b32 s0, vcc_lo, s0
	s_orn2_b32 s0, s0, exec_lo
.LBB262_2:
	s_or_b32 exec_lo, exec_lo, s1
	s_and_saveexec_b32 s1, s0
	s_cbranch_execz .LBB262_13
; %bb.3:
	s_load_dword s0, s[4:5], 0x0
	v_lshrrev_b32_e32 v9, 6, v0
	v_lshl_or_b32 v9, s6, 1, v9
	s_waitcnt lgkmcnt(0)
	v_cmp_gt_i32_e32 vcc_lo, s0, v9
	s_and_b32 exec_lo, exec_lo, vcc_lo
	s_cbranch_execz .LBB262_13
; %bb.4:
	s_clause 0x1
	s_load_dwordx2 s[0:1], s[4:5], 0x18
	s_load_dwordx2 s[6:7], s[4:5], 0x48
	v_ashrrev_i32_e32 v10, 31, v9
	v_and_b32_e32 v0, 63, v0
	v_mov_b32_e32 v15, 0
	v_mov_b32_e32 v16, 0
	s_mov_b32 s9, exec_lo
	v_lshlrev_b64 v[11:12], 2, v[9:10]
	v_subrev_nc_u32_e32 v13, s8, v0
	s_waitcnt lgkmcnt(0)
	v_add_co_u32 v11, vcc_lo, s0, v11
	v_add_co_ci_u32_e64 v12, null, s1, v12, vcc_lo
	global_load_dwordx2 v[11:12], v[11:12], off
	s_waitcnt vmcnt(0)
	v_subrev_nc_u32_e32 v19, s8, v12
	v_add_nc_u32_e32 v13, v11, v13
	v_mov_b32_e32 v11, 0
	v_mov_b32_e32 v12, 0
	v_cmpx_lt_i32_e64 v13, v19
	s_cbranch_execz .LBB262_8
; %bb.5:
	s_clause 0x1
	s_load_dwordx4 s[0:3], s[4:5], 0x20
	s_load_dwordx2 s[4:5], s[4:5], 0x30
	v_mov_b32_e32 v11, 0
	v_mov_b32_e32 v15, 0
	v_lshlrev_b32_e32 v17, 3, v13
	v_mov_b32_e32 v12, 0
	v_mov_b32_e32 v16, 0
	;; [unrolled: 1-line block ×3, first 2 shown]
	s_mov_b32 s10, 0
.LBB262_6:                              ; =>This Inner Loop Header: Depth=1
	v_ashrrev_i32_e32 v14, 31, v13
	v_mov_b32_e32 v23, v18
	v_lshlrev_b64 v[20:21], 2, v[13:14]
	v_add_nc_u32_e32 v13, 64, v13
	s_waitcnt lgkmcnt(0)
	v_add_co_u32 v20, vcc_lo, s0, v20
	v_add_co_ci_u32_e64 v21, null, s1, v21, vcc_lo
	global_load_dword v14, v[20:21], off
	v_lshlrev_b64 v[20:21], 4, v[17:18]
	v_add_nc_u32_e32 v17, 0x200, v17
	v_add_co_u32 v76, vcc_lo, s2, v20
	v_add_co_ci_u32_e64 v77, null, s3, v21, vcc_lo
	s_waitcnt vmcnt(0)
	v_subrev_nc_u32_e32 v14, s8, v14
	v_lshlrev_b32_e32 v22, 3, v14
	v_lshlrev_b64 v[22:23], 4, v[22:23]
	v_add_co_u32 v80, vcc_lo, s4, v22
	v_add_co_ci_u32_e64 v81, null, s5, v23, vcc_lo
	v_cmp_ge_i32_e32 vcc_lo, v13, v19
	s_clause 0x1
	global_load_dwordx4 v[20:23], v[76:77], off offset:16
	global_load_dwordx4 v[24:27], v[76:77], off
	s_clause 0x1
	global_load_dwordx4 v[28:31], v[80:81], off
	global_load_dwordx4 v[32:35], v[80:81], off offset:16
	global_load_dwordx4 v[36:39], v[76:77], off offset:32
	;; [unrolled: 1-line block ×13, first 2 shown]
	s_or_b32 s10, vcc_lo, s10
	s_waitcnt vmcnt(13)
	v_fma_f64 v[14:15], v[24:25], v[28:29], v[15:16]
	v_fma_f64 v[11:12], v[26:27], v[28:29], v[11:12]
	v_fma_f64 v[14:15], -v[26:27], v[30:31], v[14:15]
	v_fma_f64 v[11:12], v[24:25], v[30:31], v[11:12]
	s_waitcnt vmcnt(12)
	v_fma_f64 v[14:15], v[20:21], v[32:33], v[14:15]
	v_fma_f64 v[11:12], v[22:23], v[32:33], v[11:12]
	v_fma_f64 v[14:15], -v[22:23], v[34:35], v[14:15]
	v_fma_f64 v[11:12], v[20:21], v[34:35], v[11:12]
	;; [unrolled: 5-line block ×8, first 2 shown]
	s_andn2_b32 exec_lo, exec_lo, s10
	s_cbranch_execnz .LBB262_6
; %bb.7:
	s_or_b32 exec_lo, exec_lo, s10
.LBB262_8:
	s_or_b32 exec_lo, exec_lo, s9
	v_mbcnt_lo_u32_b32 v19, -1, 0
	v_or_b32_e32 v13, 32, v19
	v_cmp_gt_i32_e32 vcc_lo, 32, v13
	v_cndmask_b32_e32 v13, v19, v13, vcc_lo
	v_lshlrev_b32_e32 v18, 2, v13
	ds_bpermute_b32 v13, v18, v15
	ds_bpermute_b32 v14, v18, v16
	ds_bpermute_b32 v17, v18, v11
	ds_bpermute_b32 v18, v18, v12
	s_waitcnt lgkmcnt(2)
	v_add_f64 v[13:14], v[15:16], v[13:14]
	v_xor_b32_e32 v15, 16, v19
	s_waitcnt lgkmcnt(0)
	v_add_f64 v[11:12], v[11:12], v[17:18]
	v_cmp_gt_i32_e32 vcc_lo, 32, v15
	v_cndmask_b32_e32 v15, v19, v15, vcc_lo
	v_lshlrev_b32_e32 v18, 2, v15
	ds_bpermute_b32 v15, v18, v13
	ds_bpermute_b32 v16, v18, v14
	ds_bpermute_b32 v17, v18, v11
	ds_bpermute_b32 v18, v18, v12
	s_waitcnt lgkmcnt(2)
	v_add_f64 v[13:14], v[13:14], v[15:16]
	v_xor_b32_e32 v15, 8, v19
	s_waitcnt lgkmcnt(0)
	v_add_f64 v[11:12], v[11:12], v[17:18]
	;; [unrolled: 12-line block ×3, first 2 shown]
	v_cmp_gt_i32_e32 vcc_lo, 32, v15
	v_cndmask_b32_e32 v15, v19, v15, vcc_lo
	v_lshlrev_b32_e32 v18, 2, v15
	ds_bpermute_b32 v15, v18, v13
	ds_bpermute_b32 v16, v18, v14
	;; [unrolled: 1-line block ×4, first 2 shown]
	s_waitcnt lgkmcnt(2)
	v_add_f64 v[13:14], v[13:14], v[15:16]
	s_waitcnt lgkmcnt(0)
	v_add_f64 v[15:16], v[11:12], v[17:18]
	v_xor_b32_e32 v11, 2, v19
	v_cmp_gt_i32_e32 vcc_lo, 32, v11
	v_cndmask_b32_e32 v11, v19, v11, vcc_lo
	v_lshlrev_b32_e32 v18, 2, v11
	ds_bpermute_b32 v11, v18, v13
	ds_bpermute_b32 v12, v18, v14
	;; [unrolled: 1-line block ×4, first 2 shown]
	s_waitcnt lgkmcnt(2)
	v_add_f64 v[11:12], v[13:14], v[11:12]
	s_waitcnt lgkmcnt(0)
	v_add_f64 v[13:14], v[15:16], v[17:18]
	v_xor_b32_e32 v15, 1, v19
	v_cmp_gt_i32_e32 vcc_lo, 32, v15
	v_cndmask_b32_e32 v15, v19, v15, vcc_lo
	v_cmp_eq_u32_e32 vcc_lo, 63, v0
	v_lshlrev_b32_e32 v18, 2, v15
	ds_bpermute_b32 v15, v18, v11
	ds_bpermute_b32 v16, v18, v12
	;; [unrolled: 1-line block ×4, first 2 shown]
	s_and_b32 exec_lo, exec_lo, vcc_lo
	s_cbranch_execz .LBB262_13
; %bb.9:
	s_waitcnt lgkmcnt(0)
	v_add_f64 v[13:14], v[13:14], v[17:18]
	v_add_f64 v[11:12], v[11:12], v[15:16]
	v_cmp_eq_f64_e32 vcc_lo, 0, v[1:2]
	v_cmp_eq_f64_e64 s0, 0, v[3:4]
	v_lshlrev_b64 v[9:10], 4, v[9:10]
	v_mul_f64 v[15:16], v[13:14], -v[7:8]
	v_mul_f64 v[13:14], v[5:6], v[13:14]
	s_and_b32 s0, vcc_lo, s0
	v_fma_f64 v[5:6], v[5:6], v[11:12], v[15:16]
	v_fma_f64 v[7:8], v[7:8], v[11:12], v[13:14]
	s_and_saveexec_b32 s1, s0
	s_xor_b32 s0, exec_lo, s1
	s_cbranch_execz .LBB262_11
; %bb.10:
	v_add_co_u32 v0, vcc_lo, s6, v9
	v_add_co_ci_u32_e64 v1, null, s7, v10, vcc_lo
                                        ; implicit-def: $vgpr9_vgpr10
	global_store_dwordx4 v[0:1], v[5:8], off
                                        ; implicit-def: $vgpr1_vgpr2
                                        ; implicit-def: $vgpr5_vgpr6
.LBB262_11:
	s_andn2_saveexec_b32 s0, s0
	s_cbranch_execz .LBB262_13
; %bb.12:
	v_add_co_u32 v13, vcc_lo, s6, v9
	v_add_co_ci_u32_e64 v14, null, s7, v10, vcc_lo
	global_load_dwordx4 v[9:12], v[13:14], off
	s_waitcnt vmcnt(0)
	v_fma_f64 v[5:6], v[1:2], v[9:10], v[5:6]
	v_fma_f64 v[7:8], v[3:4], v[9:10], v[7:8]
	v_fma_f64 v[3:4], -v[3:4], v[11:12], v[5:6]
	v_fma_f64 v[5:6], v[1:2], v[11:12], v[7:8]
	global_store_dwordx4 v[13:14], v[3:6], off
.LBB262_13:
	s_endpgm
	.section	.rodata,"a",@progbits
	.p2align	6, 0x0
	.amdhsa_kernel _ZN9rocsparseL19gebsrmvn_1xn_kernelILj128ELj8ELj64E21rocsparse_complex_numIdEEEvi20rocsparse_direction_NS_24const_host_device_scalarIT2_EEPKiS8_PKS5_SA_S6_PS5_21rocsparse_index_base_b
		.amdhsa_group_segment_fixed_size 0
		.amdhsa_private_segment_fixed_size 0
		.amdhsa_kernarg_size 88
		.amdhsa_user_sgpr_count 6
		.amdhsa_user_sgpr_private_segment_buffer 1
		.amdhsa_user_sgpr_dispatch_ptr 0
		.amdhsa_user_sgpr_queue_ptr 0
		.amdhsa_user_sgpr_kernarg_segment_ptr 1
		.amdhsa_user_sgpr_dispatch_id 0
		.amdhsa_user_sgpr_flat_scratch_init 0
		.amdhsa_user_sgpr_private_segment_size 0
		.amdhsa_wavefront_size32 1
		.amdhsa_uses_dynamic_stack 0
		.amdhsa_system_sgpr_private_segment_wavefront_offset 0
		.amdhsa_system_sgpr_workgroup_id_x 1
		.amdhsa_system_sgpr_workgroup_id_y 0
		.amdhsa_system_sgpr_workgroup_id_z 0
		.amdhsa_system_sgpr_workgroup_info 0
		.amdhsa_system_vgpr_workitem_id 0
		.amdhsa_next_free_vgpr 84
		.amdhsa_next_free_sgpr 13
		.amdhsa_reserve_vcc 1
		.amdhsa_reserve_flat_scratch 0
		.amdhsa_float_round_mode_32 0
		.amdhsa_float_round_mode_16_64 0
		.amdhsa_float_denorm_mode_32 3
		.amdhsa_float_denorm_mode_16_64 3
		.amdhsa_dx10_clamp 1
		.amdhsa_ieee_mode 1
		.amdhsa_fp16_overflow 0
		.amdhsa_workgroup_processor_mode 1
		.amdhsa_memory_ordered 1
		.amdhsa_forward_progress 1
		.amdhsa_shared_vgpr_count 0
		.amdhsa_exception_fp_ieee_invalid_op 0
		.amdhsa_exception_fp_denorm_src 0
		.amdhsa_exception_fp_ieee_div_zero 0
		.amdhsa_exception_fp_ieee_overflow 0
		.amdhsa_exception_fp_ieee_underflow 0
		.amdhsa_exception_fp_ieee_inexact 0
		.amdhsa_exception_int_div_zero 0
	.end_amdhsa_kernel
	.section	.text._ZN9rocsparseL19gebsrmvn_1xn_kernelILj128ELj8ELj64E21rocsparse_complex_numIdEEEvi20rocsparse_direction_NS_24const_host_device_scalarIT2_EEPKiS8_PKS5_SA_S6_PS5_21rocsparse_index_base_b,"axG",@progbits,_ZN9rocsparseL19gebsrmvn_1xn_kernelILj128ELj8ELj64E21rocsparse_complex_numIdEEEvi20rocsparse_direction_NS_24const_host_device_scalarIT2_EEPKiS8_PKS5_SA_S6_PS5_21rocsparse_index_base_b,comdat
.Lfunc_end262:
	.size	_ZN9rocsparseL19gebsrmvn_1xn_kernelILj128ELj8ELj64E21rocsparse_complex_numIdEEEvi20rocsparse_direction_NS_24const_host_device_scalarIT2_EEPKiS8_PKS5_SA_S6_PS5_21rocsparse_index_base_b, .Lfunc_end262-_ZN9rocsparseL19gebsrmvn_1xn_kernelILj128ELj8ELj64E21rocsparse_complex_numIdEEEvi20rocsparse_direction_NS_24const_host_device_scalarIT2_EEPKiS8_PKS5_SA_S6_PS5_21rocsparse_index_base_b
                                        ; -- End function
	.set _ZN9rocsparseL19gebsrmvn_1xn_kernelILj128ELj8ELj64E21rocsparse_complex_numIdEEEvi20rocsparse_direction_NS_24const_host_device_scalarIT2_EEPKiS8_PKS5_SA_S6_PS5_21rocsparse_index_base_b.num_vgpr, 84
	.set _ZN9rocsparseL19gebsrmvn_1xn_kernelILj128ELj8ELj64E21rocsparse_complex_numIdEEEvi20rocsparse_direction_NS_24const_host_device_scalarIT2_EEPKiS8_PKS5_SA_S6_PS5_21rocsparse_index_base_b.num_agpr, 0
	.set _ZN9rocsparseL19gebsrmvn_1xn_kernelILj128ELj8ELj64E21rocsparse_complex_numIdEEEvi20rocsparse_direction_NS_24const_host_device_scalarIT2_EEPKiS8_PKS5_SA_S6_PS5_21rocsparse_index_base_b.numbered_sgpr, 13
	.set _ZN9rocsparseL19gebsrmvn_1xn_kernelILj128ELj8ELj64E21rocsparse_complex_numIdEEEvi20rocsparse_direction_NS_24const_host_device_scalarIT2_EEPKiS8_PKS5_SA_S6_PS5_21rocsparse_index_base_b.num_named_barrier, 0
	.set _ZN9rocsparseL19gebsrmvn_1xn_kernelILj128ELj8ELj64E21rocsparse_complex_numIdEEEvi20rocsparse_direction_NS_24const_host_device_scalarIT2_EEPKiS8_PKS5_SA_S6_PS5_21rocsparse_index_base_b.private_seg_size, 0
	.set _ZN9rocsparseL19gebsrmvn_1xn_kernelILj128ELj8ELj64E21rocsparse_complex_numIdEEEvi20rocsparse_direction_NS_24const_host_device_scalarIT2_EEPKiS8_PKS5_SA_S6_PS5_21rocsparse_index_base_b.uses_vcc, 1
	.set _ZN9rocsparseL19gebsrmvn_1xn_kernelILj128ELj8ELj64E21rocsparse_complex_numIdEEEvi20rocsparse_direction_NS_24const_host_device_scalarIT2_EEPKiS8_PKS5_SA_S6_PS5_21rocsparse_index_base_b.uses_flat_scratch, 0
	.set _ZN9rocsparseL19gebsrmvn_1xn_kernelILj128ELj8ELj64E21rocsparse_complex_numIdEEEvi20rocsparse_direction_NS_24const_host_device_scalarIT2_EEPKiS8_PKS5_SA_S6_PS5_21rocsparse_index_base_b.has_dyn_sized_stack, 0
	.set _ZN9rocsparseL19gebsrmvn_1xn_kernelILj128ELj8ELj64E21rocsparse_complex_numIdEEEvi20rocsparse_direction_NS_24const_host_device_scalarIT2_EEPKiS8_PKS5_SA_S6_PS5_21rocsparse_index_base_b.has_recursion, 0
	.set _ZN9rocsparseL19gebsrmvn_1xn_kernelILj128ELj8ELj64E21rocsparse_complex_numIdEEEvi20rocsparse_direction_NS_24const_host_device_scalarIT2_EEPKiS8_PKS5_SA_S6_PS5_21rocsparse_index_base_b.has_indirect_call, 0
	.section	.AMDGPU.csdata,"",@progbits
; Kernel info:
; codeLenInByte = 1548
; TotalNumSgprs: 15
; NumVgprs: 84
; ScratchSize: 0
; MemoryBound: 1
; FloatMode: 240
; IeeeMode: 1
; LDSByteSize: 0 bytes/workgroup (compile time only)
; SGPRBlocks: 0
; VGPRBlocks: 10
; NumSGPRsForWavesPerEU: 15
; NumVGPRsForWavesPerEU: 84
; Occupancy: 10
; WaveLimiterHint : 1
; COMPUTE_PGM_RSRC2:SCRATCH_EN: 0
; COMPUTE_PGM_RSRC2:USER_SGPR: 6
; COMPUTE_PGM_RSRC2:TRAP_HANDLER: 0
; COMPUTE_PGM_RSRC2:TGID_X_EN: 1
; COMPUTE_PGM_RSRC2:TGID_Y_EN: 0
; COMPUTE_PGM_RSRC2:TGID_Z_EN: 0
; COMPUTE_PGM_RSRC2:TIDIG_COMP_CNT: 0
	.section	.text._ZN9rocsparseL19gebsrmvn_1xn_kernelILj128ELj9ELj4E21rocsparse_complex_numIdEEEvi20rocsparse_direction_NS_24const_host_device_scalarIT2_EEPKiS8_PKS5_SA_S6_PS5_21rocsparse_index_base_b,"axG",@progbits,_ZN9rocsparseL19gebsrmvn_1xn_kernelILj128ELj9ELj4E21rocsparse_complex_numIdEEEvi20rocsparse_direction_NS_24const_host_device_scalarIT2_EEPKiS8_PKS5_SA_S6_PS5_21rocsparse_index_base_b,comdat
	.globl	_ZN9rocsparseL19gebsrmvn_1xn_kernelILj128ELj9ELj4E21rocsparse_complex_numIdEEEvi20rocsparse_direction_NS_24const_host_device_scalarIT2_EEPKiS8_PKS5_SA_S6_PS5_21rocsparse_index_base_b ; -- Begin function _ZN9rocsparseL19gebsrmvn_1xn_kernelILj128ELj9ELj4E21rocsparse_complex_numIdEEEvi20rocsparse_direction_NS_24const_host_device_scalarIT2_EEPKiS8_PKS5_SA_S6_PS5_21rocsparse_index_base_b
	.p2align	8
	.type	_ZN9rocsparseL19gebsrmvn_1xn_kernelILj128ELj9ELj4E21rocsparse_complex_numIdEEEvi20rocsparse_direction_NS_24const_host_device_scalarIT2_EEPKiS8_PKS5_SA_S6_PS5_21rocsparse_index_base_b,@function
_ZN9rocsparseL19gebsrmvn_1xn_kernelILj128ELj9ELj4E21rocsparse_complex_numIdEEEvi20rocsparse_direction_NS_24const_host_device_scalarIT2_EEPKiS8_PKS5_SA_S6_PS5_21rocsparse_index_base_b: ; @_ZN9rocsparseL19gebsrmvn_1xn_kernelILj128ELj9ELj4E21rocsparse_complex_numIdEEEvi20rocsparse_direction_NS_24const_host_device_scalarIT2_EEPKiS8_PKS5_SA_S6_PS5_21rocsparse_index_base_b
; %bb.0:
	s_clause 0x1
	s_load_dwordx2 s[8:9], s[4:5], 0x50
	s_load_dwordx2 s[0:1], s[4:5], 0x8
	s_add_u32 s7, s4, 8
	s_addc_u32 s10, s5, 0
	s_add_u32 s11, s4, 56
	s_addc_u32 s12, s5, 0
	s_load_dwordx2 s[2:3], s[4:5], 0x38
	s_waitcnt lgkmcnt(0)
	s_bitcmp1_b32 s9, 0
	s_cselect_b32 s0, s7, s0
	s_cselect_b32 s1, s10, s1
	v_mov_b32_e32 v1, s0
	v_mov_b32_e32 v2, s1
	s_cselect_b32 s0, s11, s2
	s_cselect_b32 s1, s12, s3
	flat_load_dwordx4 v[5:8], v[1:2]
	v_mov_b32_e32 v1, s0
	v_mov_b32_e32 v2, s1
	flat_load_dwordx4 v[1:4], v[1:2]
	s_waitcnt vmcnt(1) lgkmcnt(1)
	v_cmp_eq_f64_e32 vcc_lo, 0, v[5:6]
	v_cmp_eq_f64_e64 s0, 0, v[7:8]
	s_and_b32 s2, vcc_lo, s0
	s_mov_b32 s0, -1
	s_and_saveexec_b32 s1, s2
	s_cbranch_execz .LBB263_2
; %bb.1:
	s_waitcnt vmcnt(0) lgkmcnt(0)
	v_cmp_neq_f64_e32 vcc_lo, 1.0, v[1:2]
	v_cmp_neq_f64_e64 s0, 0, v[3:4]
	s_or_b32 s0, vcc_lo, s0
	s_orn2_b32 s0, s0, exec_lo
.LBB263_2:
	s_or_b32 exec_lo, exec_lo, s1
	s_and_saveexec_b32 s1, s0
	s_cbranch_execz .LBB263_13
; %bb.3:
	s_load_dword s0, s[4:5], 0x0
	v_lshrrev_b32_e32 v9, 2, v0
	v_lshl_or_b32 v9, s6, 5, v9
	s_waitcnt lgkmcnt(0)
	v_cmp_gt_i32_e32 vcc_lo, s0, v9
	s_and_b32 exec_lo, exec_lo, vcc_lo
	s_cbranch_execz .LBB263_13
; %bb.4:
	s_clause 0x1
	s_load_dwordx2 s[0:1], s[4:5], 0x18
	s_load_dwordx2 s[6:7], s[4:5], 0x48
	v_ashrrev_i32_e32 v10, 31, v9
	v_and_b32_e32 v0, 3, v0
	v_mov_b32_e32 v16, 0
	v_mov_b32_e32 v18, 0
	;; [unrolled: 1-line block ×3, first 2 shown]
	v_lshlrev_b64 v[11:12], 2, v[9:10]
	v_subrev_nc_u32_e32 v13, s8, v0
	v_mov_b32_e32 v19, 0
	s_mov_b32 s9, exec_lo
	s_waitcnt lgkmcnt(0)
	v_add_co_u32 v11, vcc_lo, s0, v11
	v_add_co_ci_u32_e64 v12, null, s1, v12, vcc_lo
	global_load_dwordx2 v[11:12], v[11:12], off
	s_waitcnt vmcnt(0)
	v_subrev_nc_u32_e32 v20, s8, v12
	v_add_nc_u32_e32 v11, v11, v13
	v_cmpx_lt_i32_e64 v11, v20
	s_cbranch_execz .LBB263_8
; %bb.5:
	s_clause 0x1
	s_load_dwordx4 s[0:3], s[4:5], 0x20
	s_load_dwordx2 s[4:5], s[4:5], 0x30
	v_mad_u64_u32 v[13:14], null, v11, 9, 8
	v_mov_b32_e32 v16, 0
	v_mov_b32_e32 v18, 0
	;; [unrolled: 1-line block ×5, first 2 shown]
	s_mov_b32 s10, 0
.LBB263_6:                              ; =>This Inner Loop Header: Depth=1
	v_ashrrev_i32_e32 v12, 31, v11
	v_add_nc_u32_e32 v14, -8, v13
	v_mov_b32_e32 v66, v15
	v_lshlrev_b64 v[21:22], 2, v[11:12]
	v_add_nc_u32_e32 v11, 4, v11
	s_waitcnt lgkmcnt(0)
	v_add_co_u32 v21, vcc_lo, s0, v21
	v_add_co_ci_u32_e64 v22, null, s1, v22, vcc_lo
	global_load_dword v12, v[21:22], off
	v_lshlrev_b64 v[21:22], 4, v[14:15]
	v_add_nc_u32_e32 v14, -7, v13
	v_lshlrev_b64 v[23:24], 4, v[14:15]
	v_add_co_u32 v21, vcc_lo, s2, v21
	v_add_co_ci_u32_e64 v22, null, s3, v22, vcc_lo
	v_add_co_u32 v25, vcc_lo, s2, v23
	v_add_co_ci_u32_e64 v26, null, s3, v24, vcc_lo
	s_clause 0x1
	global_load_dwordx4 v[21:24], v[21:22], off
	global_load_dwordx4 v[25:28], v[25:26], off
	s_waitcnt vmcnt(2)
	v_subrev_nc_u32_e32 v12, s8, v12
	v_lshl_add_u32 v65, v12, 3, v12
	v_lshlrev_b64 v[29:30], 4, v[65:66]
	v_add_nc_u32_e32 v14, 1, v65
	v_lshlrev_b64 v[33:34], 4, v[14:15]
	v_add_co_u32 v29, vcc_lo, s4, v29
	v_add_co_ci_u32_e64 v30, null, s5, v30, vcc_lo
	v_add_nc_u32_e32 v14, -6, v13
	v_add_co_u32 v33, vcc_lo, s4, v33
	global_load_dwordx4 v[29:32], v[29:30], off
	v_add_co_ci_u32_e64 v34, null, s5, v34, vcc_lo
	v_lshlrev_b64 v[37:38], 4, v[14:15]
	v_add_nc_u32_e32 v14, 2, v65
	global_load_dwordx4 v[33:36], v[33:34], off
	v_lshlrev_b64 v[39:40], 4, v[14:15]
	v_add_co_u32 v37, vcc_lo, s2, v37
	v_add_co_ci_u32_e64 v38, null, s3, v38, vcc_lo
	v_add_nc_u32_e32 v14, -5, v13
	v_add_co_u32 v41, vcc_lo, s4, v39
	v_add_co_ci_u32_e64 v42, null, s5, v40, vcc_lo
	global_load_dwordx4 v[37:40], v[37:38], off
	global_load_dwordx4 v[41:44], v[41:42], off
	v_lshlrev_b64 v[45:46], 4, v[14:15]
	v_add_nc_u32_e32 v14, 3, v65
	v_lshlrev_b64 v[47:48], 4, v[14:15]
	v_add_co_u32 v45, vcc_lo, s2, v45
	v_add_co_ci_u32_e64 v46, null, s3, v46, vcc_lo
	v_add_nc_u32_e32 v14, -4, v13
	v_add_co_u32 v49, vcc_lo, s4, v47
	v_add_co_ci_u32_e64 v50, null, s5, v48, vcc_lo
	global_load_dwordx4 v[45:48], v[45:46], off
	global_load_dwordx4 v[49:52], v[49:50], off
	v_lshlrev_b64 v[53:54], 4, v[14:15]
	v_add_nc_u32_e32 v14, 4, v65
	v_lshlrev_b64 v[55:56], 4, v[14:15]
	v_add_co_u32 v53, vcc_lo, s2, v53
	v_add_co_ci_u32_e64 v54, null, s3, v54, vcc_lo
	v_add_nc_u32_e32 v14, -3, v13
	v_add_co_u32 v57, vcc_lo, s4, v55
	v_add_co_ci_u32_e64 v58, null, s5, v56, vcc_lo
	global_load_dwordx4 v[53:56], v[53:54], off
	global_load_dwordx4 v[57:60], v[57:58], off
	v_lshlrev_b64 v[61:62], 4, v[14:15]
	v_add_nc_u32_e32 v14, 5, v65
	v_lshlrev_b64 v[63:64], 4, v[14:15]
	v_add_co_u32 v61, vcc_lo, s2, v61
	v_add_co_ci_u32_e64 v62, null, s3, v62, vcc_lo
	v_add_nc_u32_e32 v14, -2, v13
	v_add_co_u32 v66, vcc_lo, s4, v63
	v_add_co_ci_u32_e64 v67, null, s5, v64, vcc_lo
	global_load_dwordx4 v[61:64], v[61:62], off
	s_waitcnt vmcnt(8)
	v_fma_f64 v[18:19], v[21:22], v[29:30], v[18:19]
	v_fma_f64 v[16:17], v[23:24], v[29:30], v[16:17]
	v_fma_f64 v[29:30], -v[23:24], v[31:32], v[18:19]
	v_fma_f64 v[31:32], v[21:22], v[31:32], v[16:17]
	global_load_dwordx4 v[16:19], v[66:67], off
	v_lshlrev_b64 v[21:22], 4, v[14:15]
	v_add_nc_u32_e32 v14, 6, v65
	v_lshlrev_b64 v[23:24], 4, v[14:15]
	v_add_co_u32 v21, vcc_lo, s2, v21
	v_add_co_ci_u32_e64 v22, null, s3, v22, vcc_lo
	v_add_nc_u32_e32 v14, -1, v13
	v_add_co_u32 v66, vcc_lo, s4, v23
	v_add_co_ci_u32_e64 v67, null, s5, v24, vcc_lo
	global_load_dwordx4 v[21:24], v[21:22], off
	s_waitcnt vmcnt(9)
	v_fma_f64 v[29:30], v[25:26], v[33:34], v[29:30]
	v_fma_f64 v[31:32], v[27:28], v[33:34], v[31:32]
	v_fma_f64 v[33:34], -v[27:28], v[35:36], v[29:30]
	v_fma_f64 v[35:36], v[25:26], v[35:36], v[31:32]
	global_load_dwordx4 v[25:28], v[66:67], off
	v_lshlrev_b64 v[29:30], 4, v[14:15]
	v_add_nc_u32_e32 v14, 7, v65
	v_lshlrev_b64 v[31:32], 4, v[14:15]
	v_add_co_u32 v29, vcc_lo, s2, v29
	v_add_co_ci_u32_e64 v30, null, s3, v30, vcc_lo
	v_mov_b32_e32 v14, v15
	v_add_co_u32 v66, vcc_lo, s4, v31
	v_add_co_ci_u32_e64 v67, null, s5, v32, vcc_lo
	global_load_dwordx4 v[29:32], v[29:30], off
	s_waitcnt vmcnt(9)
	v_fma_f64 v[33:34], v[37:38], v[41:42], v[33:34]
	v_fma_f64 v[35:36], v[39:40], v[41:42], v[35:36]
	v_fma_f64 v[68:69], -v[39:40], v[43:44], v[33:34]
	v_fma_f64 v[70:71], v[37:38], v[43:44], v[35:36]
	global_load_dwordx4 v[33:36], v[66:67], off
	v_lshlrev_b64 v[37:38], 4, v[13:14]
	v_add_nc_u32_e32 v14, 8, v65
	v_add_nc_u32_e32 v13, 36, v13
	v_lshlrev_b64 v[39:40], 4, v[14:15]
	v_add_co_u32 v37, vcc_lo, s2, v37
	v_add_co_ci_u32_e64 v38, null, s3, v38, vcc_lo
	v_add_co_u32 v41, vcc_lo, s4, v39
	v_add_co_ci_u32_e64 v42, null, s5, v40, vcc_lo
	global_load_dwordx4 v[37:40], v[37:38], off
	global_load_dwordx4 v[41:44], v[41:42], off
	s_waitcnt vmcnt(10)
	v_fma_f64 v[65:66], v[45:46], v[49:50], v[68:69]
	v_fma_f64 v[49:50], v[47:48], v[49:50], v[70:71]
	v_cmp_ge_i32_e32 vcc_lo, v11, v20
	s_or_b32 s10, vcc_lo, s10
	v_fma_f64 v[47:48], -v[47:48], v[51:52], v[65:66]
	v_fma_f64 v[45:46], v[45:46], v[51:52], v[49:50]
	s_waitcnt vmcnt(8)
	v_fma_f64 v[47:48], v[53:54], v[57:58], v[47:48]
	v_fma_f64 v[45:46], v[55:56], v[57:58], v[45:46]
	v_fma_f64 v[47:48], -v[55:56], v[59:60], v[47:48]
	v_fma_f64 v[45:46], v[53:54], v[59:60], v[45:46]
	s_waitcnt vmcnt(6)
	v_fma_f64 v[47:48], v[61:62], v[16:17], v[47:48]
	v_fma_f64 v[16:17], v[63:64], v[16:17], v[45:46]
	;; [unrolled: 5-line block ×5, first 2 shown]
	v_fma_f64 v[18:19], -v[39:40], v[43:44], v[18:19]
	v_fma_f64 v[16:17], v[37:38], v[43:44], v[16:17]
	s_andn2_b32 exec_lo, exec_lo, s10
	s_cbranch_execnz .LBB263_6
; %bb.7:
	s_or_b32 exec_lo, exec_lo, s10
.LBB263_8:
	s_or_b32 exec_lo, exec_lo, s9
	v_mbcnt_lo_u32_b32 v15, -1, 0
	v_xor_b32_e32 v11, 2, v15
	v_cmp_gt_i32_e32 vcc_lo, 32, v11
	v_cndmask_b32_e32 v11, v15, v11, vcc_lo
	v_lshlrev_b32_e32 v14, 2, v11
	ds_bpermute_b32 v11, v14, v18
	ds_bpermute_b32 v12, v14, v19
	ds_bpermute_b32 v13, v14, v16
	ds_bpermute_b32 v14, v14, v17
	s_waitcnt lgkmcnt(2)
	v_add_f64 v[11:12], v[18:19], v[11:12]
	s_waitcnt lgkmcnt(0)
	v_add_f64 v[13:14], v[16:17], v[13:14]
	v_xor_b32_e32 v16, 1, v15
	v_cmp_gt_i32_e32 vcc_lo, 32, v16
	v_cndmask_b32_e32 v15, v15, v16, vcc_lo
	v_cmp_eq_u32_e32 vcc_lo, 3, v0
	v_lshlrev_b32_e32 v18, 2, v15
	ds_bpermute_b32 v15, v18, v11
	ds_bpermute_b32 v16, v18, v12
	;; [unrolled: 1-line block ×4, first 2 shown]
	s_and_b32 exec_lo, exec_lo, vcc_lo
	s_cbranch_execz .LBB263_13
; %bb.9:
	s_waitcnt lgkmcnt(0)
	v_add_f64 v[13:14], v[13:14], v[17:18]
	v_add_f64 v[11:12], v[11:12], v[15:16]
	v_cmp_eq_f64_e32 vcc_lo, 0, v[1:2]
	v_cmp_eq_f64_e64 s0, 0, v[3:4]
	v_lshlrev_b64 v[9:10], 4, v[9:10]
	v_mul_f64 v[15:16], v[13:14], -v[7:8]
	v_mul_f64 v[13:14], v[5:6], v[13:14]
	s_and_b32 s0, vcc_lo, s0
	v_fma_f64 v[5:6], v[5:6], v[11:12], v[15:16]
	v_fma_f64 v[7:8], v[7:8], v[11:12], v[13:14]
	s_and_saveexec_b32 s1, s0
	s_xor_b32 s0, exec_lo, s1
	s_cbranch_execz .LBB263_11
; %bb.10:
	v_add_co_u32 v0, vcc_lo, s6, v9
	v_add_co_ci_u32_e64 v1, null, s7, v10, vcc_lo
                                        ; implicit-def: $vgpr9_vgpr10
	global_store_dwordx4 v[0:1], v[5:8], off
                                        ; implicit-def: $vgpr1_vgpr2
                                        ; implicit-def: $vgpr5_vgpr6
.LBB263_11:
	s_andn2_saveexec_b32 s0, s0
	s_cbranch_execz .LBB263_13
; %bb.12:
	v_add_co_u32 v13, vcc_lo, s6, v9
	v_add_co_ci_u32_e64 v14, null, s7, v10, vcc_lo
	global_load_dwordx4 v[9:12], v[13:14], off
	s_waitcnt vmcnt(0)
	v_fma_f64 v[5:6], v[1:2], v[9:10], v[5:6]
	v_fma_f64 v[7:8], v[3:4], v[9:10], v[7:8]
	v_fma_f64 v[3:4], -v[3:4], v[11:12], v[5:6]
	v_fma_f64 v[5:6], v[1:2], v[11:12], v[7:8]
	global_store_dwordx4 v[13:14], v[3:6], off
.LBB263_13:
	s_endpgm
	.section	.rodata,"a",@progbits
	.p2align	6, 0x0
	.amdhsa_kernel _ZN9rocsparseL19gebsrmvn_1xn_kernelILj128ELj9ELj4E21rocsparse_complex_numIdEEEvi20rocsparse_direction_NS_24const_host_device_scalarIT2_EEPKiS8_PKS5_SA_S6_PS5_21rocsparse_index_base_b
		.amdhsa_group_segment_fixed_size 0
		.amdhsa_private_segment_fixed_size 0
		.amdhsa_kernarg_size 88
		.amdhsa_user_sgpr_count 6
		.amdhsa_user_sgpr_private_segment_buffer 1
		.amdhsa_user_sgpr_dispatch_ptr 0
		.amdhsa_user_sgpr_queue_ptr 0
		.amdhsa_user_sgpr_kernarg_segment_ptr 1
		.amdhsa_user_sgpr_dispatch_id 0
		.amdhsa_user_sgpr_flat_scratch_init 0
		.amdhsa_user_sgpr_private_segment_size 0
		.amdhsa_wavefront_size32 1
		.amdhsa_uses_dynamic_stack 0
		.amdhsa_system_sgpr_private_segment_wavefront_offset 0
		.amdhsa_system_sgpr_workgroup_id_x 1
		.amdhsa_system_sgpr_workgroup_id_y 0
		.amdhsa_system_sgpr_workgroup_id_z 0
		.amdhsa_system_sgpr_workgroup_info 0
		.amdhsa_system_vgpr_workitem_id 0
		.amdhsa_next_free_vgpr 72
		.amdhsa_next_free_sgpr 13
		.amdhsa_reserve_vcc 1
		.amdhsa_reserve_flat_scratch 0
		.amdhsa_float_round_mode_32 0
		.amdhsa_float_round_mode_16_64 0
		.amdhsa_float_denorm_mode_32 3
		.amdhsa_float_denorm_mode_16_64 3
		.amdhsa_dx10_clamp 1
		.amdhsa_ieee_mode 1
		.amdhsa_fp16_overflow 0
		.amdhsa_workgroup_processor_mode 1
		.amdhsa_memory_ordered 1
		.amdhsa_forward_progress 1
		.amdhsa_shared_vgpr_count 0
		.amdhsa_exception_fp_ieee_invalid_op 0
		.amdhsa_exception_fp_denorm_src 0
		.amdhsa_exception_fp_ieee_div_zero 0
		.amdhsa_exception_fp_ieee_overflow 0
		.amdhsa_exception_fp_ieee_underflow 0
		.amdhsa_exception_fp_ieee_inexact 0
		.amdhsa_exception_int_div_zero 0
	.end_amdhsa_kernel
	.section	.text._ZN9rocsparseL19gebsrmvn_1xn_kernelILj128ELj9ELj4E21rocsparse_complex_numIdEEEvi20rocsparse_direction_NS_24const_host_device_scalarIT2_EEPKiS8_PKS5_SA_S6_PS5_21rocsparse_index_base_b,"axG",@progbits,_ZN9rocsparseL19gebsrmvn_1xn_kernelILj128ELj9ELj4E21rocsparse_complex_numIdEEEvi20rocsparse_direction_NS_24const_host_device_scalarIT2_EEPKiS8_PKS5_SA_S6_PS5_21rocsparse_index_base_b,comdat
.Lfunc_end263:
	.size	_ZN9rocsparseL19gebsrmvn_1xn_kernelILj128ELj9ELj4E21rocsparse_complex_numIdEEEvi20rocsparse_direction_NS_24const_host_device_scalarIT2_EEPKiS8_PKS5_SA_S6_PS5_21rocsparse_index_base_b, .Lfunc_end263-_ZN9rocsparseL19gebsrmvn_1xn_kernelILj128ELj9ELj4E21rocsparse_complex_numIdEEEvi20rocsparse_direction_NS_24const_host_device_scalarIT2_EEPKiS8_PKS5_SA_S6_PS5_21rocsparse_index_base_b
                                        ; -- End function
	.set _ZN9rocsparseL19gebsrmvn_1xn_kernelILj128ELj9ELj4E21rocsparse_complex_numIdEEEvi20rocsparse_direction_NS_24const_host_device_scalarIT2_EEPKiS8_PKS5_SA_S6_PS5_21rocsparse_index_base_b.num_vgpr, 72
	.set _ZN9rocsparseL19gebsrmvn_1xn_kernelILj128ELj9ELj4E21rocsparse_complex_numIdEEEvi20rocsparse_direction_NS_24const_host_device_scalarIT2_EEPKiS8_PKS5_SA_S6_PS5_21rocsparse_index_base_b.num_agpr, 0
	.set _ZN9rocsparseL19gebsrmvn_1xn_kernelILj128ELj9ELj4E21rocsparse_complex_numIdEEEvi20rocsparse_direction_NS_24const_host_device_scalarIT2_EEPKiS8_PKS5_SA_S6_PS5_21rocsparse_index_base_b.numbered_sgpr, 13
	.set _ZN9rocsparseL19gebsrmvn_1xn_kernelILj128ELj9ELj4E21rocsparse_complex_numIdEEEvi20rocsparse_direction_NS_24const_host_device_scalarIT2_EEPKiS8_PKS5_SA_S6_PS5_21rocsparse_index_base_b.num_named_barrier, 0
	.set _ZN9rocsparseL19gebsrmvn_1xn_kernelILj128ELj9ELj4E21rocsparse_complex_numIdEEEvi20rocsparse_direction_NS_24const_host_device_scalarIT2_EEPKiS8_PKS5_SA_S6_PS5_21rocsparse_index_base_b.private_seg_size, 0
	.set _ZN9rocsparseL19gebsrmvn_1xn_kernelILj128ELj9ELj4E21rocsparse_complex_numIdEEEvi20rocsparse_direction_NS_24const_host_device_scalarIT2_EEPKiS8_PKS5_SA_S6_PS5_21rocsparse_index_base_b.uses_vcc, 1
	.set _ZN9rocsparseL19gebsrmvn_1xn_kernelILj128ELj9ELj4E21rocsparse_complex_numIdEEEvi20rocsparse_direction_NS_24const_host_device_scalarIT2_EEPKiS8_PKS5_SA_S6_PS5_21rocsparse_index_base_b.uses_flat_scratch, 0
	.set _ZN9rocsparseL19gebsrmvn_1xn_kernelILj128ELj9ELj4E21rocsparse_complex_numIdEEEvi20rocsparse_direction_NS_24const_host_device_scalarIT2_EEPKiS8_PKS5_SA_S6_PS5_21rocsparse_index_base_b.has_dyn_sized_stack, 0
	.set _ZN9rocsparseL19gebsrmvn_1xn_kernelILj128ELj9ELj4E21rocsparse_complex_numIdEEEvi20rocsparse_direction_NS_24const_host_device_scalarIT2_EEPKiS8_PKS5_SA_S6_PS5_21rocsparse_index_base_b.has_recursion, 0
	.set _ZN9rocsparseL19gebsrmvn_1xn_kernelILj128ELj9ELj4E21rocsparse_complex_numIdEEEvi20rocsparse_direction_NS_24const_host_device_scalarIT2_EEPKiS8_PKS5_SA_S6_PS5_21rocsparse_index_base_b.has_indirect_call, 0
	.section	.AMDGPU.csdata,"",@progbits
; Kernel info:
; codeLenInByte = 1764
; TotalNumSgprs: 15
; NumVgprs: 72
; ScratchSize: 0
; MemoryBound: 0
; FloatMode: 240
; IeeeMode: 1
; LDSByteSize: 0 bytes/workgroup (compile time only)
; SGPRBlocks: 0
; VGPRBlocks: 8
; NumSGPRsForWavesPerEU: 15
; NumVGPRsForWavesPerEU: 72
; Occupancy: 12
; WaveLimiterHint : 1
; COMPUTE_PGM_RSRC2:SCRATCH_EN: 0
; COMPUTE_PGM_RSRC2:USER_SGPR: 6
; COMPUTE_PGM_RSRC2:TRAP_HANDLER: 0
; COMPUTE_PGM_RSRC2:TGID_X_EN: 1
; COMPUTE_PGM_RSRC2:TGID_Y_EN: 0
; COMPUTE_PGM_RSRC2:TGID_Z_EN: 0
; COMPUTE_PGM_RSRC2:TIDIG_COMP_CNT: 0
	.section	.text._ZN9rocsparseL19gebsrmvn_1xn_kernelILj128ELj9ELj8E21rocsparse_complex_numIdEEEvi20rocsparse_direction_NS_24const_host_device_scalarIT2_EEPKiS8_PKS5_SA_S6_PS5_21rocsparse_index_base_b,"axG",@progbits,_ZN9rocsparseL19gebsrmvn_1xn_kernelILj128ELj9ELj8E21rocsparse_complex_numIdEEEvi20rocsparse_direction_NS_24const_host_device_scalarIT2_EEPKiS8_PKS5_SA_S6_PS5_21rocsparse_index_base_b,comdat
	.globl	_ZN9rocsparseL19gebsrmvn_1xn_kernelILj128ELj9ELj8E21rocsparse_complex_numIdEEEvi20rocsparse_direction_NS_24const_host_device_scalarIT2_EEPKiS8_PKS5_SA_S6_PS5_21rocsparse_index_base_b ; -- Begin function _ZN9rocsparseL19gebsrmvn_1xn_kernelILj128ELj9ELj8E21rocsparse_complex_numIdEEEvi20rocsparse_direction_NS_24const_host_device_scalarIT2_EEPKiS8_PKS5_SA_S6_PS5_21rocsparse_index_base_b
	.p2align	8
	.type	_ZN9rocsparseL19gebsrmvn_1xn_kernelILj128ELj9ELj8E21rocsparse_complex_numIdEEEvi20rocsparse_direction_NS_24const_host_device_scalarIT2_EEPKiS8_PKS5_SA_S6_PS5_21rocsparse_index_base_b,@function
_ZN9rocsparseL19gebsrmvn_1xn_kernelILj128ELj9ELj8E21rocsparse_complex_numIdEEEvi20rocsparse_direction_NS_24const_host_device_scalarIT2_EEPKiS8_PKS5_SA_S6_PS5_21rocsparse_index_base_b: ; @_ZN9rocsparseL19gebsrmvn_1xn_kernelILj128ELj9ELj8E21rocsparse_complex_numIdEEEvi20rocsparse_direction_NS_24const_host_device_scalarIT2_EEPKiS8_PKS5_SA_S6_PS5_21rocsparse_index_base_b
; %bb.0:
	s_clause 0x1
	s_load_dwordx2 s[8:9], s[4:5], 0x50
	s_load_dwordx2 s[0:1], s[4:5], 0x8
	s_add_u32 s7, s4, 8
	s_addc_u32 s10, s5, 0
	s_add_u32 s11, s4, 56
	s_addc_u32 s12, s5, 0
	s_load_dwordx2 s[2:3], s[4:5], 0x38
	s_waitcnt lgkmcnt(0)
	s_bitcmp1_b32 s9, 0
	s_cselect_b32 s0, s7, s0
	s_cselect_b32 s1, s10, s1
	v_mov_b32_e32 v1, s0
	v_mov_b32_e32 v2, s1
	s_cselect_b32 s0, s11, s2
	s_cselect_b32 s1, s12, s3
	flat_load_dwordx4 v[5:8], v[1:2]
	v_mov_b32_e32 v1, s0
	v_mov_b32_e32 v2, s1
	flat_load_dwordx4 v[1:4], v[1:2]
	s_waitcnt vmcnt(1) lgkmcnt(1)
	v_cmp_eq_f64_e32 vcc_lo, 0, v[5:6]
	v_cmp_eq_f64_e64 s0, 0, v[7:8]
	s_and_b32 s2, vcc_lo, s0
	s_mov_b32 s0, -1
	s_and_saveexec_b32 s1, s2
	s_cbranch_execz .LBB264_2
; %bb.1:
	s_waitcnt vmcnt(0) lgkmcnt(0)
	v_cmp_neq_f64_e32 vcc_lo, 1.0, v[1:2]
	v_cmp_neq_f64_e64 s0, 0, v[3:4]
	s_or_b32 s0, vcc_lo, s0
	s_orn2_b32 s0, s0, exec_lo
.LBB264_2:
	s_or_b32 exec_lo, exec_lo, s1
	s_and_saveexec_b32 s1, s0
	s_cbranch_execz .LBB264_13
; %bb.3:
	s_load_dword s0, s[4:5], 0x0
	v_lshrrev_b32_e32 v9, 3, v0
	v_lshl_or_b32 v9, s6, 4, v9
	s_waitcnt lgkmcnt(0)
	v_cmp_gt_i32_e32 vcc_lo, s0, v9
	s_and_b32 exec_lo, exec_lo, vcc_lo
	s_cbranch_execz .LBB264_13
; %bb.4:
	s_clause 0x1
	s_load_dwordx2 s[0:1], s[4:5], 0x18
	s_load_dwordx2 s[6:7], s[4:5], 0x48
	v_ashrrev_i32_e32 v10, 31, v9
	v_and_b32_e32 v0, 7, v0
	v_mov_b32_e32 v16, 0
	v_mov_b32_e32 v18, 0
	;; [unrolled: 1-line block ×3, first 2 shown]
	v_lshlrev_b64 v[11:12], 2, v[9:10]
	v_subrev_nc_u32_e32 v13, s8, v0
	v_mov_b32_e32 v19, 0
	s_mov_b32 s9, exec_lo
	s_waitcnt lgkmcnt(0)
	v_add_co_u32 v11, vcc_lo, s0, v11
	v_add_co_ci_u32_e64 v12, null, s1, v12, vcc_lo
	global_load_dwordx2 v[11:12], v[11:12], off
	s_waitcnt vmcnt(0)
	v_subrev_nc_u32_e32 v20, s8, v12
	v_add_nc_u32_e32 v11, v11, v13
	v_cmpx_lt_i32_e64 v11, v20
	s_cbranch_execz .LBB264_8
; %bb.5:
	s_clause 0x1
	s_load_dwordx4 s[0:3], s[4:5], 0x20
	s_load_dwordx2 s[4:5], s[4:5], 0x30
	v_mad_u64_u32 v[13:14], null, v11, 9, 8
	v_mov_b32_e32 v16, 0
	v_mov_b32_e32 v18, 0
	;; [unrolled: 1-line block ×5, first 2 shown]
	s_mov_b32 s10, 0
.LBB264_6:                              ; =>This Inner Loop Header: Depth=1
	v_ashrrev_i32_e32 v12, 31, v11
	v_add_nc_u32_e32 v14, -8, v13
	v_mov_b32_e32 v66, v15
	v_lshlrev_b64 v[21:22], 2, v[11:12]
	v_add_nc_u32_e32 v11, 8, v11
	s_waitcnt lgkmcnt(0)
	v_add_co_u32 v21, vcc_lo, s0, v21
	v_add_co_ci_u32_e64 v22, null, s1, v22, vcc_lo
	global_load_dword v12, v[21:22], off
	v_lshlrev_b64 v[21:22], 4, v[14:15]
	v_add_nc_u32_e32 v14, -7, v13
	v_lshlrev_b64 v[23:24], 4, v[14:15]
	v_add_co_u32 v21, vcc_lo, s2, v21
	v_add_co_ci_u32_e64 v22, null, s3, v22, vcc_lo
	v_add_co_u32 v25, vcc_lo, s2, v23
	v_add_co_ci_u32_e64 v26, null, s3, v24, vcc_lo
	s_clause 0x1
	global_load_dwordx4 v[21:24], v[21:22], off
	global_load_dwordx4 v[25:28], v[25:26], off
	s_waitcnt vmcnt(2)
	v_subrev_nc_u32_e32 v12, s8, v12
	v_lshl_add_u32 v65, v12, 3, v12
	v_lshlrev_b64 v[29:30], 4, v[65:66]
	v_add_nc_u32_e32 v14, 1, v65
	v_lshlrev_b64 v[33:34], 4, v[14:15]
	v_add_co_u32 v29, vcc_lo, s4, v29
	v_add_co_ci_u32_e64 v30, null, s5, v30, vcc_lo
	v_add_nc_u32_e32 v14, -6, v13
	v_add_co_u32 v33, vcc_lo, s4, v33
	global_load_dwordx4 v[29:32], v[29:30], off
	v_add_co_ci_u32_e64 v34, null, s5, v34, vcc_lo
	v_lshlrev_b64 v[37:38], 4, v[14:15]
	v_add_nc_u32_e32 v14, 2, v65
	global_load_dwordx4 v[33:36], v[33:34], off
	v_lshlrev_b64 v[39:40], 4, v[14:15]
	v_add_co_u32 v37, vcc_lo, s2, v37
	v_add_co_ci_u32_e64 v38, null, s3, v38, vcc_lo
	v_add_nc_u32_e32 v14, -5, v13
	v_add_co_u32 v41, vcc_lo, s4, v39
	v_add_co_ci_u32_e64 v42, null, s5, v40, vcc_lo
	global_load_dwordx4 v[37:40], v[37:38], off
	global_load_dwordx4 v[41:44], v[41:42], off
	v_lshlrev_b64 v[45:46], 4, v[14:15]
	v_add_nc_u32_e32 v14, 3, v65
	v_lshlrev_b64 v[47:48], 4, v[14:15]
	v_add_co_u32 v45, vcc_lo, s2, v45
	v_add_co_ci_u32_e64 v46, null, s3, v46, vcc_lo
	v_add_nc_u32_e32 v14, -4, v13
	v_add_co_u32 v49, vcc_lo, s4, v47
	v_add_co_ci_u32_e64 v50, null, s5, v48, vcc_lo
	global_load_dwordx4 v[45:48], v[45:46], off
	global_load_dwordx4 v[49:52], v[49:50], off
	v_lshlrev_b64 v[53:54], 4, v[14:15]
	v_add_nc_u32_e32 v14, 4, v65
	;; [unrolled: 10-line block ×3, first 2 shown]
	v_lshlrev_b64 v[63:64], 4, v[14:15]
	v_add_co_u32 v61, vcc_lo, s2, v61
	v_add_co_ci_u32_e64 v62, null, s3, v62, vcc_lo
	v_add_nc_u32_e32 v14, -2, v13
	v_add_co_u32 v66, vcc_lo, s4, v63
	v_add_co_ci_u32_e64 v67, null, s5, v64, vcc_lo
	global_load_dwordx4 v[61:64], v[61:62], off
	s_waitcnt vmcnt(8)
	v_fma_f64 v[18:19], v[21:22], v[29:30], v[18:19]
	v_fma_f64 v[16:17], v[23:24], v[29:30], v[16:17]
	v_fma_f64 v[29:30], -v[23:24], v[31:32], v[18:19]
	v_fma_f64 v[31:32], v[21:22], v[31:32], v[16:17]
	global_load_dwordx4 v[16:19], v[66:67], off
	v_lshlrev_b64 v[21:22], 4, v[14:15]
	v_add_nc_u32_e32 v14, 6, v65
	v_lshlrev_b64 v[23:24], 4, v[14:15]
	v_add_co_u32 v21, vcc_lo, s2, v21
	v_add_co_ci_u32_e64 v22, null, s3, v22, vcc_lo
	v_add_nc_u32_e32 v14, -1, v13
	v_add_co_u32 v66, vcc_lo, s4, v23
	v_add_co_ci_u32_e64 v67, null, s5, v24, vcc_lo
	global_load_dwordx4 v[21:24], v[21:22], off
	s_waitcnt vmcnt(9)
	v_fma_f64 v[29:30], v[25:26], v[33:34], v[29:30]
	v_fma_f64 v[31:32], v[27:28], v[33:34], v[31:32]
	v_fma_f64 v[33:34], -v[27:28], v[35:36], v[29:30]
	v_fma_f64 v[35:36], v[25:26], v[35:36], v[31:32]
	global_load_dwordx4 v[25:28], v[66:67], off
	v_lshlrev_b64 v[29:30], 4, v[14:15]
	v_add_nc_u32_e32 v14, 7, v65
	v_lshlrev_b64 v[31:32], 4, v[14:15]
	v_add_co_u32 v29, vcc_lo, s2, v29
	v_add_co_ci_u32_e64 v30, null, s3, v30, vcc_lo
	v_mov_b32_e32 v14, v15
	v_add_co_u32 v66, vcc_lo, s4, v31
	v_add_co_ci_u32_e64 v67, null, s5, v32, vcc_lo
	global_load_dwordx4 v[29:32], v[29:30], off
	s_waitcnt vmcnt(9)
	v_fma_f64 v[33:34], v[37:38], v[41:42], v[33:34]
	v_fma_f64 v[35:36], v[39:40], v[41:42], v[35:36]
	v_fma_f64 v[68:69], -v[39:40], v[43:44], v[33:34]
	v_fma_f64 v[70:71], v[37:38], v[43:44], v[35:36]
	global_load_dwordx4 v[33:36], v[66:67], off
	v_lshlrev_b64 v[37:38], 4, v[13:14]
	v_add_nc_u32_e32 v14, 8, v65
	v_add_nc_u32_e32 v13, 0x48, v13
	v_lshlrev_b64 v[39:40], 4, v[14:15]
	v_add_co_u32 v37, vcc_lo, s2, v37
	v_add_co_ci_u32_e64 v38, null, s3, v38, vcc_lo
	v_add_co_u32 v41, vcc_lo, s4, v39
	v_add_co_ci_u32_e64 v42, null, s5, v40, vcc_lo
	global_load_dwordx4 v[37:40], v[37:38], off
	global_load_dwordx4 v[41:44], v[41:42], off
	s_waitcnt vmcnt(10)
	v_fma_f64 v[65:66], v[45:46], v[49:50], v[68:69]
	v_fma_f64 v[49:50], v[47:48], v[49:50], v[70:71]
	v_cmp_ge_i32_e32 vcc_lo, v11, v20
	s_or_b32 s10, vcc_lo, s10
	v_fma_f64 v[47:48], -v[47:48], v[51:52], v[65:66]
	v_fma_f64 v[45:46], v[45:46], v[51:52], v[49:50]
	s_waitcnt vmcnt(8)
	v_fma_f64 v[47:48], v[53:54], v[57:58], v[47:48]
	v_fma_f64 v[45:46], v[55:56], v[57:58], v[45:46]
	v_fma_f64 v[47:48], -v[55:56], v[59:60], v[47:48]
	v_fma_f64 v[45:46], v[53:54], v[59:60], v[45:46]
	s_waitcnt vmcnt(6)
	v_fma_f64 v[47:48], v[61:62], v[16:17], v[47:48]
	v_fma_f64 v[16:17], v[63:64], v[16:17], v[45:46]
	;; [unrolled: 5-line block ×5, first 2 shown]
	v_fma_f64 v[18:19], -v[39:40], v[43:44], v[18:19]
	v_fma_f64 v[16:17], v[37:38], v[43:44], v[16:17]
	s_andn2_b32 exec_lo, exec_lo, s10
	s_cbranch_execnz .LBB264_6
; %bb.7:
	s_or_b32 exec_lo, exec_lo, s10
.LBB264_8:
	s_or_b32 exec_lo, exec_lo, s9
	v_mbcnt_lo_u32_b32 v20, -1, 0
	v_xor_b32_e32 v11, 4, v20
	v_xor_b32_e32 v15, 2, v20
	v_cmp_gt_i32_e32 vcc_lo, 32, v11
	v_cndmask_b32_e32 v11, v20, v11, vcc_lo
	v_cmp_gt_i32_e32 vcc_lo, 32, v15
	v_lshlrev_b32_e32 v14, 2, v11
	v_cndmask_b32_e32 v15, v20, v15, vcc_lo
	ds_bpermute_b32 v11, v14, v18
	ds_bpermute_b32 v12, v14, v19
	;; [unrolled: 1-line block ×4, first 2 shown]
	s_waitcnt lgkmcnt(2)
	v_add_f64 v[11:12], v[18:19], v[11:12]
	v_lshlrev_b32_e32 v18, 2, v15
	s_waitcnt lgkmcnt(0)
	v_add_f64 v[13:14], v[16:17], v[13:14]
	ds_bpermute_b32 v15, v18, v11
	ds_bpermute_b32 v16, v18, v12
	;; [unrolled: 1-line block ×4, first 2 shown]
	s_waitcnt lgkmcnt(2)
	v_add_f64 v[11:12], v[11:12], v[15:16]
	v_xor_b32_e32 v15, 1, v20
	s_waitcnt lgkmcnt(0)
	v_add_f64 v[13:14], v[13:14], v[17:18]
	v_cmp_gt_i32_e32 vcc_lo, 32, v15
	v_cndmask_b32_e32 v15, v20, v15, vcc_lo
	v_cmp_eq_u32_e32 vcc_lo, 7, v0
	v_lshlrev_b32_e32 v18, 2, v15
	ds_bpermute_b32 v15, v18, v11
	ds_bpermute_b32 v16, v18, v12
	ds_bpermute_b32 v17, v18, v13
	ds_bpermute_b32 v18, v18, v14
	s_and_b32 exec_lo, exec_lo, vcc_lo
	s_cbranch_execz .LBB264_13
; %bb.9:
	s_waitcnt lgkmcnt(0)
	v_add_f64 v[13:14], v[13:14], v[17:18]
	v_add_f64 v[11:12], v[11:12], v[15:16]
	v_cmp_eq_f64_e32 vcc_lo, 0, v[1:2]
	v_cmp_eq_f64_e64 s0, 0, v[3:4]
	v_lshlrev_b64 v[9:10], 4, v[9:10]
	v_mul_f64 v[15:16], v[13:14], -v[7:8]
	v_mul_f64 v[13:14], v[5:6], v[13:14]
	s_and_b32 s0, vcc_lo, s0
	v_fma_f64 v[5:6], v[5:6], v[11:12], v[15:16]
	v_fma_f64 v[7:8], v[7:8], v[11:12], v[13:14]
	s_and_saveexec_b32 s1, s0
	s_xor_b32 s0, exec_lo, s1
	s_cbranch_execz .LBB264_11
; %bb.10:
	v_add_co_u32 v0, vcc_lo, s6, v9
	v_add_co_ci_u32_e64 v1, null, s7, v10, vcc_lo
                                        ; implicit-def: $vgpr9_vgpr10
	global_store_dwordx4 v[0:1], v[5:8], off
                                        ; implicit-def: $vgpr1_vgpr2
                                        ; implicit-def: $vgpr5_vgpr6
.LBB264_11:
	s_andn2_saveexec_b32 s0, s0
	s_cbranch_execz .LBB264_13
; %bb.12:
	v_add_co_u32 v13, vcc_lo, s6, v9
	v_add_co_ci_u32_e64 v14, null, s7, v10, vcc_lo
	global_load_dwordx4 v[9:12], v[13:14], off
	s_waitcnt vmcnt(0)
	v_fma_f64 v[5:6], v[1:2], v[9:10], v[5:6]
	v_fma_f64 v[7:8], v[3:4], v[9:10], v[7:8]
	v_fma_f64 v[3:4], -v[3:4], v[11:12], v[5:6]
	v_fma_f64 v[5:6], v[1:2], v[11:12], v[7:8]
	global_store_dwordx4 v[13:14], v[3:6], off
.LBB264_13:
	s_endpgm
	.section	.rodata,"a",@progbits
	.p2align	6, 0x0
	.amdhsa_kernel _ZN9rocsparseL19gebsrmvn_1xn_kernelILj128ELj9ELj8E21rocsparse_complex_numIdEEEvi20rocsparse_direction_NS_24const_host_device_scalarIT2_EEPKiS8_PKS5_SA_S6_PS5_21rocsparse_index_base_b
		.amdhsa_group_segment_fixed_size 0
		.amdhsa_private_segment_fixed_size 0
		.amdhsa_kernarg_size 88
		.amdhsa_user_sgpr_count 6
		.amdhsa_user_sgpr_private_segment_buffer 1
		.amdhsa_user_sgpr_dispatch_ptr 0
		.amdhsa_user_sgpr_queue_ptr 0
		.amdhsa_user_sgpr_kernarg_segment_ptr 1
		.amdhsa_user_sgpr_dispatch_id 0
		.amdhsa_user_sgpr_flat_scratch_init 0
		.amdhsa_user_sgpr_private_segment_size 0
		.amdhsa_wavefront_size32 1
		.amdhsa_uses_dynamic_stack 0
		.amdhsa_system_sgpr_private_segment_wavefront_offset 0
		.amdhsa_system_sgpr_workgroup_id_x 1
		.amdhsa_system_sgpr_workgroup_id_y 0
		.amdhsa_system_sgpr_workgroup_id_z 0
		.amdhsa_system_sgpr_workgroup_info 0
		.amdhsa_system_vgpr_workitem_id 0
		.amdhsa_next_free_vgpr 72
		.amdhsa_next_free_sgpr 13
		.amdhsa_reserve_vcc 1
		.amdhsa_reserve_flat_scratch 0
		.amdhsa_float_round_mode_32 0
		.amdhsa_float_round_mode_16_64 0
		.amdhsa_float_denorm_mode_32 3
		.amdhsa_float_denorm_mode_16_64 3
		.amdhsa_dx10_clamp 1
		.amdhsa_ieee_mode 1
		.amdhsa_fp16_overflow 0
		.amdhsa_workgroup_processor_mode 1
		.amdhsa_memory_ordered 1
		.amdhsa_forward_progress 1
		.amdhsa_shared_vgpr_count 0
		.amdhsa_exception_fp_ieee_invalid_op 0
		.amdhsa_exception_fp_denorm_src 0
		.amdhsa_exception_fp_ieee_div_zero 0
		.amdhsa_exception_fp_ieee_overflow 0
		.amdhsa_exception_fp_ieee_underflow 0
		.amdhsa_exception_fp_ieee_inexact 0
		.amdhsa_exception_int_div_zero 0
	.end_amdhsa_kernel
	.section	.text._ZN9rocsparseL19gebsrmvn_1xn_kernelILj128ELj9ELj8E21rocsparse_complex_numIdEEEvi20rocsparse_direction_NS_24const_host_device_scalarIT2_EEPKiS8_PKS5_SA_S6_PS5_21rocsparse_index_base_b,"axG",@progbits,_ZN9rocsparseL19gebsrmvn_1xn_kernelILj128ELj9ELj8E21rocsparse_complex_numIdEEEvi20rocsparse_direction_NS_24const_host_device_scalarIT2_EEPKiS8_PKS5_SA_S6_PS5_21rocsparse_index_base_b,comdat
.Lfunc_end264:
	.size	_ZN9rocsparseL19gebsrmvn_1xn_kernelILj128ELj9ELj8E21rocsparse_complex_numIdEEEvi20rocsparse_direction_NS_24const_host_device_scalarIT2_EEPKiS8_PKS5_SA_S6_PS5_21rocsparse_index_base_b, .Lfunc_end264-_ZN9rocsparseL19gebsrmvn_1xn_kernelILj128ELj9ELj8E21rocsparse_complex_numIdEEEvi20rocsparse_direction_NS_24const_host_device_scalarIT2_EEPKiS8_PKS5_SA_S6_PS5_21rocsparse_index_base_b
                                        ; -- End function
	.set _ZN9rocsparseL19gebsrmvn_1xn_kernelILj128ELj9ELj8E21rocsparse_complex_numIdEEEvi20rocsparse_direction_NS_24const_host_device_scalarIT2_EEPKiS8_PKS5_SA_S6_PS5_21rocsparse_index_base_b.num_vgpr, 72
	.set _ZN9rocsparseL19gebsrmvn_1xn_kernelILj128ELj9ELj8E21rocsparse_complex_numIdEEEvi20rocsparse_direction_NS_24const_host_device_scalarIT2_EEPKiS8_PKS5_SA_S6_PS5_21rocsparse_index_base_b.num_agpr, 0
	.set _ZN9rocsparseL19gebsrmvn_1xn_kernelILj128ELj9ELj8E21rocsparse_complex_numIdEEEvi20rocsparse_direction_NS_24const_host_device_scalarIT2_EEPKiS8_PKS5_SA_S6_PS5_21rocsparse_index_base_b.numbered_sgpr, 13
	.set _ZN9rocsparseL19gebsrmvn_1xn_kernelILj128ELj9ELj8E21rocsparse_complex_numIdEEEvi20rocsparse_direction_NS_24const_host_device_scalarIT2_EEPKiS8_PKS5_SA_S6_PS5_21rocsparse_index_base_b.num_named_barrier, 0
	.set _ZN9rocsparseL19gebsrmvn_1xn_kernelILj128ELj9ELj8E21rocsparse_complex_numIdEEEvi20rocsparse_direction_NS_24const_host_device_scalarIT2_EEPKiS8_PKS5_SA_S6_PS5_21rocsparse_index_base_b.private_seg_size, 0
	.set _ZN9rocsparseL19gebsrmvn_1xn_kernelILj128ELj9ELj8E21rocsparse_complex_numIdEEEvi20rocsparse_direction_NS_24const_host_device_scalarIT2_EEPKiS8_PKS5_SA_S6_PS5_21rocsparse_index_base_b.uses_vcc, 1
	.set _ZN9rocsparseL19gebsrmvn_1xn_kernelILj128ELj9ELj8E21rocsparse_complex_numIdEEEvi20rocsparse_direction_NS_24const_host_device_scalarIT2_EEPKiS8_PKS5_SA_S6_PS5_21rocsparse_index_base_b.uses_flat_scratch, 0
	.set _ZN9rocsparseL19gebsrmvn_1xn_kernelILj128ELj9ELj8E21rocsparse_complex_numIdEEEvi20rocsparse_direction_NS_24const_host_device_scalarIT2_EEPKiS8_PKS5_SA_S6_PS5_21rocsparse_index_base_b.has_dyn_sized_stack, 0
	.set _ZN9rocsparseL19gebsrmvn_1xn_kernelILj128ELj9ELj8E21rocsparse_complex_numIdEEEvi20rocsparse_direction_NS_24const_host_device_scalarIT2_EEPKiS8_PKS5_SA_S6_PS5_21rocsparse_index_base_b.has_recursion, 0
	.set _ZN9rocsparseL19gebsrmvn_1xn_kernelILj128ELj9ELj8E21rocsparse_complex_numIdEEEvi20rocsparse_direction_NS_24const_host_device_scalarIT2_EEPKiS8_PKS5_SA_S6_PS5_21rocsparse_index_base_b.has_indirect_call, 0
	.section	.AMDGPU.csdata,"",@progbits
; Kernel info:
; codeLenInByte = 1840
; TotalNumSgprs: 15
; NumVgprs: 72
; ScratchSize: 0
; MemoryBound: 0
; FloatMode: 240
; IeeeMode: 1
; LDSByteSize: 0 bytes/workgroup (compile time only)
; SGPRBlocks: 0
; VGPRBlocks: 8
; NumSGPRsForWavesPerEU: 15
; NumVGPRsForWavesPerEU: 72
; Occupancy: 12
; WaveLimiterHint : 1
; COMPUTE_PGM_RSRC2:SCRATCH_EN: 0
; COMPUTE_PGM_RSRC2:USER_SGPR: 6
; COMPUTE_PGM_RSRC2:TRAP_HANDLER: 0
; COMPUTE_PGM_RSRC2:TGID_X_EN: 1
; COMPUTE_PGM_RSRC2:TGID_Y_EN: 0
; COMPUTE_PGM_RSRC2:TGID_Z_EN: 0
; COMPUTE_PGM_RSRC2:TIDIG_COMP_CNT: 0
	.section	.text._ZN9rocsparseL19gebsrmvn_1xn_kernelILj128ELj9ELj16E21rocsparse_complex_numIdEEEvi20rocsparse_direction_NS_24const_host_device_scalarIT2_EEPKiS8_PKS5_SA_S6_PS5_21rocsparse_index_base_b,"axG",@progbits,_ZN9rocsparseL19gebsrmvn_1xn_kernelILj128ELj9ELj16E21rocsparse_complex_numIdEEEvi20rocsparse_direction_NS_24const_host_device_scalarIT2_EEPKiS8_PKS5_SA_S6_PS5_21rocsparse_index_base_b,comdat
	.globl	_ZN9rocsparseL19gebsrmvn_1xn_kernelILj128ELj9ELj16E21rocsparse_complex_numIdEEEvi20rocsparse_direction_NS_24const_host_device_scalarIT2_EEPKiS8_PKS5_SA_S6_PS5_21rocsparse_index_base_b ; -- Begin function _ZN9rocsparseL19gebsrmvn_1xn_kernelILj128ELj9ELj16E21rocsparse_complex_numIdEEEvi20rocsparse_direction_NS_24const_host_device_scalarIT2_EEPKiS8_PKS5_SA_S6_PS5_21rocsparse_index_base_b
	.p2align	8
	.type	_ZN9rocsparseL19gebsrmvn_1xn_kernelILj128ELj9ELj16E21rocsparse_complex_numIdEEEvi20rocsparse_direction_NS_24const_host_device_scalarIT2_EEPKiS8_PKS5_SA_S6_PS5_21rocsparse_index_base_b,@function
_ZN9rocsparseL19gebsrmvn_1xn_kernelILj128ELj9ELj16E21rocsparse_complex_numIdEEEvi20rocsparse_direction_NS_24const_host_device_scalarIT2_EEPKiS8_PKS5_SA_S6_PS5_21rocsparse_index_base_b: ; @_ZN9rocsparseL19gebsrmvn_1xn_kernelILj128ELj9ELj16E21rocsparse_complex_numIdEEEvi20rocsparse_direction_NS_24const_host_device_scalarIT2_EEPKiS8_PKS5_SA_S6_PS5_21rocsparse_index_base_b
; %bb.0:
	s_clause 0x1
	s_load_dwordx2 s[8:9], s[4:5], 0x50
	s_load_dwordx2 s[0:1], s[4:5], 0x8
	s_add_u32 s7, s4, 8
	s_addc_u32 s10, s5, 0
	s_add_u32 s11, s4, 56
	s_addc_u32 s12, s5, 0
	s_load_dwordx2 s[2:3], s[4:5], 0x38
	s_waitcnt lgkmcnt(0)
	s_bitcmp1_b32 s9, 0
	s_cselect_b32 s0, s7, s0
	s_cselect_b32 s1, s10, s1
	v_mov_b32_e32 v1, s0
	v_mov_b32_e32 v2, s1
	s_cselect_b32 s0, s11, s2
	s_cselect_b32 s1, s12, s3
	flat_load_dwordx4 v[5:8], v[1:2]
	v_mov_b32_e32 v1, s0
	v_mov_b32_e32 v2, s1
	flat_load_dwordx4 v[1:4], v[1:2]
	s_waitcnt vmcnt(1) lgkmcnt(1)
	v_cmp_eq_f64_e32 vcc_lo, 0, v[5:6]
	v_cmp_eq_f64_e64 s0, 0, v[7:8]
	s_and_b32 s2, vcc_lo, s0
	s_mov_b32 s0, -1
	s_and_saveexec_b32 s1, s2
	s_cbranch_execz .LBB265_2
; %bb.1:
	s_waitcnt vmcnt(0) lgkmcnt(0)
	v_cmp_neq_f64_e32 vcc_lo, 1.0, v[1:2]
	v_cmp_neq_f64_e64 s0, 0, v[3:4]
	s_or_b32 s0, vcc_lo, s0
	s_orn2_b32 s0, s0, exec_lo
.LBB265_2:
	s_or_b32 exec_lo, exec_lo, s1
	s_and_saveexec_b32 s1, s0
	s_cbranch_execz .LBB265_13
; %bb.3:
	s_load_dword s0, s[4:5], 0x0
	v_lshrrev_b32_e32 v9, 4, v0
	v_lshl_or_b32 v9, s6, 3, v9
	s_waitcnt lgkmcnt(0)
	v_cmp_gt_i32_e32 vcc_lo, s0, v9
	s_and_b32 exec_lo, exec_lo, vcc_lo
	s_cbranch_execz .LBB265_13
; %bb.4:
	s_clause 0x1
	s_load_dwordx2 s[0:1], s[4:5], 0x18
	s_load_dwordx2 s[6:7], s[4:5], 0x48
	v_ashrrev_i32_e32 v10, 31, v9
	v_and_b32_e32 v0, 15, v0
	v_mov_b32_e32 v16, 0
	v_mov_b32_e32 v18, 0
	;; [unrolled: 1-line block ×3, first 2 shown]
	v_lshlrev_b64 v[11:12], 2, v[9:10]
	v_subrev_nc_u32_e32 v13, s8, v0
	v_mov_b32_e32 v19, 0
	s_mov_b32 s9, exec_lo
	s_waitcnt lgkmcnt(0)
	v_add_co_u32 v11, vcc_lo, s0, v11
	v_add_co_ci_u32_e64 v12, null, s1, v12, vcc_lo
	global_load_dwordx2 v[11:12], v[11:12], off
	s_waitcnt vmcnt(0)
	v_subrev_nc_u32_e32 v20, s8, v12
	v_add_nc_u32_e32 v11, v11, v13
	v_cmpx_lt_i32_e64 v11, v20
	s_cbranch_execz .LBB265_8
; %bb.5:
	s_clause 0x1
	s_load_dwordx4 s[0:3], s[4:5], 0x20
	s_load_dwordx2 s[4:5], s[4:5], 0x30
	v_mad_u64_u32 v[13:14], null, v11, 9, 8
	v_mov_b32_e32 v16, 0
	v_mov_b32_e32 v18, 0
	;; [unrolled: 1-line block ×5, first 2 shown]
	s_mov_b32 s10, 0
.LBB265_6:                              ; =>This Inner Loop Header: Depth=1
	v_ashrrev_i32_e32 v12, 31, v11
	v_add_nc_u32_e32 v14, -8, v13
	v_mov_b32_e32 v66, v15
	v_lshlrev_b64 v[21:22], 2, v[11:12]
	v_add_nc_u32_e32 v11, 16, v11
	s_waitcnt lgkmcnt(0)
	v_add_co_u32 v21, vcc_lo, s0, v21
	v_add_co_ci_u32_e64 v22, null, s1, v22, vcc_lo
	global_load_dword v12, v[21:22], off
	v_lshlrev_b64 v[21:22], 4, v[14:15]
	v_add_nc_u32_e32 v14, -7, v13
	v_lshlrev_b64 v[23:24], 4, v[14:15]
	v_add_co_u32 v21, vcc_lo, s2, v21
	v_add_co_ci_u32_e64 v22, null, s3, v22, vcc_lo
	v_add_co_u32 v25, vcc_lo, s2, v23
	v_add_co_ci_u32_e64 v26, null, s3, v24, vcc_lo
	s_clause 0x1
	global_load_dwordx4 v[21:24], v[21:22], off
	global_load_dwordx4 v[25:28], v[25:26], off
	s_waitcnt vmcnt(2)
	v_subrev_nc_u32_e32 v12, s8, v12
	v_lshl_add_u32 v65, v12, 3, v12
	v_lshlrev_b64 v[29:30], 4, v[65:66]
	v_add_nc_u32_e32 v14, 1, v65
	v_lshlrev_b64 v[33:34], 4, v[14:15]
	v_add_co_u32 v29, vcc_lo, s4, v29
	v_add_co_ci_u32_e64 v30, null, s5, v30, vcc_lo
	v_add_nc_u32_e32 v14, -6, v13
	v_add_co_u32 v33, vcc_lo, s4, v33
	global_load_dwordx4 v[29:32], v[29:30], off
	v_add_co_ci_u32_e64 v34, null, s5, v34, vcc_lo
	v_lshlrev_b64 v[37:38], 4, v[14:15]
	v_add_nc_u32_e32 v14, 2, v65
	global_load_dwordx4 v[33:36], v[33:34], off
	v_lshlrev_b64 v[39:40], 4, v[14:15]
	v_add_co_u32 v37, vcc_lo, s2, v37
	v_add_co_ci_u32_e64 v38, null, s3, v38, vcc_lo
	v_add_nc_u32_e32 v14, -5, v13
	v_add_co_u32 v41, vcc_lo, s4, v39
	v_add_co_ci_u32_e64 v42, null, s5, v40, vcc_lo
	global_load_dwordx4 v[37:40], v[37:38], off
	global_load_dwordx4 v[41:44], v[41:42], off
	v_lshlrev_b64 v[45:46], 4, v[14:15]
	v_add_nc_u32_e32 v14, 3, v65
	v_lshlrev_b64 v[47:48], 4, v[14:15]
	v_add_co_u32 v45, vcc_lo, s2, v45
	v_add_co_ci_u32_e64 v46, null, s3, v46, vcc_lo
	v_add_nc_u32_e32 v14, -4, v13
	v_add_co_u32 v49, vcc_lo, s4, v47
	v_add_co_ci_u32_e64 v50, null, s5, v48, vcc_lo
	global_load_dwordx4 v[45:48], v[45:46], off
	global_load_dwordx4 v[49:52], v[49:50], off
	v_lshlrev_b64 v[53:54], 4, v[14:15]
	v_add_nc_u32_e32 v14, 4, v65
	;; [unrolled: 10-line block ×3, first 2 shown]
	v_lshlrev_b64 v[63:64], 4, v[14:15]
	v_add_co_u32 v61, vcc_lo, s2, v61
	v_add_co_ci_u32_e64 v62, null, s3, v62, vcc_lo
	v_add_nc_u32_e32 v14, -2, v13
	v_add_co_u32 v66, vcc_lo, s4, v63
	v_add_co_ci_u32_e64 v67, null, s5, v64, vcc_lo
	global_load_dwordx4 v[61:64], v[61:62], off
	s_waitcnt vmcnt(8)
	v_fma_f64 v[18:19], v[21:22], v[29:30], v[18:19]
	v_fma_f64 v[16:17], v[23:24], v[29:30], v[16:17]
	v_fma_f64 v[29:30], -v[23:24], v[31:32], v[18:19]
	v_fma_f64 v[31:32], v[21:22], v[31:32], v[16:17]
	global_load_dwordx4 v[16:19], v[66:67], off
	v_lshlrev_b64 v[21:22], 4, v[14:15]
	v_add_nc_u32_e32 v14, 6, v65
	v_lshlrev_b64 v[23:24], 4, v[14:15]
	v_add_co_u32 v21, vcc_lo, s2, v21
	v_add_co_ci_u32_e64 v22, null, s3, v22, vcc_lo
	v_add_nc_u32_e32 v14, -1, v13
	v_add_co_u32 v66, vcc_lo, s4, v23
	v_add_co_ci_u32_e64 v67, null, s5, v24, vcc_lo
	global_load_dwordx4 v[21:24], v[21:22], off
	s_waitcnt vmcnt(9)
	v_fma_f64 v[29:30], v[25:26], v[33:34], v[29:30]
	v_fma_f64 v[31:32], v[27:28], v[33:34], v[31:32]
	v_fma_f64 v[33:34], -v[27:28], v[35:36], v[29:30]
	v_fma_f64 v[35:36], v[25:26], v[35:36], v[31:32]
	global_load_dwordx4 v[25:28], v[66:67], off
	v_lshlrev_b64 v[29:30], 4, v[14:15]
	v_add_nc_u32_e32 v14, 7, v65
	v_lshlrev_b64 v[31:32], 4, v[14:15]
	v_add_co_u32 v29, vcc_lo, s2, v29
	v_add_co_ci_u32_e64 v30, null, s3, v30, vcc_lo
	v_mov_b32_e32 v14, v15
	v_add_co_u32 v66, vcc_lo, s4, v31
	v_add_co_ci_u32_e64 v67, null, s5, v32, vcc_lo
	global_load_dwordx4 v[29:32], v[29:30], off
	s_waitcnt vmcnt(9)
	v_fma_f64 v[33:34], v[37:38], v[41:42], v[33:34]
	v_fma_f64 v[35:36], v[39:40], v[41:42], v[35:36]
	v_fma_f64 v[68:69], -v[39:40], v[43:44], v[33:34]
	v_fma_f64 v[70:71], v[37:38], v[43:44], v[35:36]
	global_load_dwordx4 v[33:36], v[66:67], off
	v_lshlrev_b64 v[37:38], 4, v[13:14]
	v_add_nc_u32_e32 v14, 8, v65
	v_add_nc_u32_e32 v13, 0x90, v13
	v_lshlrev_b64 v[39:40], 4, v[14:15]
	v_add_co_u32 v37, vcc_lo, s2, v37
	v_add_co_ci_u32_e64 v38, null, s3, v38, vcc_lo
	v_add_co_u32 v41, vcc_lo, s4, v39
	v_add_co_ci_u32_e64 v42, null, s5, v40, vcc_lo
	global_load_dwordx4 v[37:40], v[37:38], off
	global_load_dwordx4 v[41:44], v[41:42], off
	s_waitcnt vmcnt(10)
	v_fma_f64 v[65:66], v[45:46], v[49:50], v[68:69]
	v_fma_f64 v[49:50], v[47:48], v[49:50], v[70:71]
	v_cmp_ge_i32_e32 vcc_lo, v11, v20
	s_or_b32 s10, vcc_lo, s10
	v_fma_f64 v[47:48], -v[47:48], v[51:52], v[65:66]
	v_fma_f64 v[45:46], v[45:46], v[51:52], v[49:50]
	s_waitcnt vmcnt(8)
	v_fma_f64 v[47:48], v[53:54], v[57:58], v[47:48]
	v_fma_f64 v[45:46], v[55:56], v[57:58], v[45:46]
	v_fma_f64 v[47:48], -v[55:56], v[59:60], v[47:48]
	v_fma_f64 v[45:46], v[53:54], v[59:60], v[45:46]
	s_waitcnt vmcnt(6)
	v_fma_f64 v[47:48], v[61:62], v[16:17], v[47:48]
	v_fma_f64 v[16:17], v[63:64], v[16:17], v[45:46]
	v_fma_f64 v[45:46], -v[63:64], v[18:19], v[47:48]
	v_fma_f64 v[16:17], v[61:62], v[18:19], v[16:17]
	s_waitcnt vmcnt(4)
	v_fma_f64 v[18:19], v[21:22], v[25:26], v[45:46]
	v_fma_f64 v[16:17], v[23:24], v[25:26], v[16:17]
	v_fma_f64 v[18:19], -v[23:24], v[27:28], v[18:19]
	v_fma_f64 v[16:17], v[21:22], v[27:28], v[16:17]
	s_waitcnt vmcnt(2)
	v_fma_f64 v[18:19], v[29:30], v[33:34], v[18:19]
	v_fma_f64 v[16:17], v[31:32], v[33:34], v[16:17]
	v_fma_f64 v[18:19], -v[31:32], v[35:36], v[18:19]
	v_fma_f64 v[16:17], v[29:30], v[35:36], v[16:17]
	s_waitcnt vmcnt(0)
	v_fma_f64 v[18:19], v[37:38], v[41:42], v[18:19]
	v_fma_f64 v[16:17], v[39:40], v[41:42], v[16:17]
	v_fma_f64 v[18:19], -v[39:40], v[43:44], v[18:19]
	v_fma_f64 v[16:17], v[37:38], v[43:44], v[16:17]
	s_andn2_b32 exec_lo, exec_lo, s10
	s_cbranch_execnz .LBB265_6
; %bb.7:
	s_or_b32 exec_lo, exec_lo, s10
.LBB265_8:
	s_or_b32 exec_lo, exec_lo, s9
	v_mbcnt_lo_u32_b32 v20, -1, 0
	v_xor_b32_e32 v11, 8, v20
	v_xor_b32_e32 v15, 4, v20
	v_cmp_gt_i32_e32 vcc_lo, 32, v11
	v_cndmask_b32_e32 v11, v20, v11, vcc_lo
	v_cmp_gt_i32_e32 vcc_lo, 32, v15
	v_lshlrev_b32_e32 v14, 2, v11
	v_cndmask_b32_e32 v15, v20, v15, vcc_lo
	ds_bpermute_b32 v11, v14, v18
	ds_bpermute_b32 v12, v14, v19
	;; [unrolled: 1-line block ×4, first 2 shown]
	s_waitcnt lgkmcnt(2)
	v_add_f64 v[11:12], v[18:19], v[11:12]
	v_lshlrev_b32_e32 v18, 2, v15
	s_waitcnt lgkmcnt(0)
	v_add_f64 v[13:14], v[16:17], v[13:14]
	ds_bpermute_b32 v15, v18, v11
	ds_bpermute_b32 v16, v18, v12
	;; [unrolled: 1-line block ×4, first 2 shown]
	s_waitcnt lgkmcnt(2)
	v_add_f64 v[11:12], v[11:12], v[15:16]
	v_xor_b32_e32 v15, 2, v20
	s_waitcnt lgkmcnt(0)
	v_add_f64 v[13:14], v[13:14], v[17:18]
	v_cmp_gt_i32_e32 vcc_lo, 32, v15
	v_cndmask_b32_e32 v15, v20, v15, vcc_lo
	v_lshlrev_b32_e32 v18, 2, v15
	ds_bpermute_b32 v15, v18, v11
	ds_bpermute_b32 v16, v18, v12
	;; [unrolled: 1-line block ×4, first 2 shown]
	s_waitcnt lgkmcnt(2)
	v_add_f64 v[11:12], v[11:12], v[15:16]
	v_xor_b32_e32 v15, 1, v20
	s_waitcnt lgkmcnt(0)
	v_add_f64 v[13:14], v[13:14], v[17:18]
	v_cmp_gt_i32_e32 vcc_lo, 32, v15
	v_cndmask_b32_e32 v15, v20, v15, vcc_lo
	v_cmp_eq_u32_e32 vcc_lo, 15, v0
	v_lshlrev_b32_e32 v18, 2, v15
	ds_bpermute_b32 v15, v18, v11
	ds_bpermute_b32 v16, v18, v12
	ds_bpermute_b32 v17, v18, v13
	ds_bpermute_b32 v18, v18, v14
	s_and_b32 exec_lo, exec_lo, vcc_lo
	s_cbranch_execz .LBB265_13
; %bb.9:
	s_waitcnt lgkmcnt(0)
	v_add_f64 v[13:14], v[13:14], v[17:18]
	v_add_f64 v[11:12], v[11:12], v[15:16]
	v_cmp_eq_f64_e32 vcc_lo, 0, v[1:2]
	v_cmp_eq_f64_e64 s0, 0, v[3:4]
	v_lshlrev_b64 v[9:10], 4, v[9:10]
	v_mul_f64 v[15:16], v[13:14], -v[7:8]
	v_mul_f64 v[13:14], v[5:6], v[13:14]
	s_and_b32 s0, vcc_lo, s0
	v_fma_f64 v[5:6], v[5:6], v[11:12], v[15:16]
	v_fma_f64 v[7:8], v[7:8], v[11:12], v[13:14]
	s_and_saveexec_b32 s1, s0
	s_xor_b32 s0, exec_lo, s1
	s_cbranch_execz .LBB265_11
; %bb.10:
	v_add_co_u32 v0, vcc_lo, s6, v9
	v_add_co_ci_u32_e64 v1, null, s7, v10, vcc_lo
                                        ; implicit-def: $vgpr9_vgpr10
	global_store_dwordx4 v[0:1], v[5:8], off
                                        ; implicit-def: $vgpr1_vgpr2
                                        ; implicit-def: $vgpr5_vgpr6
.LBB265_11:
	s_andn2_saveexec_b32 s0, s0
	s_cbranch_execz .LBB265_13
; %bb.12:
	v_add_co_u32 v13, vcc_lo, s6, v9
	v_add_co_ci_u32_e64 v14, null, s7, v10, vcc_lo
	global_load_dwordx4 v[9:12], v[13:14], off
	s_waitcnt vmcnt(0)
	v_fma_f64 v[5:6], v[1:2], v[9:10], v[5:6]
	v_fma_f64 v[7:8], v[3:4], v[9:10], v[7:8]
	v_fma_f64 v[3:4], -v[3:4], v[11:12], v[5:6]
	v_fma_f64 v[5:6], v[1:2], v[11:12], v[7:8]
	global_store_dwordx4 v[13:14], v[3:6], off
.LBB265_13:
	s_endpgm
	.section	.rodata,"a",@progbits
	.p2align	6, 0x0
	.amdhsa_kernel _ZN9rocsparseL19gebsrmvn_1xn_kernelILj128ELj9ELj16E21rocsparse_complex_numIdEEEvi20rocsparse_direction_NS_24const_host_device_scalarIT2_EEPKiS8_PKS5_SA_S6_PS5_21rocsparse_index_base_b
		.amdhsa_group_segment_fixed_size 0
		.amdhsa_private_segment_fixed_size 0
		.amdhsa_kernarg_size 88
		.amdhsa_user_sgpr_count 6
		.amdhsa_user_sgpr_private_segment_buffer 1
		.amdhsa_user_sgpr_dispatch_ptr 0
		.amdhsa_user_sgpr_queue_ptr 0
		.amdhsa_user_sgpr_kernarg_segment_ptr 1
		.amdhsa_user_sgpr_dispatch_id 0
		.amdhsa_user_sgpr_flat_scratch_init 0
		.amdhsa_user_sgpr_private_segment_size 0
		.amdhsa_wavefront_size32 1
		.amdhsa_uses_dynamic_stack 0
		.amdhsa_system_sgpr_private_segment_wavefront_offset 0
		.amdhsa_system_sgpr_workgroup_id_x 1
		.amdhsa_system_sgpr_workgroup_id_y 0
		.amdhsa_system_sgpr_workgroup_id_z 0
		.amdhsa_system_sgpr_workgroup_info 0
		.amdhsa_system_vgpr_workitem_id 0
		.amdhsa_next_free_vgpr 72
		.amdhsa_next_free_sgpr 13
		.amdhsa_reserve_vcc 1
		.amdhsa_reserve_flat_scratch 0
		.amdhsa_float_round_mode_32 0
		.amdhsa_float_round_mode_16_64 0
		.amdhsa_float_denorm_mode_32 3
		.amdhsa_float_denorm_mode_16_64 3
		.amdhsa_dx10_clamp 1
		.amdhsa_ieee_mode 1
		.amdhsa_fp16_overflow 0
		.amdhsa_workgroup_processor_mode 1
		.amdhsa_memory_ordered 1
		.amdhsa_forward_progress 1
		.amdhsa_shared_vgpr_count 0
		.amdhsa_exception_fp_ieee_invalid_op 0
		.amdhsa_exception_fp_denorm_src 0
		.amdhsa_exception_fp_ieee_div_zero 0
		.amdhsa_exception_fp_ieee_overflow 0
		.amdhsa_exception_fp_ieee_underflow 0
		.amdhsa_exception_fp_ieee_inexact 0
		.amdhsa_exception_int_div_zero 0
	.end_amdhsa_kernel
	.section	.text._ZN9rocsparseL19gebsrmvn_1xn_kernelILj128ELj9ELj16E21rocsparse_complex_numIdEEEvi20rocsparse_direction_NS_24const_host_device_scalarIT2_EEPKiS8_PKS5_SA_S6_PS5_21rocsparse_index_base_b,"axG",@progbits,_ZN9rocsparseL19gebsrmvn_1xn_kernelILj128ELj9ELj16E21rocsparse_complex_numIdEEEvi20rocsparse_direction_NS_24const_host_device_scalarIT2_EEPKiS8_PKS5_SA_S6_PS5_21rocsparse_index_base_b,comdat
.Lfunc_end265:
	.size	_ZN9rocsparseL19gebsrmvn_1xn_kernelILj128ELj9ELj16E21rocsparse_complex_numIdEEEvi20rocsparse_direction_NS_24const_host_device_scalarIT2_EEPKiS8_PKS5_SA_S6_PS5_21rocsparse_index_base_b, .Lfunc_end265-_ZN9rocsparseL19gebsrmvn_1xn_kernelILj128ELj9ELj16E21rocsparse_complex_numIdEEEvi20rocsparse_direction_NS_24const_host_device_scalarIT2_EEPKiS8_PKS5_SA_S6_PS5_21rocsparse_index_base_b
                                        ; -- End function
	.set _ZN9rocsparseL19gebsrmvn_1xn_kernelILj128ELj9ELj16E21rocsparse_complex_numIdEEEvi20rocsparse_direction_NS_24const_host_device_scalarIT2_EEPKiS8_PKS5_SA_S6_PS5_21rocsparse_index_base_b.num_vgpr, 72
	.set _ZN9rocsparseL19gebsrmvn_1xn_kernelILj128ELj9ELj16E21rocsparse_complex_numIdEEEvi20rocsparse_direction_NS_24const_host_device_scalarIT2_EEPKiS8_PKS5_SA_S6_PS5_21rocsparse_index_base_b.num_agpr, 0
	.set _ZN9rocsparseL19gebsrmvn_1xn_kernelILj128ELj9ELj16E21rocsparse_complex_numIdEEEvi20rocsparse_direction_NS_24const_host_device_scalarIT2_EEPKiS8_PKS5_SA_S6_PS5_21rocsparse_index_base_b.numbered_sgpr, 13
	.set _ZN9rocsparseL19gebsrmvn_1xn_kernelILj128ELj9ELj16E21rocsparse_complex_numIdEEEvi20rocsparse_direction_NS_24const_host_device_scalarIT2_EEPKiS8_PKS5_SA_S6_PS5_21rocsparse_index_base_b.num_named_barrier, 0
	.set _ZN9rocsparseL19gebsrmvn_1xn_kernelILj128ELj9ELj16E21rocsparse_complex_numIdEEEvi20rocsparse_direction_NS_24const_host_device_scalarIT2_EEPKiS8_PKS5_SA_S6_PS5_21rocsparse_index_base_b.private_seg_size, 0
	.set _ZN9rocsparseL19gebsrmvn_1xn_kernelILj128ELj9ELj16E21rocsparse_complex_numIdEEEvi20rocsparse_direction_NS_24const_host_device_scalarIT2_EEPKiS8_PKS5_SA_S6_PS5_21rocsparse_index_base_b.uses_vcc, 1
	.set _ZN9rocsparseL19gebsrmvn_1xn_kernelILj128ELj9ELj16E21rocsparse_complex_numIdEEEvi20rocsparse_direction_NS_24const_host_device_scalarIT2_EEPKiS8_PKS5_SA_S6_PS5_21rocsparse_index_base_b.uses_flat_scratch, 0
	.set _ZN9rocsparseL19gebsrmvn_1xn_kernelILj128ELj9ELj16E21rocsparse_complex_numIdEEEvi20rocsparse_direction_NS_24const_host_device_scalarIT2_EEPKiS8_PKS5_SA_S6_PS5_21rocsparse_index_base_b.has_dyn_sized_stack, 0
	.set _ZN9rocsparseL19gebsrmvn_1xn_kernelILj128ELj9ELj16E21rocsparse_complex_numIdEEEvi20rocsparse_direction_NS_24const_host_device_scalarIT2_EEPKiS8_PKS5_SA_S6_PS5_21rocsparse_index_base_b.has_recursion, 0
	.set _ZN9rocsparseL19gebsrmvn_1xn_kernelILj128ELj9ELj16E21rocsparse_complex_numIdEEEvi20rocsparse_direction_NS_24const_host_device_scalarIT2_EEPKiS8_PKS5_SA_S6_PS5_21rocsparse_index_base_b.has_indirect_call, 0
	.section	.AMDGPU.csdata,"",@progbits
; Kernel info:
; codeLenInByte = 1912
; TotalNumSgprs: 15
; NumVgprs: 72
; ScratchSize: 0
; MemoryBound: 0
; FloatMode: 240
; IeeeMode: 1
; LDSByteSize: 0 bytes/workgroup (compile time only)
; SGPRBlocks: 0
; VGPRBlocks: 8
; NumSGPRsForWavesPerEU: 15
; NumVGPRsForWavesPerEU: 72
; Occupancy: 12
; WaveLimiterHint : 1
; COMPUTE_PGM_RSRC2:SCRATCH_EN: 0
; COMPUTE_PGM_RSRC2:USER_SGPR: 6
; COMPUTE_PGM_RSRC2:TRAP_HANDLER: 0
; COMPUTE_PGM_RSRC2:TGID_X_EN: 1
; COMPUTE_PGM_RSRC2:TGID_Y_EN: 0
; COMPUTE_PGM_RSRC2:TGID_Z_EN: 0
; COMPUTE_PGM_RSRC2:TIDIG_COMP_CNT: 0
	.section	.text._ZN9rocsparseL19gebsrmvn_1xn_kernelILj128ELj9ELj32E21rocsparse_complex_numIdEEEvi20rocsparse_direction_NS_24const_host_device_scalarIT2_EEPKiS8_PKS5_SA_S6_PS5_21rocsparse_index_base_b,"axG",@progbits,_ZN9rocsparseL19gebsrmvn_1xn_kernelILj128ELj9ELj32E21rocsparse_complex_numIdEEEvi20rocsparse_direction_NS_24const_host_device_scalarIT2_EEPKiS8_PKS5_SA_S6_PS5_21rocsparse_index_base_b,comdat
	.globl	_ZN9rocsparseL19gebsrmvn_1xn_kernelILj128ELj9ELj32E21rocsparse_complex_numIdEEEvi20rocsparse_direction_NS_24const_host_device_scalarIT2_EEPKiS8_PKS5_SA_S6_PS5_21rocsparse_index_base_b ; -- Begin function _ZN9rocsparseL19gebsrmvn_1xn_kernelILj128ELj9ELj32E21rocsparse_complex_numIdEEEvi20rocsparse_direction_NS_24const_host_device_scalarIT2_EEPKiS8_PKS5_SA_S6_PS5_21rocsparse_index_base_b
	.p2align	8
	.type	_ZN9rocsparseL19gebsrmvn_1xn_kernelILj128ELj9ELj32E21rocsparse_complex_numIdEEEvi20rocsparse_direction_NS_24const_host_device_scalarIT2_EEPKiS8_PKS5_SA_S6_PS5_21rocsparse_index_base_b,@function
_ZN9rocsparseL19gebsrmvn_1xn_kernelILj128ELj9ELj32E21rocsparse_complex_numIdEEEvi20rocsparse_direction_NS_24const_host_device_scalarIT2_EEPKiS8_PKS5_SA_S6_PS5_21rocsparse_index_base_b: ; @_ZN9rocsparseL19gebsrmvn_1xn_kernelILj128ELj9ELj32E21rocsparse_complex_numIdEEEvi20rocsparse_direction_NS_24const_host_device_scalarIT2_EEPKiS8_PKS5_SA_S6_PS5_21rocsparse_index_base_b
; %bb.0:
	s_clause 0x1
	s_load_dwordx2 s[8:9], s[4:5], 0x50
	s_load_dwordx2 s[0:1], s[4:5], 0x8
	s_add_u32 s7, s4, 8
	s_addc_u32 s10, s5, 0
	s_add_u32 s11, s4, 56
	s_addc_u32 s12, s5, 0
	s_load_dwordx2 s[2:3], s[4:5], 0x38
	s_waitcnt lgkmcnt(0)
	s_bitcmp1_b32 s9, 0
	s_cselect_b32 s0, s7, s0
	s_cselect_b32 s1, s10, s1
	v_mov_b32_e32 v1, s0
	v_mov_b32_e32 v2, s1
	s_cselect_b32 s0, s11, s2
	s_cselect_b32 s1, s12, s3
	flat_load_dwordx4 v[5:8], v[1:2]
	v_mov_b32_e32 v1, s0
	v_mov_b32_e32 v2, s1
	flat_load_dwordx4 v[1:4], v[1:2]
	s_waitcnt vmcnt(1) lgkmcnt(1)
	v_cmp_eq_f64_e32 vcc_lo, 0, v[5:6]
	v_cmp_eq_f64_e64 s0, 0, v[7:8]
	s_and_b32 s2, vcc_lo, s0
	s_mov_b32 s0, -1
	s_and_saveexec_b32 s1, s2
	s_cbranch_execz .LBB266_2
; %bb.1:
	s_waitcnt vmcnt(0) lgkmcnt(0)
	v_cmp_neq_f64_e32 vcc_lo, 1.0, v[1:2]
	v_cmp_neq_f64_e64 s0, 0, v[3:4]
	s_or_b32 s0, vcc_lo, s0
	s_orn2_b32 s0, s0, exec_lo
.LBB266_2:
	s_or_b32 exec_lo, exec_lo, s1
	s_and_saveexec_b32 s1, s0
	s_cbranch_execz .LBB266_13
; %bb.3:
	s_load_dword s0, s[4:5], 0x0
	v_lshrrev_b32_e32 v9, 5, v0
	v_lshl_or_b32 v9, s6, 2, v9
	s_waitcnt lgkmcnt(0)
	v_cmp_gt_i32_e32 vcc_lo, s0, v9
	s_and_b32 exec_lo, exec_lo, vcc_lo
	s_cbranch_execz .LBB266_13
; %bb.4:
	s_clause 0x1
	s_load_dwordx2 s[0:1], s[4:5], 0x18
	s_load_dwordx2 s[6:7], s[4:5], 0x48
	v_ashrrev_i32_e32 v10, 31, v9
	v_and_b32_e32 v0, 31, v0
	v_mov_b32_e32 v16, 0
	v_mov_b32_e32 v18, 0
	;; [unrolled: 1-line block ×3, first 2 shown]
	v_lshlrev_b64 v[11:12], 2, v[9:10]
	v_subrev_nc_u32_e32 v13, s8, v0
	v_mov_b32_e32 v19, 0
	s_mov_b32 s9, exec_lo
	s_waitcnt lgkmcnt(0)
	v_add_co_u32 v11, vcc_lo, s0, v11
	v_add_co_ci_u32_e64 v12, null, s1, v12, vcc_lo
	global_load_dwordx2 v[11:12], v[11:12], off
	s_waitcnt vmcnt(0)
	v_subrev_nc_u32_e32 v20, s8, v12
	v_add_nc_u32_e32 v11, v11, v13
	v_cmpx_lt_i32_e64 v11, v20
	s_cbranch_execz .LBB266_8
; %bb.5:
	s_clause 0x1
	s_load_dwordx4 s[0:3], s[4:5], 0x20
	s_load_dwordx2 s[4:5], s[4:5], 0x30
	v_mad_u64_u32 v[13:14], null, v11, 9, 8
	v_mov_b32_e32 v16, 0
	v_mov_b32_e32 v18, 0
	;; [unrolled: 1-line block ×5, first 2 shown]
	s_mov_b32 s10, 0
.LBB266_6:                              ; =>This Inner Loop Header: Depth=1
	v_ashrrev_i32_e32 v12, 31, v11
	v_add_nc_u32_e32 v14, -8, v13
	v_mov_b32_e32 v66, v15
	v_lshlrev_b64 v[21:22], 2, v[11:12]
	v_add_nc_u32_e32 v11, 32, v11
	s_waitcnt lgkmcnt(0)
	v_add_co_u32 v21, vcc_lo, s0, v21
	v_add_co_ci_u32_e64 v22, null, s1, v22, vcc_lo
	global_load_dword v12, v[21:22], off
	v_lshlrev_b64 v[21:22], 4, v[14:15]
	v_add_nc_u32_e32 v14, -7, v13
	v_lshlrev_b64 v[23:24], 4, v[14:15]
	v_add_co_u32 v21, vcc_lo, s2, v21
	v_add_co_ci_u32_e64 v22, null, s3, v22, vcc_lo
	v_add_co_u32 v25, vcc_lo, s2, v23
	v_add_co_ci_u32_e64 v26, null, s3, v24, vcc_lo
	s_clause 0x1
	global_load_dwordx4 v[21:24], v[21:22], off
	global_load_dwordx4 v[25:28], v[25:26], off
	s_waitcnt vmcnt(2)
	v_subrev_nc_u32_e32 v12, s8, v12
	v_lshl_add_u32 v65, v12, 3, v12
	v_lshlrev_b64 v[29:30], 4, v[65:66]
	v_add_nc_u32_e32 v14, 1, v65
	v_lshlrev_b64 v[33:34], 4, v[14:15]
	v_add_co_u32 v29, vcc_lo, s4, v29
	v_add_co_ci_u32_e64 v30, null, s5, v30, vcc_lo
	v_add_nc_u32_e32 v14, -6, v13
	v_add_co_u32 v33, vcc_lo, s4, v33
	global_load_dwordx4 v[29:32], v[29:30], off
	v_add_co_ci_u32_e64 v34, null, s5, v34, vcc_lo
	v_lshlrev_b64 v[37:38], 4, v[14:15]
	v_add_nc_u32_e32 v14, 2, v65
	global_load_dwordx4 v[33:36], v[33:34], off
	v_lshlrev_b64 v[39:40], 4, v[14:15]
	v_add_co_u32 v37, vcc_lo, s2, v37
	v_add_co_ci_u32_e64 v38, null, s3, v38, vcc_lo
	v_add_nc_u32_e32 v14, -5, v13
	v_add_co_u32 v41, vcc_lo, s4, v39
	v_add_co_ci_u32_e64 v42, null, s5, v40, vcc_lo
	global_load_dwordx4 v[37:40], v[37:38], off
	global_load_dwordx4 v[41:44], v[41:42], off
	v_lshlrev_b64 v[45:46], 4, v[14:15]
	v_add_nc_u32_e32 v14, 3, v65
	v_lshlrev_b64 v[47:48], 4, v[14:15]
	v_add_co_u32 v45, vcc_lo, s2, v45
	v_add_co_ci_u32_e64 v46, null, s3, v46, vcc_lo
	v_add_nc_u32_e32 v14, -4, v13
	v_add_co_u32 v49, vcc_lo, s4, v47
	v_add_co_ci_u32_e64 v50, null, s5, v48, vcc_lo
	global_load_dwordx4 v[45:48], v[45:46], off
	global_load_dwordx4 v[49:52], v[49:50], off
	v_lshlrev_b64 v[53:54], 4, v[14:15]
	v_add_nc_u32_e32 v14, 4, v65
	;; [unrolled: 10-line block ×3, first 2 shown]
	v_lshlrev_b64 v[63:64], 4, v[14:15]
	v_add_co_u32 v61, vcc_lo, s2, v61
	v_add_co_ci_u32_e64 v62, null, s3, v62, vcc_lo
	v_add_nc_u32_e32 v14, -2, v13
	v_add_co_u32 v66, vcc_lo, s4, v63
	v_add_co_ci_u32_e64 v67, null, s5, v64, vcc_lo
	global_load_dwordx4 v[61:64], v[61:62], off
	s_waitcnt vmcnt(8)
	v_fma_f64 v[18:19], v[21:22], v[29:30], v[18:19]
	v_fma_f64 v[16:17], v[23:24], v[29:30], v[16:17]
	v_fma_f64 v[29:30], -v[23:24], v[31:32], v[18:19]
	v_fma_f64 v[31:32], v[21:22], v[31:32], v[16:17]
	global_load_dwordx4 v[16:19], v[66:67], off
	v_lshlrev_b64 v[21:22], 4, v[14:15]
	v_add_nc_u32_e32 v14, 6, v65
	v_lshlrev_b64 v[23:24], 4, v[14:15]
	v_add_co_u32 v21, vcc_lo, s2, v21
	v_add_co_ci_u32_e64 v22, null, s3, v22, vcc_lo
	v_add_nc_u32_e32 v14, -1, v13
	v_add_co_u32 v66, vcc_lo, s4, v23
	v_add_co_ci_u32_e64 v67, null, s5, v24, vcc_lo
	global_load_dwordx4 v[21:24], v[21:22], off
	s_waitcnt vmcnt(9)
	v_fma_f64 v[29:30], v[25:26], v[33:34], v[29:30]
	v_fma_f64 v[31:32], v[27:28], v[33:34], v[31:32]
	v_fma_f64 v[33:34], -v[27:28], v[35:36], v[29:30]
	v_fma_f64 v[35:36], v[25:26], v[35:36], v[31:32]
	global_load_dwordx4 v[25:28], v[66:67], off
	v_lshlrev_b64 v[29:30], 4, v[14:15]
	v_add_nc_u32_e32 v14, 7, v65
	v_lshlrev_b64 v[31:32], 4, v[14:15]
	v_add_co_u32 v29, vcc_lo, s2, v29
	v_add_co_ci_u32_e64 v30, null, s3, v30, vcc_lo
	v_mov_b32_e32 v14, v15
	v_add_co_u32 v66, vcc_lo, s4, v31
	v_add_co_ci_u32_e64 v67, null, s5, v32, vcc_lo
	global_load_dwordx4 v[29:32], v[29:30], off
	s_waitcnt vmcnt(9)
	v_fma_f64 v[33:34], v[37:38], v[41:42], v[33:34]
	v_fma_f64 v[35:36], v[39:40], v[41:42], v[35:36]
	v_fma_f64 v[68:69], -v[39:40], v[43:44], v[33:34]
	v_fma_f64 v[70:71], v[37:38], v[43:44], v[35:36]
	global_load_dwordx4 v[33:36], v[66:67], off
	v_lshlrev_b64 v[37:38], 4, v[13:14]
	v_add_nc_u32_e32 v14, 8, v65
	v_add_nc_u32_e32 v13, 0x120, v13
	v_lshlrev_b64 v[39:40], 4, v[14:15]
	v_add_co_u32 v37, vcc_lo, s2, v37
	v_add_co_ci_u32_e64 v38, null, s3, v38, vcc_lo
	v_add_co_u32 v41, vcc_lo, s4, v39
	v_add_co_ci_u32_e64 v42, null, s5, v40, vcc_lo
	global_load_dwordx4 v[37:40], v[37:38], off
	global_load_dwordx4 v[41:44], v[41:42], off
	s_waitcnt vmcnt(10)
	v_fma_f64 v[65:66], v[45:46], v[49:50], v[68:69]
	v_fma_f64 v[49:50], v[47:48], v[49:50], v[70:71]
	v_cmp_ge_i32_e32 vcc_lo, v11, v20
	s_or_b32 s10, vcc_lo, s10
	v_fma_f64 v[47:48], -v[47:48], v[51:52], v[65:66]
	v_fma_f64 v[45:46], v[45:46], v[51:52], v[49:50]
	s_waitcnt vmcnt(8)
	v_fma_f64 v[47:48], v[53:54], v[57:58], v[47:48]
	v_fma_f64 v[45:46], v[55:56], v[57:58], v[45:46]
	v_fma_f64 v[47:48], -v[55:56], v[59:60], v[47:48]
	v_fma_f64 v[45:46], v[53:54], v[59:60], v[45:46]
	s_waitcnt vmcnt(6)
	v_fma_f64 v[47:48], v[61:62], v[16:17], v[47:48]
	v_fma_f64 v[16:17], v[63:64], v[16:17], v[45:46]
	;; [unrolled: 5-line block ×5, first 2 shown]
	v_fma_f64 v[18:19], -v[39:40], v[43:44], v[18:19]
	v_fma_f64 v[16:17], v[37:38], v[43:44], v[16:17]
	s_andn2_b32 exec_lo, exec_lo, s10
	s_cbranch_execnz .LBB266_6
; %bb.7:
	s_or_b32 exec_lo, exec_lo, s10
.LBB266_8:
	s_or_b32 exec_lo, exec_lo, s9
	v_mbcnt_lo_u32_b32 v20, -1, 0
	v_xor_b32_e32 v11, 16, v20
	v_xor_b32_e32 v15, 8, v20
	v_cmp_gt_i32_e32 vcc_lo, 32, v11
	v_cndmask_b32_e32 v11, v20, v11, vcc_lo
	v_cmp_gt_i32_e32 vcc_lo, 32, v15
	v_lshlrev_b32_e32 v14, 2, v11
	v_cndmask_b32_e32 v15, v20, v15, vcc_lo
	ds_bpermute_b32 v11, v14, v18
	ds_bpermute_b32 v12, v14, v19
	ds_bpermute_b32 v13, v14, v16
	ds_bpermute_b32 v14, v14, v17
	s_waitcnt lgkmcnt(2)
	v_add_f64 v[11:12], v[18:19], v[11:12]
	v_lshlrev_b32_e32 v18, 2, v15
	s_waitcnt lgkmcnt(0)
	v_add_f64 v[13:14], v[16:17], v[13:14]
	ds_bpermute_b32 v15, v18, v11
	ds_bpermute_b32 v16, v18, v12
	;; [unrolled: 1-line block ×4, first 2 shown]
	s_waitcnt lgkmcnt(2)
	v_add_f64 v[11:12], v[11:12], v[15:16]
	v_xor_b32_e32 v15, 4, v20
	s_waitcnt lgkmcnt(0)
	v_add_f64 v[13:14], v[13:14], v[17:18]
	v_cmp_gt_i32_e32 vcc_lo, 32, v15
	v_cndmask_b32_e32 v15, v20, v15, vcc_lo
	v_lshlrev_b32_e32 v18, 2, v15
	ds_bpermute_b32 v15, v18, v11
	ds_bpermute_b32 v16, v18, v12
	;; [unrolled: 1-line block ×4, first 2 shown]
	s_waitcnt lgkmcnt(2)
	v_add_f64 v[11:12], v[11:12], v[15:16]
	v_xor_b32_e32 v15, 2, v20
	s_waitcnt lgkmcnt(0)
	v_add_f64 v[13:14], v[13:14], v[17:18]
	v_cmp_gt_i32_e32 vcc_lo, 32, v15
	v_cndmask_b32_e32 v15, v20, v15, vcc_lo
	v_lshlrev_b32_e32 v18, 2, v15
	ds_bpermute_b32 v15, v18, v11
	ds_bpermute_b32 v16, v18, v12
	;; [unrolled: 1-line block ×4, first 2 shown]
	s_waitcnt lgkmcnt(2)
	v_add_f64 v[11:12], v[11:12], v[15:16]
	v_xor_b32_e32 v15, 1, v20
	s_waitcnt lgkmcnt(0)
	v_add_f64 v[13:14], v[13:14], v[17:18]
	v_cmp_gt_i32_e32 vcc_lo, 32, v15
	v_cndmask_b32_e32 v15, v20, v15, vcc_lo
	v_cmp_eq_u32_e32 vcc_lo, 31, v0
	v_lshlrev_b32_e32 v18, 2, v15
	ds_bpermute_b32 v15, v18, v11
	ds_bpermute_b32 v16, v18, v12
	;; [unrolled: 1-line block ×4, first 2 shown]
	s_and_b32 exec_lo, exec_lo, vcc_lo
	s_cbranch_execz .LBB266_13
; %bb.9:
	s_waitcnt lgkmcnt(0)
	v_add_f64 v[13:14], v[13:14], v[17:18]
	v_add_f64 v[11:12], v[11:12], v[15:16]
	v_cmp_eq_f64_e32 vcc_lo, 0, v[1:2]
	v_cmp_eq_f64_e64 s0, 0, v[3:4]
	v_lshlrev_b64 v[9:10], 4, v[9:10]
	v_mul_f64 v[15:16], v[13:14], -v[7:8]
	v_mul_f64 v[13:14], v[5:6], v[13:14]
	s_and_b32 s0, vcc_lo, s0
	v_fma_f64 v[5:6], v[5:6], v[11:12], v[15:16]
	v_fma_f64 v[7:8], v[7:8], v[11:12], v[13:14]
	s_and_saveexec_b32 s1, s0
	s_xor_b32 s0, exec_lo, s1
	s_cbranch_execz .LBB266_11
; %bb.10:
	v_add_co_u32 v0, vcc_lo, s6, v9
	v_add_co_ci_u32_e64 v1, null, s7, v10, vcc_lo
                                        ; implicit-def: $vgpr9_vgpr10
	global_store_dwordx4 v[0:1], v[5:8], off
                                        ; implicit-def: $vgpr1_vgpr2
                                        ; implicit-def: $vgpr5_vgpr6
.LBB266_11:
	s_andn2_saveexec_b32 s0, s0
	s_cbranch_execz .LBB266_13
; %bb.12:
	v_add_co_u32 v13, vcc_lo, s6, v9
	v_add_co_ci_u32_e64 v14, null, s7, v10, vcc_lo
	global_load_dwordx4 v[9:12], v[13:14], off
	s_waitcnt vmcnt(0)
	v_fma_f64 v[5:6], v[1:2], v[9:10], v[5:6]
	v_fma_f64 v[7:8], v[3:4], v[9:10], v[7:8]
	v_fma_f64 v[3:4], -v[3:4], v[11:12], v[5:6]
	v_fma_f64 v[5:6], v[1:2], v[11:12], v[7:8]
	global_store_dwordx4 v[13:14], v[3:6], off
.LBB266_13:
	s_endpgm
	.section	.rodata,"a",@progbits
	.p2align	6, 0x0
	.amdhsa_kernel _ZN9rocsparseL19gebsrmvn_1xn_kernelILj128ELj9ELj32E21rocsparse_complex_numIdEEEvi20rocsparse_direction_NS_24const_host_device_scalarIT2_EEPKiS8_PKS5_SA_S6_PS5_21rocsparse_index_base_b
		.amdhsa_group_segment_fixed_size 0
		.amdhsa_private_segment_fixed_size 0
		.amdhsa_kernarg_size 88
		.amdhsa_user_sgpr_count 6
		.amdhsa_user_sgpr_private_segment_buffer 1
		.amdhsa_user_sgpr_dispatch_ptr 0
		.amdhsa_user_sgpr_queue_ptr 0
		.amdhsa_user_sgpr_kernarg_segment_ptr 1
		.amdhsa_user_sgpr_dispatch_id 0
		.amdhsa_user_sgpr_flat_scratch_init 0
		.amdhsa_user_sgpr_private_segment_size 0
		.amdhsa_wavefront_size32 1
		.amdhsa_uses_dynamic_stack 0
		.amdhsa_system_sgpr_private_segment_wavefront_offset 0
		.amdhsa_system_sgpr_workgroup_id_x 1
		.amdhsa_system_sgpr_workgroup_id_y 0
		.amdhsa_system_sgpr_workgroup_id_z 0
		.amdhsa_system_sgpr_workgroup_info 0
		.amdhsa_system_vgpr_workitem_id 0
		.amdhsa_next_free_vgpr 72
		.amdhsa_next_free_sgpr 13
		.amdhsa_reserve_vcc 1
		.amdhsa_reserve_flat_scratch 0
		.amdhsa_float_round_mode_32 0
		.amdhsa_float_round_mode_16_64 0
		.amdhsa_float_denorm_mode_32 3
		.amdhsa_float_denorm_mode_16_64 3
		.amdhsa_dx10_clamp 1
		.amdhsa_ieee_mode 1
		.amdhsa_fp16_overflow 0
		.amdhsa_workgroup_processor_mode 1
		.amdhsa_memory_ordered 1
		.amdhsa_forward_progress 1
		.amdhsa_shared_vgpr_count 0
		.amdhsa_exception_fp_ieee_invalid_op 0
		.amdhsa_exception_fp_denorm_src 0
		.amdhsa_exception_fp_ieee_div_zero 0
		.amdhsa_exception_fp_ieee_overflow 0
		.amdhsa_exception_fp_ieee_underflow 0
		.amdhsa_exception_fp_ieee_inexact 0
		.amdhsa_exception_int_div_zero 0
	.end_amdhsa_kernel
	.section	.text._ZN9rocsparseL19gebsrmvn_1xn_kernelILj128ELj9ELj32E21rocsparse_complex_numIdEEEvi20rocsparse_direction_NS_24const_host_device_scalarIT2_EEPKiS8_PKS5_SA_S6_PS5_21rocsparse_index_base_b,"axG",@progbits,_ZN9rocsparseL19gebsrmvn_1xn_kernelILj128ELj9ELj32E21rocsparse_complex_numIdEEEvi20rocsparse_direction_NS_24const_host_device_scalarIT2_EEPKiS8_PKS5_SA_S6_PS5_21rocsparse_index_base_b,comdat
.Lfunc_end266:
	.size	_ZN9rocsparseL19gebsrmvn_1xn_kernelILj128ELj9ELj32E21rocsparse_complex_numIdEEEvi20rocsparse_direction_NS_24const_host_device_scalarIT2_EEPKiS8_PKS5_SA_S6_PS5_21rocsparse_index_base_b, .Lfunc_end266-_ZN9rocsparseL19gebsrmvn_1xn_kernelILj128ELj9ELj32E21rocsparse_complex_numIdEEEvi20rocsparse_direction_NS_24const_host_device_scalarIT2_EEPKiS8_PKS5_SA_S6_PS5_21rocsparse_index_base_b
                                        ; -- End function
	.set _ZN9rocsparseL19gebsrmvn_1xn_kernelILj128ELj9ELj32E21rocsparse_complex_numIdEEEvi20rocsparse_direction_NS_24const_host_device_scalarIT2_EEPKiS8_PKS5_SA_S6_PS5_21rocsparse_index_base_b.num_vgpr, 72
	.set _ZN9rocsparseL19gebsrmvn_1xn_kernelILj128ELj9ELj32E21rocsparse_complex_numIdEEEvi20rocsparse_direction_NS_24const_host_device_scalarIT2_EEPKiS8_PKS5_SA_S6_PS5_21rocsparse_index_base_b.num_agpr, 0
	.set _ZN9rocsparseL19gebsrmvn_1xn_kernelILj128ELj9ELj32E21rocsparse_complex_numIdEEEvi20rocsparse_direction_NS_24const_host_device_scalarIT2_EEPKiS8_PKS5_SA_S6_PS5_21rocsparse_index_base_b.numbered_sgpr, 13
	.set _ZN9rocsparseL19gebsrmvn_1xn_kernelILj128ELj9ELj32E21rocsparse_complex_numIdEEEvi20rocsparse_direction_NS_24const_host_device_scalarIT2_EEPKiS8_PKS5_SA_S6_PS5_21rocsparse_index_base_b.num_named_barrier, 0
	.set _ZN9rocsparseL19gebsrmvn_1xn_kernelILj128ELj9ELj32E21rocsparse_complex_numIdEEEvi20rocsparse_direction_NS_24const_host_device_scalarIT2_EEPKiS8_PKS5_SA_S6_PS5_21rocsparse_index_base_b.private_seg_size, 0
	.set _ZN9rocsparseL19gebsrmvn_1xn_kernelILj128ELj9ELj32E21rocsparse_complex_numIdEEEvi20rocsparse_direction_NS_24const_host_device_scalarIT2_EEPKiS8_PKS5_SA_S6_PS5_21rocsparse_index_base_b.uses_vcc, 1
	.set _ZN9rocsparseL19gebsrmvn_1xn_kernelILj128ELj9ELj32E21rocsparse_complex_numIdEEEvi20rocsparse_direction_NS_24const_host_device_scalarIT2_EEPKiS8_PKS5_SA_S6_PS5_21rocsparse_index_base_b.uses_flat_scratch, 0
	.set _ZN9rocsparseL19gebsrmvn_1xn_kernelILj128ELj9ELj32E21rocsparse_complex_numIdEEEvi20rocsparse_direction_NS_24const_host_device_scalarIT2_EEPKiS8_PKS5_SA_S6_PS5_21rocsparse_index_base_b.has_dyn_sized_stack, 0
	.set _ZN9rocsparseL19gebsrmvn_1xn_kernelILj128ELj9ELj32E21rocsparse_complex_numIdEEEvi20rocsparse_direction_NS_24const_host_device_scalarIT2_EEPKiS8_PKS5_SA_S6_PS5_21rocsparse_index_base_b.has_recursion, 0
	.set _ZN9rocsparseL19gebsrmvn_1xn_kernelILj128ELj9ELj32E21rocsparse_complex_numIdEEEvi20rocsparse_direction_NS_24const_host_device_scalarIT2_EEPKiS8_PKS5_SA_S6_PS5_21rocsparse_index_base_b.has_indirect_call, 0
	.section	.AMDGPU.csdata,"",@progbits
; Kernel info:
; codeLenInByte = 1984
; TotalNumSgprs: 15
; NumVgprs: 72
; ScratchSize: 0
; MemoryBound: 0
; FloatMode: 240
; IeeeMode: 1
; LDSByteSize: 0 bytes/workgroup (compile time only)
; SGPRBlocks: 0
; VGPRBlocks: 8
; NumSGPRsForWavesPerEU: 15
; NumVGPRsForWavesPerEU: 72
; Occupancy: 12
; WaveLimiterHint : 1
; COMPUTE_PGM_RSRC2:SCRATCH_EN: 0
; COMPUTE_PGM_RSRC2:USER_SGPR: 6
; COMPUTE_PGM_RSRC2:TRAP_HANDLER: 0
; COMPUTE_PGM_RSRC2:TGID_X_EN: 1
; COMPUTE_PGM_RSRC2:TGID_Y_EN: 0
; COMPUTE_PGM_RSRC2:TGID_Z_EN: 0
; COMPUTE_PGM_RSRC2:TIDIG_COMP_CNT: 0
	.section	.text._ZN9rocsparseL19gebsrmvn_1xn_kernelILj128ELj9ELj64E21rocsparse_complex_numIdEEEvi20rocsparse_direction_NS_24const_host_device_scalarIT2_EEPKiS8_PKS5_SA_S6_PS5_21rocsparse_index_base_b,"axG",@progbits,_ZN9rocsparseL19gebsrmvn_1xn_kernelILj128ELj9ELj64E21rocsparse_complex_numIdEEEvi20rocsparse_direction_NS_24const_host_device_scalarIT2_EEPKiS8_PKS5_SA_S6_PS5_21rocsparse_index_base_b,comdat
	.globl	_ZN9rocsparseL19gebsrmvn_1xn_kernelILj128ELj9ELj64E21rocsparse_complex_numIdEEEvi20rocsparse_direction_NS_24const_host_device_scalarIT2_EEPKiS8_PKS5_SA_S6_PS5_21rocsparse_index_base_b ; -- Begin function _ZN9rocsparseL19gebsrmvn_1xn_kernelILj128ELj9ELj64E21rocsparse_complex_numIdEEEvi20rocsparse_direction_NS_24const_host_device_scalarIT2_EEPKiS8_PKS5_SA_S6_PS5_21rocsparse_index_base_b
	.p2align	8
	.type	_ZN9rocsparseL19gebsrmvn_1xn_kernelILj128ELj9ELj64E21rocsparse_complex_numIdEEEvi20rocsparse_direction_NS_24const_host_device_scalarIT2_EEPKiS8_PKS5_SA_S6_PS5_21rocsparse_index_base_b,@function
_ZN9rocsparseL19gebsrmvn_1xn_kernelILj128ELj9ELj64E21rocsparse_complex_numIdEEEvi20rocsparse_direction_NS_24const_host_device_scalarIT2_EEPKiS8_PKS5_SA_S6_PS5_21rocsparse_index_base_b: ; @_ZN9rocsparseL19gebsrmvn_1xn_kernelILj128ELj9ELj64E21rocsparse_complex_numIdEEEvi20rocsparse_direction_NS_24const_host_device_scalarIT2_EEPKiS8_PKS5_SA_S6_PS5_21rocsparse_index_base_b
; %bb.0:
	s_clause 0x1
	s_load_dwordx2 s[8:9], s[4:5], 0x50
	s_load_dwordx2 s[0:1], s[4:5], 0x8
	s_add_u32 s7, s4, 8
	s_addc_u32 s10, s5, 0
	s_add_u32 s11, s4, 56
	s_addc_u32 s12, s5, 0
	s_load_dwordx2 s[2:3], s[4:5], 0x38
	s_waitcnt lgkmcnt(0)
	s_bitcmp1_b32 s9, 0
	s_cselect_b32 s0, s7, s0
	s_cselect_b32 s1, s10, s1
	v_mov_b32_e32 v1, s0
	v_mov_b32_e32 v2, s1
	s_cselect_b32 s0, s11, s2
	s_cselect_b32 s1, s12, s3
	flat_load_dwordx4 v[5:8], v[1:2]
	v_mov_b32_e32 v1, s0
	v_mov_b32_e32 v2, s1
	flat_load_dwordx4 v[1:4], v[1:2]
	s_waitcnt vmcnt(1) lgkmcnt(1)
	v_cmp_eq_f64_e32 vcc_lo, 0, v[5:6]
	v_cmp_eq_f64_e64 s0, 0, v[7:8]
	s_and_b32 s2, vcc_lo, s0
	s_mov_b32 s0, -1
	s_and_saveexec_b32 s1, s2
	s_cbranch_execz .LBB267_2
; %bb.1:
	s_waitcnt vmcnt(0) lgkmcnt(0)
	v_cmp_neq_f64_e32 vcc_lo, 1.0, v[1:2]
	v_cmp_neq_f64_e64 s0, 0, v[3:4]
	s_or_b32 s0, vcc_lo, s0
	s_orn2_b32 s0, s0, exec_lo
.LBB267_2:
	s_or_b32 exec_lo, exec_lo, s1
	s_and_saveexec_b32 s1, s0
	s_cbranch_execz .LBB267_13
; %bb.3:
	s_load_dword s0, s[4:5], 0x0
	v_lshrrev_b32_e32 v9, 6, v0
	v_lshl_or_b32 v9, s6, 1, v9
	s_waitcnt lgkmcnt(0)
	v_cmp_gt_i32_e32 vcc_lo, s0, v9
	s_and_b32 exec_lo, exec_lo, vcc_lo
	s_cbranch_execz .LBB267_13
; %bb.4:
	s_clause 0x1
	s_load_dwordx2 s[0:1], s[4:5], 0x18
	s_load_dwordx2 s[6:7], s[4:5], 0x48
	v_ashrrev_i32_e32 v10, 31, v9
	v_and_b32_e32 v0, 63, v0
	v_mov_b32_e32 v16, 0
	v_mov_b32_e32 v18, 0
	;; [unrolled: 1-line block ×3, first 2 shown]
	v_lshlrev_b64 v[11:12], 2, v[9:10]
	v_subrev_nc_u32_e32 v13, s8, v0
	v_mov_b32_e32 v19, 0
	s_mov_b32 s9, exec_lo
	s_waitcnt lgkmcnt(0)
	v_add_co_u32 v11, vcc_lo, s0, v11
	v_add_co_ci_u32_e64 v12, null, s1, v12, vcc_lo
	global_load_dwordx2 v[11:12], v[11:12], off
	s_waitcnt vmcnt(0)
	v_subrev_nc_u32_e32 v20, s8, v12
	v_add_nc_u32_e32 v11, v11, v13
	v_cmpx_lt_i32_e64 v11, v20
	s_cbranch_execz .LBB267_8
; %bb.5:
	s_clause 0x1
	s_load_dwordx4 s[0:3], s[4:5], 0x20
	s_load_dwordx2 s[4:5], s[4:5], 0x30
	v_mad_u64_u32 v[13:14], null, v11, 9, 8
	v_mov_b32_e32 v16, 0
	v_mov_b32_e32 v18, 0
	;; [unrolled: 1-line block ×5, first 2 shown]
	s_mov_b32 s10, 0
.LBB267_6:                              ; =>This Inner Loop Header: Depth=1
	v_ashrrev_i32_e32 v12, 31, v11
	v_add_nc_u32_e32 v14, -8, v13
	v_mov_b32_e32 v66, v15
	v_lshlrev_b64 v[21:22], 2, v[11:12]
	v_add_nc_u32_e32 v11, 64, v11
	s_waitcnt lgkmcnt(0)
	v_add_co_u32 v21, vcc_lo, s0, v21
	v_add_co_ci_u32_e64 v22, null, s1, v22, vcc_lo
	global_load_dword v12, v[21:22], off
	v_lshlrev_b64 v[21:22], 4, v[14:15]
	v_add_nc_u32_e32 v14, -7, v13
	v_lshlrev_b64 v[23:24], 4, v[14:15]
	v_add_co_u32 v21, vcc_lo, s2, v21
	v_add_co_ci_u32_e64 v22, null, s3, v22, vcc_lo
	v_add_co_u32 v25, vcc_lo, s2, v23
	v_add_co_ci_u32_e64 v26, null, s3, v24, vcc_lo
	s_clause 0x1
	global_load_dwordx4 v[21:24], v[21:22], off
	global_load_dwordx4 v[25:28], v[25:26], off
	s_waitcnt vmcnt(2)
	v_subrev_nc_u32_e32 v12, s8, v12
	v_lshl_add_u32 v65, v12, 3, v12
	v_lshlrev_b64 v[29:30], 4, v[65:66]
	v_add_nc_u32_e32 v14, 1, v65
	v_lshlrev_b64 v[33:34], 4, v[14:15]
	v_add_co_u32 v29, vcc_lo, s4, v29
	v_add_co_ci_u32_e64 v30, null, s5, v30, vcc_lo
	v_add_nc_u32_e32 v14, -6, v13
	v_add_co_u32 v33, vcc_lo, s4, v33
	global_load_dwordx4 v[29:32], v[29:30], off
	v_add_co_ci_u32_e64 v34, null, s5, v34, vcc_lo
	v_lshlrev_b64 v[37:38], 4, v[14:15]
	v_add_nc_u32_e32 v14, 2, v65
	global_load_dwordx4 v[33:36], v[33:34], off
	v_lshlrev_b64 v[39:40], 4, v[14:15]
	v_add_co_u32 v37, vcc_lo, s2, v37
	v_add_co_ci_u32_e64 v38, null, s3, v38, vcc_lo
	v_add_nc_u32_e32 v14, -5, v13
	v_add_co_u32 v41, vcc_lo, s4, v39
	v_add_co_ci_u32_e64 v42, null, s5, v40, vcc_lo
	global_load_dwordx4 v[37:40], v[37:38], off
	global_load_dwordx4 v[41:44], v[41:42], off
	v_lshlrev_b64 v[45:46], 4, v[14:15]
	v_add_nc_u32_e32 v14, 3, v65
	v_lshlrev_b64 v[47:48], 4, v[14:15]
	v_add_co_u32 v45, vcc_lo, s2, v45
	v_add_co_ci_u32_e64 v46, null, s3, v46, vcc_lo
	v_add_nc_u32_e32 v14, -4, v13
	v_add_co_u32 v49, vcc_lo, s4, v47
	v_add_co_ci_u32_e64 v50, null, s5, v48, vcc_lo
	global_load_dwordx4 v[45:48], v[45:46], off
	global_load_dwordx4 v[49:52], v[49:50], off
	v_lshlrev_b64 v[53:54], 4, v[14:15]
	v_add_nc_u32_e32 v14, 4, v65
	;; [unrolled: 10-line block ×3, first 2 shown]
	v_lshlrev_b64 v[63:64], 4, v[14:15]
	v_add_co_u32 v61, vcc_lo, s2, v61
	v_add_co_ci_u32_e64 v62, null, s3, v62, vcc_lo
	v_add_nc_u32_e32 v14, -2, v13
	v_add_co_u32 v66, vcc_lo, s4, v63
	v_add_co_ci_u32_e64 v67, null, s5, v64, vcc_lo
	global_load_dwordx4 v[61:64], v[61:62], off
	s_waitcnt vmcnt(8)
	v_fma_f64 v[18:19], v[21:22], v[29:30], v[18:19]
	v_fma_f64 v[16:17], v[23:24], v[29:30], v[16:17]
	v_fma_f64 v[29:30], -v[23:24], v[31:32], v[18:19]
	v_fma_f64 v[31:32], v[21:22], v[31:32], v[16:17]
	global_load_dwordx4 v[16:19], v[66:67], off
	v_lshlrev_b64 v[21:22], 4, v[14:15]
	v_add_nc_u32_e32 v14, 6, v65
	v_lshlrev_b64 v[23:24], 4, v[14:15]
	v_add_co_u32 v21, vcc_lo, s2, v21
	v_add_co_ci_u32_e64 v22, null, s3, v22, vcc_lo
	v_add_nc_u32_e32 v14, -1, v13
	v_add_co_u32 v66, vcc_lo, s4, v23
	v_add_co_ci_u32_e64 v67, null, s5, v24, vcc_lo
	global_load_dwordx4 v[21:24], v[21:22], off
	s_waitcnt vmcnt(9)
	v_fma_f64 v[29:30], v[25:26], v[33:34], v[29:30]
	v_fma_f64 v[31:32], v[27:28], v[33:34], v[31:32]
	v_fma_f64 v[33:34], -v[27:28], v[35:36], v[29:30]
	v_fma_f64 v[35:36], v[25:26], v[35:36], v[31:32]
	global_load_dwordx4 v[25:28], v[66:67], off
	v_lshlrev_b64 v[29:30], 4, v[14:15]
	v_add_nc_u32_e32 v14, 7, v65
	v_lshlrev_b64 v[31:32], 4, v[14:15]
	v_add_co_u32 v29, vcc_lo, s2, v29
	v_add_co_ci_u32_e64 v30, null, s3, v30, vcc_lo
	v_mov_b32_e32 v14, v15
	v_add_co_u32 v66, vcc_lo, s4, v31
	v_add_co_ci_u32_e64 v67, null, s5, v32, vcc_lo
	global_load_dwordx4 v[29:32], v[29:30], off
	s_waitcnt vmcnt(9)
	v_fma_f64 v[33:34], v[37:38], v[41:42], v[33:34]
	v_fma_f64 v[35:36], v[39:40], v[41:42], v[35:36]
	v_fma_f64 v[68:69], -v[39:40], v[43:44], v[33:34]
	v_fma_f64 v[70:71], v[37:38], v[43:44], v[35:36]
	global_load_dwordx4 v[33:36], v[66:67], off
	v_lshlrev_b64 v[37:38], 4, v[13:14]
	v_add_nc_u32_e32 v14, 8, v65
	v_add_nc_u32_e32 v13, 0x240, v13
	v_lshlrev_b64 v[39:40], 4, v[14:15]
	v_add_co_u32 v37, vcc_lo, s2, v37
	v_add_co_ci_u32_e64 v38, null, s3, v38, vcc_lo
	v_add_co_u32 v41, vcc_lo, s4, v39
	v_add_co_ci_u32_e64 v42, null, s5, v40, vcc_lo
	global_load_dwordx4 v[37:40], v[37:38], off
	global_load_dwordx4 v[41:44], v[41:42], off
	s_waitcnt vmcnt(10)
	v_fma_f64 v[65:66], v[45:46], v[49:50], v[68:69]
	v_fma_f64 v[49:50], v[47:48], v[49:50], v[70:71]
	v_cmp_ge_i32_e32 vcc_lo, v11, v20
	s_or_b32 s10, vcc_lo, s10
	v_fma_f64 v[47:48], -v[47:48], v[51:52], v[65:66]
	v_fma_f64 v[45:46], v[45:46], v[51:52], v[49:50]
	s_waitcnt vmcnt(8)
	v_fma_f64 v[47:48], v[53:54], v[57:58], v[47:48]
	v_fma_f64 v[45:46], v[55:56], v[57:58], v[45:46]
	v_fma_f64 v[47:48], -v[55:56], v[59:60], v[47:48]
	v_fma_f64 v[45:46], v[53:54], v[59:60], v[45:46]
	s_waitcnt vmcnt(6)
	v_fma_f64 v[47:48], v[61:62], v[16:17], v[47:48]
	v_fma_f64 v[16:17], v[63:64], v[16:17], v[45:46]
	;; [unrolled: 5-line block ×5, first 2 shown]
	v_fma_f64 v[18:19], -v[39:40], v[43:44], v[18:19]
	v_fma_f64 v[16:17], v[37:38], v[43:44], v[16:17]
	s_andn2_b32 exec_lo, exec_lo, s10
	s_cbranch_execnz .LBB267_6
; %bb.7:
	s_or_b32 exec_lo, exec_lo, s10
.LBB267_8:
	s_or_b32 exec_lo, exec_lo, s9
	v_mbcnt_lo_u32_b32 v20, -1, 0
	v_or_b32_e32 v11, 32, v20
	v_xor_b32_e32 v15, 16, v20
	v_cmp_gt_i32_e32 vcc_lo, 32, v11
	v_cndmask_b32_e32 v11, v20, v11, vcc_lo
	v_cmp_gt_i32_e32 vcc_lo, 32, v15
	v_lshlrev_b32_e32 v14, 2, v11
	v_cndmask_b32_e32 v15, v20, v15, vcc_lo
	ds_bpermute_b32 v11, v14, v18
	ds_bpermute_b32 v12, v14, v19
	;; [unrolled: 1-line block ×4, first 2 shown]
	s_waitcnt lgkmcnt(2)
	v_add_f64 v[11:12], v[18:19], v[11:12]
	v_lshlrev_b32_e32 v18, 2, v15
	s_waitcnt lgkmcnt(0)
	v_add_f64 v[13:14], v[16:17], v[13:14]
	ds_bpermute_b32 v15, v18, v11
	ds_bpermute_b32 v16, v18, v12
	ds_bpermute_b32 v17, v18, v13
	ds_bpermute_b32 v18, v18, v14
	s_waitcnt lgkmcnt(2)
	v_add_f64 v[11:12], v[11:12], v[15:16]
	v_xor_b32_e32 v15, 8, v20
	s_waitcnt lgkmcnt(0)
	v_add_f64 v[13:14], v[13:14], v[17:18]
	v_cmp_gt_i32_e32 vcc_lo, 32, v15
	v_cndmask_b32_e32 v15, v20, v15, vcc_lo
	v_lshlrev_b32_e32 v18, 2, v15
	ds_bpermute_b32 v15, v18, v11
	ds_bpermute_b32 v16, v18, v12
	ds_bpermute_b32 v17, v18, v13
	ds_bpermute_b32 v18, v18, v14
	s_waitcnt lgkmcnt(2)
	v_add_f64 v[11:12], v[11:12], v[15:16]
	v_xor_b32_e32 v15, 4, v20
	s_waitcnt lgkmcnt(0)
	v_add_f64 v[13:14], v[13:14], v[17:18]
	v_cmp_gt_i32_e32 vcc_lo, 32, v15
	v_cndmask_b32_e32 v15, v20, v15, vcc_lo
	v_lshlrev_b32_e32 v18, 2, v15
	;; [unrolled: 12-line block ×3, first 2 shown]
	ds_bpermute_b32 v15, v18, v11
	ds_bpermute_b32 v16, v18, v12
	ds_bpermute_b32 v17, v18, v13
	ds_bpermute_b32 v18, v18, v14
	s_waitcnt lgkmcnt(2)
	v_add_f64 v[11:12], v[11:12], v[15:16]
	v_xor_b32_e32 v15, 1, v20
	s_waitcnt lgkmcnt(0)
	v_add_f64 v[13:14], v[13:14], v[17:18]
	v_cmp_gt_i32_e32 vcc_lo, 32, v15
	v_cndmask_b32_e32 v15, v20, v15, vcc_lo
	v_cmp_eq_u32_e32 vcc_lo, 63, v0
	v_lshlrev_b32_e32 v18, 2, v15
	ds_bpermute_b32 v15, v18, v11
	ds_bpermute_b32 v16, v18, v12
	;; [unrolled: 1-line block ×4, first 2 shown]
	s_and_b32 exec_lo, exec_lo, vcc_lo
	s_cbranch_execz .LBB267_13
; %bb.9:
	s_waitcnt lgkmcnt(0)
	v_add_f64 v[13:14], v[13:14], v[17:18]
	v_add_f64 v[11:12], v[11:12], v[15:16]
	v_cmp_eq_f64_e32 vcc_lo, 0, v[1:2]
	v_cmp_eq_f64_e64 s0, 0, v[3:4]
	v_lshlrev_b64 v[9:10], 4, v[9:10]
	v_mul_f64 v[15:16], v[13:14], -v[7:8]
	v_mul_f64 v[13:14], v[5:6], v[13:14]
	s_and_b32 s0, vcc_lo, s0
	v_fma_f64 v[5:6], v[5:6], v[11:12], v[15:16]
	v_fma_f64 v[7:8], v[7:8], v[11:12], v[13:14]
	s_and_saveexec_b32 s1, s0
	s_xor_b32 s0, exec_lo, s1
	s_cbranch_execz .LBB267_11
; %bb.10:
	v_add_co_u32 v0, vcc_lo, s6, v9
	v_add_co_ci_u32_e64 v1, null, s7, v10, vcc_lo
                                        ; implicit-def: $vgpr9_vgpr10
	global_store_dwordx4 v[0:1], v[5:8], off
                                        ; implicit-def: $vgpr1_vgpr2
                                        ; implicit-def: $vgpr5_vgpr6
.LBB267_11:
	s_andn2_saveexec_b32 s0, s0
	s_cbranch_execz .LBB267_13
; %bb.12:
	v_add_co_u32 v13, vcc_lo, s6, v9
	v_add_co_ci_u32_e64 v14, null, s7, v10, vcc_lo
	global_load_dwordx4 v[9:12], v[13:14], off
	s_waitcnt vmcnt(0)
	v_fma_f64 v[5:6], v[1:2], v[9:10], v[5:6]
	v_fma_f64 v[7:8], v[3:4], v[9:10], v[7:8]
	v_fma_f64 v[3:4], -v[3:4], v[11:12], v[5:6]
	v_fma_f64 v[5:6], v[1:2], v[11:12], v[7:8]
	global_store_dwordx4 v[13:14], v[3:6], off
.LBB267_13:
	s_endpgm
	.section	.rodata,"a",@progbits
	.p2align	6, 0x0
	.amdhsa_kernel _ZN9rocsparseL19gebsrmvn_1xn_kernelILj128ELj9ELj64E21rocsparse_complex_numIdEEEvi20rocsparse_direction_NS_24const_host_device_scalarIT2_EEPKiS8_PKS5_SA_S6_PS5_21rocsparse_index_base_b
		.amdhsa_group_segment_fixed_size 0
		.amdhsa_private_segment_fixed_size 0
		.amdhsa_kernarg_size 88
		.amdhsa_user_sgpr_count 6
		.amdhsa_user_sgpr_private_segment_buffer 1
		.amdhsa_user_sgpr_dispatch_ptr 0
		.amdhsa_user_sgpr_queue_ptr 0
		.amdhsa_user_sgpr_kernarg_segment_ptr 1
		.amdhsa_user_sgpr_dispatch_id 0
		.amdhsa_user_sgpr_flat_scratch_init 0
		.amdhsa_user_sgpr_private_segment_size 0
		.amdhsa_wavefront_size32 1
		.amdhsa_uses_dynamic_stack 0
		.amdhsa_system_sgpr_private_segment_wavefront_offset 0
		.amdhsa_system_sgpr_workgroup_id_x 1
		.amdhsa_system_sgpr_workgroup_id_y 0
		.amdhsa_system_sgpr_workgroup_id_z 0
		.amdhsa_system_sgpr_workgroup_info 0
		.amdhsa_system_vgpr_workitem_id 0
		.amdhsa_next_free_vgpr 72
		.amdhsa_next_free_sgpr 13
		.amdhsa_reserve_vcc 1
		.amdhsa_reserve_flat_scratch 0
		.amdhsa_float_round_mode_32 0
		.amdhsa_float_round_mode_16_64 0
		.amdhsa_float_denorm_mode_32 3
		.amdhsa_float_denorm_mode_16_64 3
		.amdhsa_dx10_clamp 1
		.amdhsa_ieee_mode 1
		.amdhsa_fp16_overflow 0
		.amdhsa_workgroup_processor_mode 1
		.amdhsa_memory_ordered 1
		.amdhsa_forward_progress 1
		.amdhsa_shared_vgpr_count 0
		.amdhsa_exception_fp_ieee_invalid_op 0
		.amdhsa_exception_fp_denorm_src 0
		.amdhsa_exception_fp_ieee_div_zero 0
		.amdhsa_exception_fp_ieee_overflow 0
		.amdhsa_exception_fp_ieee_underflow 0
		.amdhsa_exception_fp_ieee_inexact 0
		.amdhsa_exception_int_div_zero 0
	.end_amdhsa_kernel
	.section	.text._ZN9rocsparseL19gebsrmvn_1xn_kernelILj128ELj9ELj64E21rocsparse_complex_numIdEEEvi20rocsparse_direction_NS_24const_host_device_scalarIT2_EEPKiS8_PKS5_SA_S6_PS5_21rocsparse_index_base_b,"axG",@progbits,_ZN9rocsparseL19gebsrmvn_1xn_kernelILj128ELj9ELj64E21rocsparse_complex_numIdEEEvi20rocsparse_direction_NS_24const_host_device_scalarIT2_EEPKiS8_PKS5_SA_S6_PS5_21rocsparse_index_base_b,comdat
.Lfunc_end267:
	.size	_ZN9rocsparseL19gebsrmvn_1xn_kernelILj128ELj9ELj64E21rocsparse_complex_numIdEEEvi20rocsparse_direction_NS_24const_host_device_scalarIT2_EEPKiS8_PKS5_SA_S6_PS5_21rocsparse_index_base_b, .Lfunc_end267-_ZN9rocsparseL19gebsrmvn_1xn_kernelILj128ELj9ELj64E21rocsparse_complex_numIdEEEvi20rocsparse_direction_NS_24const_host_device_scalarIT2_EEPKiS8_PKS5_SA_S6_PS5_21rocsparse_index_base_b
                                        ; -- End function
	.set _ZN9rocsparseL19gebsrmvn_1xn_kernelILj128ELj9ELj64E21rocsparse_complex_numIdEEEvi20rocsparse_direction_NS_24const_host_device_scalarIT2_EEPKiS8_PKS5_SA_S6_PS5_21rocsparse_index_base_b.num_vgpr, 72
	.set _ZN9rocsparseL19gebsrmvn_1xn_kernelILj128ELj9ELj64E21rocsparse_complex_numIdEEEvi20rocsparse_direction_NS_24const_host_device_scalarIT2_EEPKiS8_PKS5_SA_S6_PS5_21rocsparse_index_base_b.num_agpr, 0
	.set _ZN9rocsparseL19gebsrmvn_1xn_kernelILj128ELj9ELj64E21rocsparse_complex_numIdEEEvi20rocsparse_direction_NS_24const_host_device_scalarIT2_EEPKiS8_PKS5_SA_S6_PS5_21rocsparse_index_base_b.numbered_sgpr, 13
	.set _ZN9rocsparseL19gebsrmvn_1xn_kernelILj128ELj9ELj64E21rocsparse_complex_numIdEEEvi20rocsparse_direction_NS_24const_host_device_scalarIT2_EEPKiS8_PKS5_SA_S6_PS5_21rocsparse_index_base_b.num_named_barrier, 0
	.set _ZN9rocsparseL19gebsrmvn_1xn_kernelILj128ELj9ELj64E21rocsparse_complex_numIdEEEvi20rocsparse_direction_NS_24const_host_device_scalarIT2_EEPKiS8_PKS5_SA_S6_PS5_21rocsparse_index_base_b.private_seg_size, 0
	.set _ZN9rocsparseL19gebsrmvn_1xn_kernelILj128ELj9ELj64E21rocsparse_complex_numIdEEEvi20rocsparse_direction_NS_24const_host_device_scalarIT2_EEPKiS8_PKS5_SA_S6_PS5_21rocsparse_index_base_b.uses_vcc, 1
	.set _ZN9rocsparseL19gebsrmvn_1xn_kernelILj128ELj9ELj64E21rocsparse_complex_numIdEEEvi20rocsparse_direction_NS_24const_host_device_scalarIT2_EEPKiS8_PKS5_SA_S6_PS5_21rocsparse_index_base_b.uses_flat_scratch, 0
	.set _ZN9rocsparseL19gebsrmvn_1xn_kernelILj128ELj9ELj64E21rocsparse_complex_numIdEEEvi20rocsparse_direction_NS_24const_host_device_scalarIT2_EEPKiS8_PKS5_SA_S6_PS5_21rocsparse_index_base_b.has_dyn_sized_stack, 0
	.set _ZN9rocsparseL19gebsrmvn_1xn_kernelILj128ELj9ELj64E21rocsparse_complex_numIdEEEvi20rocsparse_direction_NS_24const_host_device_scalarIT2_EEPKiS8_PKS5_SA_S6_PS5_21rocsparse_index_base_b.has_recursion, 0
	.set _ZN9rocsparseL19gebsrmvn_1xn_kernelILj128ELj9ELj64E21rocsparse_complex_numIdEEEvi20rocsparse_direction_NS_24const_host_device_scalarIT2_EEPKiS8_PKS5_SA_S6_PS5_21rocsparse_index_base_b.has_indirect_call, 0
	.section	.AMDGPU.csdata,"",@progbits
; Kernel info:
; codeLenInByte = 2056
; TotalNumSgprs: 15
; NumVgprs: 72
; ScratchSize: 0
; MemoryBound: 0
; FloatMode: 240
; IeeeMode: 1
; LDSByteSize: 0 bytes/workgroup (compile time only)
; SGPRBlocks: 0
; VGPRBlocks: 8
; NumSGPRsForWavesPerEU: 15
; NumVGPRsForWavesPerEU: 72
; Occupancy: 12
; WaveLimiterHint : 1
; COMPUTE_PGM_RSRC2:SCRATCH_EN: 0
; COMPUTE_PGM_RSRC2:USER_SGPR: 6
; COMPUTE_PGM_RSRC2:TRAP_HANDLER: 0
; COMPUTE_PGM_RSRC2:TGID_X_EN: 1
; COMPUTE_PGM_RSRC2:TGID_Y_EN: 0
; COMPUTE_PGM_RSRC2:TGID_Z_EN: 0
; COMPUTE_PGM_RSRC2:TIDIG_COMP_CNT: 0
	.section	.text._ZN9rocsparseL19gebsrmvn_1xn_kernelILj128ELj10ELj4E21rocsparse_complex_numIdEEEvi20rocsparse_direction_NS_24const_host_device_scalarIT2_EEPKiS8_PKS5_SA_S6_PS5_21rocsparse_index_base_b,"axG",@progbits,_ZN9rocsparseL19gebsrmvn_1xn_kernelILj128ELj10ELj4E21rocsparse_complex_numIdEEEvi20rocsparse_direction_NS_24const_host_device_scalarIT2_EEPKiS8_PKS5_SA_S6_PS5_21rocsparse_index_base_b,comdat
	.globl	_ZN9rocsparseL19gebsrmvn_1xn_kernelILj128ELj10ELj4E21rocsparse_complex_numIdEEEvi20rocsparse_direction_NS_24const_host_device_scalarIT2_EEPKiS8_PKS5_SA_S6_PS5_21rocsparse_index_base_b ; -- Begin function _ZN9rocsparseL19gebsrmvn_1xn_kernelILj128ELj10ELj4E21rocsparse_complex_numIdEEEvi20rocsparse_direction_NS_24const_host_device_scalarIT2_EEPKiS8_PKS5_SA_S6_PS5_21rocsparse_index_base_b
	.p2align	8
	.type	_ZN9rocsparseL19gebsrmvn_1xn_kernelILj128ELj10ELj4E21rocsparse_complex_numIdEEEvi20rocsparse_direction_NS_24const_host_device_scalarIT2_EEPKiS8_PKS5_SA_S6_PS5_21rocsparse_index_base_b,@function
_ZN9rocsparseL19gebsrmvn_1xn_kernelILj128ELj10ELj4E21rocsparse_complex_numIdEEEvi20rocsparse_direction_NS_24const_host_device_scalarIT2_EEPKiS8_PKS5_SA_S6_PS5_21rocsparse_index_base_b: ; @_ZN9rocsparseL19gebsrmvn_1xn_kernelILj128ELj10ELj4E21rocsparse_complex_numIdEEEvi20rocsparse_direction_NS_24const_host_device_scalarIT2_EEPKiS8_PKS5_SA_S6_PS5_21rocsparse_index_base_b
; %bb.0:
	s_clause 0x1
	s_load_dwordx2 s[8:9], s[4:5], 0x50
	s_load_dwordx2 s[0:1], s[4:5], 0x8
	s_add_u32 s7, s4, 8
	s_addc_u32 s10, s5, 0
	s_add_u32 s11, s4, 56
	s_addc_u32 s12, s5, 0
	s_load_dwordx2 s[2:3], s[4:5], 0x38
	s_waitcnt lgkmcnt(0)
	s_bitcmp1_b32 s9, 0
	s_cselect_b32 s0, s7, s0
	s_cselect_b32 s1, s10, s1
	v_mov_b32_e32 v1, s0
	v_mov_b32_e32 v2, s1
	s_cselect_b32 s0, s11, s2
	s_cselect_b32 s1, s12, s3
	flat_load_dwordx4 v[5:8], v[1:2]
	v_mov_b32_e32 v1, s0
	v_mov_b32_e32 v2, s1
	flat_load_dwordx4 v[1:4], v[1:2]
	s_waitcnt vmcnt(1) lgkmcnt(1)
	v_cmp_eq_f64_e32 vcc_lo, 0, v[5:6]
	v_cmp_eq_f64_e64 s0, 0, v[7:8]
	s_and_b32 s2, vcc_lo, s0
	s_mov_b32 s0, -1
	s_and_saveexec_b32 s1, s2
	s_cbranch_execz .LBB268_2
; %bb.1:
	s_waitcnt vmcnt(0) lgkmcnt(0)
	v_cmp_neq_f64_e32 vcc_lo, 1.0, v[1:2]
	v_cmp_neq_f64_e64 s0, 0, v[3:4]
	s_or_b32 s0, vcc_lo, s0
	s_orn2_b32 s0, s0, exec_lo
.LBB268_2:
	s_or_b32 exec_lo, exec_lo, s1
	s_and_saveexec_b32 s1, s0
	s_cbranch_execz .LBB268_13
; %bb.3:
	s_load_dword s0, s[4:5], 0x0
	v_lshrrev_b32_e32 v9, 2, v0
	v_lshl_or_b32 v9, s6, 5, v9
	s_waitcnt lgkmcnt(0)
	v_cmp_gt_i32_e32 vcc_lo, s0, v9
	s_and_b32 exec_lo, exec_lo, vcc_lo
	s_cbranch_execz .LBB268_13
; %bb.4:
	s_clause 0x1
	s_load_dwordx2 s[0:1], s[4:5], 0x18
	s_load_dwordx2 s[6:7], s[4:5], 0x48
	v_ashrrev_i32_e32 v10, 31, v9
	v_and_b32_e32 v0, 3, v0
	v_mov_b32_e32 v16, 0
	v_mov_b32_e32 v18, 0
	;; [unrolled: 1-line block ×3, first 2 shown]
	v_lshlrev_b64 v[11:12], 2, v[9:10]
	v_subrev_nc_u32_e32 v13, s8, v0
	v_mov_b32_e32 v19, 0
	s_mov_b32 s9, exec_lo
	s_waitcnt lgkmcnt(0)
	v_add_co_u32 v11, vcc_lo, s0, v11
	v_add_co_ci_u32_e64 v12, null, s1, v12, vcc_lo
	global_load_dwordx2 v[11:12], v[11:12], off
	s_waitcnt vmcnt(0)
	v_subrev_nc_u32_e32 v20, s8, v12
	v_add_nc_u32_e32 v11, v11, v13
	v_cmpx_lt_i32_e64 v11, v20
	s_cbranch_execz .LBB268_8
; %bb.5:
	s_clause 0x1
	s_load_dwordx4 s[0:3], s[4:5], 0x20
	s_load_dwordx2 s[4:5], s[4:5], 0x30
	v_mad_u64_u32 v[13:14], null, v11, 10, 9
	v_mov_b32_e32 v16, 0
	v_mov_b32_e32 v18, 0
	;; [unrolled: 1-line block ×5, first 2 shown]
	s_mov_b32 s10, 0
.LBB268_6:                              ; =>This Inner Loop Header: Depth=1
	v_ashrrev_i32_e32 v12, 31, v11
	v_add_nc_u32_e32 v14, -9, v13
	v_mov_b32_e32 v66, v15
	v_lshlrev_b64 v[21:22], 2, v[11:12]
	v_add_nc_u32_e32 v11, 4, v11
	s_waitcnt lgkmcnt(0)
	v_add_co_u32 v21, vcc_lo, s0, v21
	v_add_co_ci_u32_e64 v22, null, s1, v22, vcc_lo
	global_load_dword v12, v[21:22], off
	v_lshlrev_b64 v[21:22], 4, v[14:15]
	v_add_nc_u32_e32 v14, -7, v13
	v_lshlrev_b64 v[23:24], 4, v[14:15]
	v_add_co_u32 v25, vcc_lo, s2, v21
	v_add_co_ci_u32_e64 v26, null, s3, v22, vcc_lo
	v_add_co_u32 v29, vcc_lo, s2, v23
	v_add_co_ci_u32_e64 v30, null, s3, v24, vcc_lo
	s_clause 0x2
	global_load_dwordx4 v[21:24], v[25:26], off offset:16
	global_load_dwordx4 v[25:28], v[25:26], off
	global_load_dwordx4 v[29:32], v[29:30], off
	s_waitcnt vmcnt(3)
	v_subrev_nc_u32_e32 v12, s8, v12
	v_mul_lo_u32 v65, v12, 10
	v_lshlrev_b64 v[33:34], 4, v[65:66]
	v_add_nc_u32_e32 v14, 2, v65
	v_lshlrev_b64 v[41:42], 4, v[14:15]
	v_add_co_u32 v37, vcc_lo, s4, v33
	v_add_co_ci_u32_e64 v38, null, s5, v34, vcc_lo
	v_add_nc_u32_e32 v14, -6, v13
	v_add_co_u32 v47, vcc_lo, s4, v41
	s_clause 0x1
	global_load_dwordx4 v[33:36], v[37:38], off
	global_load_dwordx4 v[37:40], v[37:38], off offset:16
	v_add_co_ci_u32_e64 v48, null, s5, v42, vcc_lo
	v_lshlrev_b64 v[45:46], 4, v[14:15]
	v_add_nc_u32_e32 v14, -5, v13
	global_load_dwordx4 v[41:44], v[47:48], off
	v_add_co_u32 v49, vcc_lo, s2, v45
	v_add_co_ci_u32_e64 v50, null, s3, v46, vcc_lo
	global_load_dwordx4 v[45:48], v[47:48], off offset:16
	global_load_dwordx4 v[49:52], v[49:50], off
	v_lshlrev_b64 v[53:54], 4, v[14:15]
	v_add_nc_u32_e32 v14, 4, v65
	v_lshlrev_b64 v[55:56], 4, v[14:15]
	v_add_co_u32 v53, vcc_lo, s2, v53
	v_add_co_ci_u32_e64 v54, null, s3, v54, vcc_lo
	v_add_nc_u32_e32 v14, -4, v13
	v_add_co_u32 v61, vcc_lo, s4, v55
	v_add_co_ci_u32_e64 v62, null, s5, v56, vcc_lo
	global_load_dwordx4 v[53:56], v[53:54], off
	global_load_dwordx4 v[57:60], v[61:62], off
	v_lshlrev_b64 v[63:64], 4, v[14:15]
	v_add_nc_u32_e32 v14, -3, v13
	v_add_co_u32 v66, vcc_lo, s2, v63
	v_add_co_ci_u32_e64 v67, null, s3, v64, vcc_lo
	global_load_dwordx4 v[61:64], v[61:62], off offset:16
	s_waitcnt vmcnt(7)
	v_fma_f64 v[18:19], v[25:26], v[33:34], v[18:19]
	v_fma_f64 v[16:17], v[27:28], v[33:34], v[16:17]
	v_fma_f64 v[33:34], -v[27:28], v[35:36], v[18:19]
	v_fma_f64 v[35:36], v[25:26], v[35:36], v[16:17]
	global_load_dwordx4 v[16:19], v[66:67], off
	v_lshlrev_b64 v[25:26], 4, v[14:15]
	v_add_nc_u32_e32 v14, 6, v65
	v_lshlrev_b64 v[27:28], 4, v[14:15]
	v_add_co_u32 v25, vcc_lo, s2, v25
	v_add_co_ci_u32_e64 v26, null, s3, v26, vcc_lo
	v_add_nc_u32_e32 v14, -2, v13
	v_add_co_u32 v66, vcc_lo, s4, v27
	v_add_co_ci_u32_e64 v67, null, s5, v28, vcc_lo
	global_load_dwordx4 v[25:28], v[25:26], off
	s_waitcnt vmcnt(8)
	v_fma_f64 v[33:34], v[21:22], v[37:38], v[33:34]
	v_fma_f64 v[35:36], v[23:24], v[37:38], v[35:36]
	v_fma_f64 v[37:38], -v[23:24], v[39:40], v[33:34]
	v_fma_f64 v[39:40], v[21:22], v[39:40], v[35:36]
	global_load_dwordx4 v[21:24], v[66:67], off
	v_lshlrev_b64 v[33:34], 4, v[14:15]
	v_add_nc_u32_e32 v14, -1, v13
	v_add_co_u32 v68, vcc_lo, s2, v33
	v_add_co_ci_u32_e64 v69, null, s3, v34, vcc_lo
	global_load_dwordx4 v[33:36], v[66:67], off offset:16
	s_waitcnt vmcnt(9)
	v_fma_f64 v[37:38], v[29:30], v[41:42], v[37:38]
	v_fma_f64 v[39:40], v[31:32], v[41:42], v[39:40]
	v_fma_f64 v[41:42], -v[31:32], v[43:44], v[37:38]
	v_fma_f64 v[43:44], v[29:30], v[43:44], v[39:40]
	global_load_dwordx4 v[29:32], v[68:69], off
	v_lshlrev_b64 v[37:38], 4, v[14:15]
	v_add_nc_u32_e32 v14, 8, v65
	v_lshlrev_b64 v[39:40], 4, v[14:15]
	v_add_co_u32 v37, vcc_lo, s2, v37
	v_add_co_ci_u32_e64 v38, null, s3, v38, vcc_lo
	v_mov_b32_e32 v14, v15
	v_add_co_u32 v65, vcc_lo, s4, v39
	v_add_co_ci_u32_e64 v66, null, s5, v40, vcc_lo
	global_load_dwordx4 v[37:40], v[37:38], off
	s_waitcnt vmcnt(9)
	v_fma_f64 v[41:42], v[49:50], v[45:46], v[41:42]
	v_fma_f64 v[43:44], v[51:52], v[45:46], v[43:44]
	v_lshlrev_b64 v[45:46], 4, v[13:14]
	v_add_nc_u32_e32 v13, 40, v13
	v_add_co_u32 v45, vcc_lo, s2, v45
	v_add_co_ci_u32_e64 v46, null, s3, v46, vcc_lo
	v_cmp_ge_i32_e32 vcc_lo, v11, v20
	s_or_b32 s10, vcc_lo, s10
	v_fma_f64 v[67:68], -v[51:52], v[47:48], v[41:42]
	v_fma_f64 v[69:70], v[49:50], v[47:48], v[43:44]
	global_load_dwordx4 v[41:44], v[65:66], off
	global_load_dwordx4 v[45:48], v[45:46], off
	global_load_dwordx4 v[49:52], v[65:66], off offset:16
	s_waitcnt vmcnt(10)
	v_fma_f64 v[65:66], v[53:54], v[57:58], v[67:68]
	v_fma_f64 v[57:58], v[55:56], v[57:58], v[69:70]
	v_fma_f64 v[55:56], -v[55:56], v[59:60], v[65:66]
	v_fma_f64 v[53:54], v[53:54], v[59:60], v[57:58]
	s_waitcnt vmcnt(8)
	v_fma_f64 v[55:56], v[16:17], v[61:62], v[55:56]
	v_fma_f64 v[53:54], v[18:19], v[61:62], v[53:54]
	v_fma_f64 v[18:19], -v[18:19], v[63:64], v[55:56]
	v_fma_f64 v[16:17], v[16:17], v[63:64], v[53:54]
	;; [unrolled: 5-line block ×6, first 2 shown]
	s_andn2_b32 exec_lo, exec_lo, s10
	s_cbranch_execnz .LBB268_6
; %bb.7:
	s_or_b32 exec_lo, exec_lo, s10
.LBB268_8:
	s_or_b32 exec_lo, exec_lo, s9
	v_mbcnt_lo_u32_b32 v15, -1, 0
	v_xor_b32_e32 v11, 2, v15
	v_cmp_gt_i32_e32 vcc_lo, 32, v11
	v_cndmask_b32_e32 v11, v15, v11, vcc_lo
	v_lshlrev_b32_e32 v14, 2, v11
	ds_bpermute_b32 v11, v14, v18
	ds_bpermute_b32 v12, v14, v19
	;; [unrolled: 1-line block ×4, first 2 shown]
	s_waitcnt lgkmcnt(2)
	v_add_f64 v[11:12], v[18:19], v[11:12]
	s_waitcnt lgkmcnt(0)
	v_add_f64 v[13:14], v[16:17], v[13:14]
	v_xor_b32_e32 v16, 1, v15
	v_cmp_gt_i32_e32 vcc_lo, 32, v16
	v_cndmask_b32_e32 v15, v15, v16, vcc_lo
	v_cmp_eq_u32_e32 vcc_lo, 3, v0
	v_lshlrev_b32_e32 v18, 2, v15
	ds_bpermute_b32 v15, v18, v11
	ds_bpermute_b32 v16, v18, v12
	;; [unrolled: 1-line block ×4, first 2 shown]
	s_and_b32 exec_lo, exec_lo, vcc_lo
	s_cbranch_execz .LBB268_13
; %bb.9:
	s_waitcnt lgkmcnt(0)
	v_add_f64 v[13:14], v[13:14], v[17:18]
	v_add_f64 v[11:12], v[11:12], v[15:16]
	v_cmp_eq_f64_e32 vcc_lo, 0, v[1:2]
	v_cmp_eq_f64_e64 s0, 0, v[3:4]
	v_lshlrev_b64 v[9:10], 4, v[9:10]
	v_mul_f64 v[15:16], v[13:14], -v[7:8]
	v_mul_f64 v[13:14], v[5:6], v[13:14]
	s_and_b32 s0, vcc_lo, s0
	v_fma_f64 v[5:6], v[5:6], v[11:12], v[15:16]
	v_fma_f64 v[7:8], v[7:8], v[11:12], v[13:14]
	s_and_saveexec_b32 s1, s0
	s_xor_b32 s0, exec_lo, s1
	s_cbranch_execz .LBB268_11
; %bb.10:
	v_add_co_u32 v0, vcc_lo, s6, v9
	v_add_co_ci_u32_e64 v1, null, s7, v10, vcc_lo
                                        ; implicit-def: $vgpr9_vgpr10
	global_store_dwordx4 v[0:1], v[5:8], off
                                        ; implicit-def: $vgpr1_vgpr2
                                        ; implicit-def: $vgpr5_vgpr6
.LBB268_11:
	s_andn2_saveexec_b32 s0, s0
	s_cbranch_execz .LBB268_13
; %bb.12:
	v_add_co_u32 v13, vcc_lo, s6, v9
	v_add_co_ci_u32_e64 v14, null, s7, v10, vcc_lo
	global_load_dwordx4 v[9:12], v[13:14], off
	s_waitcnt vmcnt(0)
	v_fma_f64 v[5:6], v[1:2], v[9:10], v[5:6]
	v_fma_f64 v[7:8], v[3:4], v[9:10], v[7:8]
	v_fma_f64 v[3:4], -v[3:4], v[11:12], v[5:6]
	v_fma_f64 v[5:6], v[1:2], v[11:12], v[7:8]
	global_store_dwordx4 v[13:14], v[3:6], off
.LBB268_13:
	s_endpgm
	.section	.rodata,"a",@progbits
	.p2align	6, 0x0
	.amdhsa_kernel _ZN9rocsparseL19gebsrmvn_1xn_kernelILj128ELj10ELj4E21rocsparse_complex_numIdEEEvi20rocsparse_direction_NS_24const_host_device_scalarIT2_EEPKiS8_PKS5_SA_S6_PS5_21rocsparse_index_base_b
		.amdhsa_group_segment_fixed_size 0
		.amdhsa_private_segment_fixed_size 0
		.amdhsa_kernarg_size 88
		.amdhsa_user_sgpr_count 6
		.amdhsa_user_sgpr_private_segment_buffer 1
		.amdhsa_user_sgpr_dispatch_ptr 0
		.amdhsa_user_sgpr_queue_ptr 0
		.amdhsa_user_sgpr_kernarg_segment_ptr 1
		.amdhsa_user_sgpr_dispatch_id 0
		.amdhsa_user_sgpr_flat_scratch_init 0
		.amdhsa_user_sgpr_private_segment_size 0
		.amdhsa_wavefront_size32 1
		.amdhsa_uses_dynamic_stack 0
		.amdhsa_system_sgpr_private_segment_wavefront_offset 0
		.amdhsa_system_sgpr_workgroup_id_x 1
		.amdhsa_system_sgpr_workgroup_id_y 0
		.amdhsa_system_sgpr_workgroup_id_z 0
		.amdhsa_system_sgpr_workgroup_info 0
		.amdhsa_system_vgpr_workitem_id 0
		.amdhsa_next_free_vgpr 71
		.amdhsa_next_free_sgpr 13
		.amdhsa_reserve_vcc 1
		.amdhsa_reserve_flat_scratch 0
		.amdhsa_float_round_mode_32 0
		.amdhsa_float_round_mode_16_64 0
		.amdhsa_float_denorm_mode_32 3
		.amdhsa_float_denorm_mode_16_64 3
		.amdhsa_dx10_clamp 1
		.amdhsa_ieee_mode 1
		.amdhsa_fp16_overflow 0
		.amdhsa_workgroup_processor_mode 1
		.amdhsa_memory_ordered 1
		.amdhsa_forward_progress 1
		.amdhsa_shared_vgpr_count 0
		.amdhsa_exception_fp_ieee_invalid_op 0
		.amdhsa_exception_fp_denorm_src 0
		.amdhsa_exception_fp_ieee_div_zero 0
		.amdhsa_exception_fp_ieee_overflow 0
		.amdhsa_exception_fp_ieee_underflow 0
		.amdhsa_exception_fp_ieee_inexact 0
		.amdhsa_exception_int_div_zero 0
	.end_amdhsa_kernel
	.section	.text._ZN9rocsparseL19gebsrmvn_1xn_kernelILj128ELj10ELj4E21rocsparse_complex_numIdEEEvi20rocsparse_direction_NS_24const_host_device_scalarIT2_EEPKiS8_PKS5_SA_S6_PS5_21rocsparse_index_base_b,"axG",@progbits,_ZN9rocsparseL19gebsrmvn_1xn_kernelILj128ELj10ELj4E21rocsparse_complex_numIdEEEvi20rocsparse_direction_NS_24const_host_device_scalarIT2_EEPKiS8_PKS5_SA_S6_PS5_21rocsparse_index_base_b,comdat
.Lfunc_end268:
	.size	_ZN9rocsparseL19gebsrmvn_1xn_kernelILj128ELj10ELj4E21rocsparse_complex_numIdEEEvi20rocsparse_direction_NS_24const_host_device_scalarIT2_EEPKiS8_PKS5_SA_S6_PS5_21rocsparse_index_base_b, .Lfunc_end268-_ZN9rocsparseL19gebsrmvn_1xn_kernelILj128ELj10ELj4E21rocsparse_complex_numIdEEEvi20rocsparse_direction_NS_24const_host_device_scalarIT2_EEPKiS8_PKS5_SA_S6_PS5_21rocsparse_index_base_b
                                        ; -- End function
	.set _ZN9rocsparseL19gebsrmvn_1xn_kernelILj128ELj10ELj4E21rocsparse_complex_numIdEEEvi20rocsparse_direction_NS_24const_host_device_scalarIT2_EEPKiS8_PKS5_SA_S6_PS5_21rocsparse_index_base_b.num_vgpr, 71
	.set _ZN9rocsparseL19gebsrmvn_1xn_kernelILj128ELj10ELj4E21rocsparse_complex_numIdEEEvi20rocsparse_direction_NS_24const_host_device_scalarIT2_EEPKiS8_PKS5_SA_S6_PS5_21rocsparse_index_base_b.num_agpr, 0
	.set _ZN9rocsparseL19gebsrmvn_1xn_kernelILj128ELj10ELj4E21rocsparse_complex_numIdEEEvi20rocsparse_direction_NS_24const_host_device_scalarIT2_EEPKiS8_PKS5_SA_S6_PS5_21rocsparse_index_base_b.numbered_sgpr, 13
	.set _ZN9rocsparseL19gebsrmvn_1xn_kernelILj128ELj10ELj4E21rocsparse_complex_numIdEEEvi20rocsparse_direction_NS_24const_host_device_scalarIT2_EEPKiS8_PKS5_SA_S6_PS5_21rocsparse_index_base_b.num_named_barrier, 0
	.set _ZN9rocsparseL19gebsrmvn_1xn_kernelILj128ELj10ELj4E21rocsparse_complex_numIdEEEvi20rocsparse_direction_NS_24const_host_device_scalarIT2_EEPKiS8_PKS5_SA_S6_PS5_21rocsparse_index_base_b.private_seg_size, 0
	.set _ZN9rocsparseL19gebsrmvn_1xn_kernelILj128ELj10ELj4E21rocsparse_complex_numIdEEEvi20rocsparse_direction_NS_24const_host_device_scalarIT2_EEPKiS8_PKS5_SA_S6_PS5_21rocsparse_index_base_b.uses_vcc, 1
	.set _ZN9rocsparseL19gebsrmvn_1xn_kernelILj128ELj10ELj4E21rocsparse_complex_numIdEEEvi20rocsparse_direction_NS_24const_host_device_scalarIT2_EEPKiS8_PKS5_SA_S6_PS5_21rocsparse_index_base_b.uses_flat_scratch, 0
	.set _ZN9rocsparseL19gebsrmvn_1xn_kernelILj128ELj10ELj4E21rocsparse_complex_numIdEEEvi20rocsparse_direction_NS_24const_host_device_scalarIT2_EEPKiS8_PKS5_SA_S6_PS5_21rocsparse_index_base_b.has_dyn_sized_stack, 0
	.set _ZN9rocsparseL19gebsrmvn_1xn_kernelILj128ELj10ELj4E21rocsparse_complex_numIdEEEvi20rocsparse_direction_NS_24const_host_device_scalarIT2_EEPKiS8_PKS5_SA_S6_PS5_21rocsparse_index_base_b.has_recursion, 0
	.set _ZN9rocsparseL19gebsrmvn_1xn_kernelILj128ELj10ELj4E21rocsparse_complex_numIdEEEvi20rocsparse_direction_NS_24const_host_device_scalarIT2_EEPKiS8_PKS5_SA_S6_PS5_21rocsparse_index_base_b.has_indirect_call, 0
	.section	.AMDGPU.csdata,"",@progbits
; Kernel info:
; codeLenInByte = 1708
; TotalNumSgprs: 15
; NumVgprs: 71
; ScratchSize: 0
; MemoryBound: 0
; FloatMode: 240
; IeeeMode: 1
; LDSByteSize: 0 bytes/workgroup (compile time only)
; SGPRBlocks: 0
; VGPRBlocks: 8
; NumSGPRsForWavesPerEU: 15
; NumVGPRsForWavesPerEU: 71
; Occupancy: 12
; WaveLimiterHint : 1
; COMPUTE_PGM_RSRC2:SCRATCH_EN: 0
; COMPUTE_PGM_RSRC2:USER_SGPR: 6
; COMPUTE_PGM_RSRC2:TRAP_HANDLER: 0
; COMPUTE_PGM_RSRC2:TGID_X_EN: 1
; COMPUTE_PGM_RSRC2:TGID_Y_EN: 0
; COMPUTE_PGM_RSRC2:TGID_Z_EN: 0
; COMPUTE_PGM_RSRC2:TIDIG_COMP_CNT: 0
	.section	.text._ZN9rocsparseL19gebsrmvn_1xn_kernelILj128ELj10ELj8E21rocsparse_complex_numIdEEEvi20rocsparse_direction_NS_24const_host_device_scalarIT2_EEPKiS8_PKS5_SA_S6_PS5_21rocsparse_index_base_b,"axG",@progbits,_ZN9rocsparseL19gebsrmvn_1xn_kernelILj128ELj10ELj8E21rocsparse_complex_numIdEEEvi20rocsparse_direction_NS_24const_host_device_scalarIT2_EEPKiS8_PKS5_SA_S6_PS5_21rocsparse_index_base_b,comdat
	.globl	_ZN9rocsparseL19gebsrmvn_1xn_kernelILj128ELj10ELj8E21rocsparse_complex_numIdEEEvi20rocsparse_direction_NS_24const_host_device_scalarIT2_EEPKiS8_PKS5_SA_S6_PS5_21rocsparse_index_base_b ; -- Begin function _ZN9rocsparseL19gebsrmvn_1xn_kernelILj128ELj10ELj8E21rocsparse_complex_numIdEEEvi20rocsparse_direction_NS_24const_host_device_scalarIT2_EEPKiS8_PKS5_SA_S6_PS5_21rocsparse_index_base_b
	.p2align	8
	.type	_ZN9rocsparseL19gebsrmvn_1xn_kernelILj128ELj10ELj8E21rocsparse_complex_numIdEEEvi20rocsparse_direction_NS_24const_host_device_scalarIT2_EEPKiS8_PKS5_SA_S6_PS5_21rocsparse_index_base_b,@function
_ZN9rocsparseL19gebsrmvn_1xn_kernelILj128ELj10ELj8E21rocsparse_complex_numIdEEEvi20rocsparse_direction_NS_24const_host_device_scalarIT2_EEPKiS8_PKS5_SA_S6_PS5_21rocsparse_index_base_b: ; @_ZN9rocsparseL19gebsrmvn_1xn_kernelILj128ELj10ELj8E21rocsparse_complex_numIdEEEvi20rocsparse_direction_NS_24const_host_device_scalarIT2_EEPKiS8_PKS5_SA_S6_PS5_21rocsparse_index_base_b
; %bb.0:
	s_clause 0x1
	s_load_dwordx2 s[8:9], s[4:5], 0x50
	s_load_dwordx2 s[0:1], s[4:5], 0x8
	s_add_u32 s7, s4, 8
	s_addc_u32 s10, s5, 0
	s_add_u32 s11, s4, 56
	s_addc_u32 s12, s5, 0
	s_load_dwordx2 s[2:3], s[4:5], 0x38
	s_waitcnt lgkmcnt(0)
	s_bitcmp1_b32 s9, 0
	s_cselect_b32 s0, s7, s0
	s_cselect_b32 s1, s10, s1
	v_mov_b32_e32 v1, s0
	v_mov_b32_e32 v2, s1
	s_cselect_b32 s0, s11, s2
	s_cselect_b32 s1, s12, s3
	flat_load_dwordx4 v[5:8], v[1:2]
	v_mov_b32_e32 v1, s0
	v_mov_b32_e32 v2, s1
	flat_load_dwordx4 v[1:4], v[1:2]
	s_waitcnt vmcnt(1) lgkmcnt(1)
	v_cmp_eq_f64_e32 vcc_lo, 0, v[5:6]
	v_cmp_eq_f64_e64 s0, 0, v[7:8]
	s_and_b32 s2, vcc_lo, s0
	s_mov_b32 s0, -1
	s_and_saveexec_b32 s1, s2
	s_cbranch_execz .LBB269_2
; %bb.1:
	s_waitcnt vmcnt(0) lgkmcnt(0)
	v_cmp_neq_f64_e32 vcc_lo, 1.0, v[1:2]
	v_cmp_neq_f64_e64 s0, 0, v[3:4]
	s_or_b32 s0, vcc_lo, s0
	s_orn2_b32 s0, s0, exec_lo
.LBB269_2:
	s_or_b32 exec_lo, exec_lo, s1
	s_and_saveexec_b32 s1, s0
	s_cbranch_execz .LBB269_13
; %bb.3:
	s_load_dword s0, s[4:5], 0x0
	v_lshrrev_b32_e32 v9, 3, v0
	v_lshl_or_b32 v9, s6, 4, v9
	s_waitcnt lgkmcnt(0)
	v_cmp_gt_i32_e32 vcc_lo, s0, v9
	s_and_b32 exec_lo, exec_lo, vcc_lo
	s_cbranch_execz .LBB269_13
; %bb.4:
	s_clause 0x1
	s_load_dwordx2 s[0:1], s[4:5], 0x18
	s_load_dwordx2 s[6:7], s[4:5], 0x48
	v_ashrrev_i32_e32 v10, 31, v9
	v_and_b32_e32 v0, 7, v0
	v_mov_b32_e32 v16, 0
	v_mov_b32_e32 v18, 0
	;; [unrolled: 1-line block ×3, first 2 shown]
	v_lshlrev_b64 v[11:12], 2, v[9:10]
	v_subrev_nc_u32_e32 v13, s8, v0
	v_mov_b32_e32 v19, 0
	s_mov_b32 s9, exec_lo
	s_waitcnt lgkmcnt(0)
	v_add_co_u32 v11, vcc_lo, s0, v11
	v_add_co_ci_u32_e64 v12, null, s1, v12, vcc_lo
	global_load_dwordx2 v[11:12], v[11:12], off
	s_waitcnt vmcnt(0)
	v_subrev_nc_u32_e32 v20, s8, v12
	v_add_nc_u32_e32 v11, v11, v13
	v_cmpx_lt_i32_e64 v11, v20
	s_cbranch_execz .LBB269_8
; %bb.5:
	s_clause 0x1
	s_load_dwordx4 s[0:3], s[4:5], 0x20
	s_load_dwordx2 s[4:5], s[4:5], 0x30
	v_mad_u64_u32 v[13:14], null, v11, 10, 9
	v_mov_b32_e32 v16, 0
	v_mov_b32_e32 v18, 0
	;; [unrolled: 1-line block ×5, first 2 shown]
	s_mov_b32 s10, 0
.LBB269_6:                              ; =>This Inner Loop Header: Depth=1
	v_ashrrev_i32_e32 v12, 31, v11
	v_add_nc_u32_e32 v14, -9, v13
	v_mov_b32_e32 v66, v15
	v_lshlrev_b64 v[21:22], 2, v[11:12]
	v_add_nc_u32_e32 v11, 8, v11
	s_waitcnt lgkmcnt(0)
	v_add_co_u32 v21, vcc_lo, s0, v21
	v_add_co_ci_u32_e64 v22, null, s1, v22, vcc_lo
	global_load_dword v12, v[21:22], off
	v_lshlrev_b64 v[21:22], 4, v[14:15]
	v_add_nc_u32_e32 v14, -7, v13
	v_lshlrev_b64 v[23:24], 4, v[14:15]
	v_add_co_u32 v25, vcc_lo, s2, v21
	v_add_co_ci_u32_e64 v26, null, s3, v22, vcc_lo
	v_add_co_u32 v29, vcc_lo, s2, v23
	v_add_co_ci_u32_e64 v30, null, s3, v24, vcc_lo
	s_clause 0x2
	global_load_dwordx4 v[21:24], v[25:26], off offset:16
	global_load_dwordx4 v[25:28], v[25:26], off
	global_load_dwordx4 v[29:32], v[29:30], off
	s_waitcnt vmcnt(3)
	v_subrev_nc_u32_e32 v12, s8, v12
	v_mul_lo_u32 v65, v12, 10
	v_lshlrev_b64 v[33:34], 4, v[65:66]
	v_add_nc_u32_e32 v14, 2, v65
	v_lshlrev_b64 v[41:42], 4, v[14:15]
	v_add_co_u32 v37, vcc_lo, s4, v33
	v_add_co_ci_u32_e64 v38, null, s5, v34, vcc_lo
	v_add_nc_u32_e32 v14, -6, v13
	v_add_co_u32 v47, vcc_lo, s4, v41
	s_clause 0x1
	global_load_dwordx4 v[33:36], v[37:38], off
	global_load_dwordx4 v[37:40], v[37:38], off offset:16
	v_add_co_ci_u32_e64 v48, null, s5, v42, vcc_lo
	v_lshlrev_b64 v[45:46], 4, v[14:15]
	v_add_nc_u32_e32 v14, -5, v13
	global_load_dwordx4 v[41:44], v[47:48], off
	v_add_co_u32 v49, vcc_lo, s2, v45
	v_add_co_ci_u32_e64 v50, null, s3, v46, vcc_lo
	global_load_dwordx4 v[45:48], v[47:48], off offset:16
	global_load_dwordx4 v[49:52], v[49:50], off
	v_lshlrev_b64 v[53:54], 4, v[14:15]
	v_add_nc_u32_e32 v14, 4, v65
	v_lshlrev_b64 v[55:56], 4, v[14:15]
	v_add_co_u32 v53, vcc_lo, s2, v53
	v_add_co_ci_u32_e64 v54, null, s3, v54, vcc_lo
	v_add_nc_u32_e32 v14, -4, v13
	v_add_co_u32 v61, vcc_lo, s4, v55
	v_add_co_ci_u32_e64 v62, null, s5, v56, vcc_lo
	global_load_dwordx4 v[53:56], v[53:54], off
	global_load_dwordx4 v[57:60], v[61:62], off
	v_lshlrev_b64 v[63:64], 4, v[14:15]
	v_add_nc_u32_e32 v14, -3, v13
	v_add_co_u32 v66, vcc_lo, s2, v63
	v_add_co_ci_u32_e64 v67, null, s3, v64, vcc_lo
	global_load_dwordx4 v[61:64], v[61:62], off offset:16
	s_waitcnt vmcnt(7)
	v_fma_f64 v[18:19], v[25:26], v[33:34], v[18:19]
	v_fma_f64 v[16:17], v[27:28], v[33:34], v[16:17]
	v_fma_f64 v[33:34], -v[27:28], v[35:36], v[18:19]
	v_fma_f64 v[35:36], v[25:26], v[35:36], v[16:17]
	global_load_dwordx4 v[16:19], v[66:67], off
	v_lshlrev_b64 v[25:26], 4, v[14:15]
	v_add_nc_u32_e32 v14, 6, v65
	v_lshlrev_b64 v[27:28], 4, v[14:15]
	v_add_co_u32 v25, vcc_lo, s2, v25
	v_add_co_ci_u32_e64 v26, null, s3, v26, vcc_lo
	v_add_nc_u32_e32 v14, -2, v13
	v_add_co_u32 v66, vcc_lo, s4, v27
	v_add_co_ci_u32_e64 v67, null, s5, v28, vcc_lo
	global_load_dwordx4 v[25:28], v[25:26], off
	s_waitcnt vmcnt(8)
	v_fma_f64 v[33:34], v[21:22], v[37:38], v[33:34]
	v_fma_f64 v[35:36], v[23:24], v[37:38], v[35:36]
	v_fma_f64 v[37:38], -v[23:24], v[39:40], v[33:34]
	v_fma_f64 v[39:40], v[21:22], v[39:40], v[35:36]
	global_load_dwordx4 v[21:24], v[66:67], off
	v_lshlrev_b64 v[33:34], 4, v[14:15]
	v_add_nc_u32_e32 v14, -1, v13
	v_add_co_u32 v68, vcc_lo, s2, v33
	v_add_co_ci_u32_e64 v69, null, s3, v34, vcc_lo
	global_load_dwordx4 v[33:36], v[66:67], off offset:16
	s_waitcnt vmcnt(9)
	v_fma_f64 v[37:38], v[29:30], v[41:42], v[37:38]
	v_fma_f64 v[39:40], v[31:32], v[41:42], v[39:40]
	v_fma_f64 v[41:42], -v[31:32], v[43:44], v[37:38]
	v_fma_f64 v[43:44], v[29:30], v[43:44], v[39:40]
	global_load_dwordx4 v[29:32], v[68:69], off
	v_lshlrev_b64 v[37:38], 4, v[14:15]
	v_add_nc_u32_e32 v14, 8, v65
	v_lshlrev_b64 v[39:40], 4, v[14:15]
	v_add_co_u32 v37, vcc_lo, s2, v37
	v_add_co_ci_u32_e64 v38, null, s3, v38, vcc_lo
	v_mov_b32_e32 v14, v15
	v_add_co_u32 v65, vcc_lo, s4, v39
	v_add_co_ci_u32_e64 v66, null, s5, v40, vcc_lo
	global_load_dwordx4 v[37:40], v[37:38], off
	s_waitcnt vmcnt(9)
	v_fma_f64 v[41:42], v[49:50], v[45:46], v[41:42]
	v_fma_f64 v[43:44], v[51:52], v[45:46], v[43:44]
	v_lshlrev_b64 v[45:46], 4, v[13:14]
	v_add_nc_u32_e32 v13, 0x50, v13
	v_add_co_u32 v45, vcc_lo, s2, v45
	v_add_co_ci_u32_e64 v46, null, s3, v46, vcc_lo
	v_cmp_ge_i32_e32 vcc_lo, v11, v20
	s_or_b32 s10, vcc_lo, s10
	v_fma_f64 v[67:68], -v[51:52], v[47:48], v[41:42]
	v_fma_f64 v[69:70], v[49:50], v[47:48], v[43:44]
	global_load_dwordx4 v[41:44], v[65:66], off
	global_load_dwordx4 v[45:48], v[45:46], off
	global_load_dwordx4 v[49:52], v[65:66], off offset:16
	s_waitcnt vmcnt(10)
	v_fma_f64 v[65:66], v[53:54], v[57:58], v[67:68]
	v_fma_f64 v[57:58], v[55:56], v[57:58], v[69:70]
	v_fma_f64 v[55:56], -v[55:56], v[59:60], v[65:66]
	v_fma_f64 v[53:54], v[53:54], v[59:60], v[57:58]
	s_waitcnt vmcnt(8)
	v_fma_f64 v[55:56], v[16:17], v[61:62], v[55:56]
	v_fma_f64 v[53:54], v[18:19], v[61:62], v[53:54]
	v_fma_f64 v[18:19], -v[18:19], v[63:64], v[55:56]
	v_fma_f64 v[16:17], v[16:17], v[63:64], v[53:54]
	s_waitcnt vmcnt(6)
	v_fma_f64 v[18:19], v[25:26], v[21:22], v[18:19]
	v_fma_f64 v[16:17], v[27:28], v[21:22], v[16:17]
	v_fma_f64 v[18:19], -v[27:28], v[23:24], v[18:19]
	v_fma_f64 v[16:17], v[25:26], v[23:24], v[16:17]
	s_waitcnt vmcnt(4)
	v_fma_f64 v[18:19], v[29:30], v[33:34], v[18:19]
	v_fma_f64 v[16:17], v[31:32], v[33:34], v[16:17]
	v_fma_f64 v[18:19], -v[31:32], v[35:36], v[18:19]
	v_fma_f64 v[16:17], v[29:30], v[35:36], v[16:17]
	s_waitcnt vmcnt(2)
	v_fma_f64 v[18:19], v[37:38], v[41:42], v[18:19]
	v_fma_f64 v[16:17], v[39:40], v[41:42], v[16:17]
	v_fma_f64 v[18:19], -v[39:40], v[43:44], v[18:19]
	v_fma_f64 v[16:17], v[37:38], v[43:44], v[16:17]
	s_waitcnt vmcnt(0)
	v_fma_f64 v[18:19], v[45:46], v[49:50], v[18:19]
	v_fma_f64 v[16:17], v[47:48], v[49:50], v[16:17]
	v_fma_f64 v[18:19], -v[47:48], v[51:52], v[18:19]
	v_fma_f64 v[16:17], v[45:46], v[51:52], v[16:17]
	s_andn2_b32 exec_lo, exec_lo, s10
	s_cbranch_execnz .LBB269_6
; %bb.7:
	s_or_b32 exec_lo, exec_lo, s10
.LBB269_8:
	s_or_b32 exec_lo, exec_lo, s9
	v_mbcnt_lo_u32_b32 v20, -1, 0
	v_xor_b32_e32 v11, 4, v20
	v_xor_b32_e32 v15, 2, v20
	v_cmp_gt_i32_e32 vcc_lo, 32, v11
	v_cndmask_b32_e32 v11, v20, v11, vcc_lo
	v_cmp_gt_i32_e32 vcc_lo, 32, v15
	v_lshlrev_b32_e32 v14, 2, v11
	v_cndmask_b32_e32 v15, v20, v15, vcc_lo
	ds_bpermute_b32 v11, v14, v18
	ds_bpermute_b32 v12, v14, v19
	ds_bpermute_b32 v13, v14, v16
	ds_bpermute_b32 v14, v14, v17
	s_waitcnt lgkmcnt(2)
	v_add_f64 v[11:12], v[18:19], v[11:12]
	v_lshlrev_b32_e32 v18, 2, v15
	s_waitcnt lgkmcnt(0)
	v_add_f64 v[13:14], v[16:17], v[13:14]
	ds_bpermute_b32 v15, v18, v11
	ds_bpermute_b32 v16, v18, v12
	;; [unrolled: 1-line block ×4, first 2 shown]
	s_waitcnt lgkmcnt(2)
	v_add_f64 v[11:12], v[11:12], v[15:16]
	v_xor_b32_e32 v15, 1, v20
	s_waitcnt lgkmcnt(0)
	v_add_f64 v[13:14], v[13:14], v[17:18]
	v_cmp_gt_i32_e32 vcc_lo, 32, v15
	v_cndmask_b32_e32 v15, v20, v15, vcc_lo
	v_cmp_eq_u32_e32 vcc_lo, 7, v0
	v_lshlrev_b32_e32 v18, 2, v15
	ds_bpermute_b32 v15, v18, v11
	ds_bpermute_b32 v16, v18, v12
	;; [unrolled: 1-line block ×4, first 2 shown]
	s_and_b32 exec_lo, exec_lo, vcc_lo
	s_cbranch_execz .LBB269_13
; %bb.9:
	s_waitcnt lgkmcnt(0)
	v_add_f64 v[13:14], v[13:14], v[17:18]
	v_add_f64 v[11:12], v[11:12], v[15:16]
	v_cmp_eq_f64_e32 vcc_lo, 0, v[1:2]
	v_cmp_eq_f64_e64 s0, 0, v[3:4]
	v_lshlrev_b64 v[9:10], 4, v[9:10]
	v_mul_f64 v[15:16], v[13:14], -v[7:8]
	v_mul_f64 v[13:14], v[5:6], v[13:14]
	s_and_b32 s0, vcc_lo, s0
	v_fma_f64 v[5:6], v[5:6], v[11:12], v[15:16]
	v_fma_f64 v[7:8], v[7:8], v[11:12], v[13:14]
	s_and_saveexec_b32 s1, s0
	s_xor_b32 s0, exec_lo, s1
	s_cbranch_execz .LBB269_11
; %bb.10:
	v_add_co_u32 v0, vcc_lo, s6, v9
	v_add_co_ci_u32_e64 v1, null, s7, v10, vcc_lo
                                        ; implicit-def: $vgpr9_vgpr10
	global_store_dwordx4 v[0:1], v[5:8], off
                                        ; implicit-def: $vgpr1_vgpr2
                                        ; implicit-def: $vgpr5_vgpr6
.LBB269_11:
	s_andn2_saveexec_b32 s0, s0
	s_cbranch_execz .LBB269_13
; %bb.12:
	v_add_co_u32 v13, vcc_lo, s6, v9
	v_add_co_ci_u32_e64 v14, null, s7, v10, vcc_lo
	global_load_dwordx4 v[9:12], v[13:14], off
	s_waitcnt vmcnt(0)
	v_fma_f64 v[5:6], v[1:2], v[9:10], v[5:6]
	v_fma_f64 v[7:8], v[3:4], v[9:10], v[7:8]
	v_fma_f64 v[3:4], -v[3:4], v[11:12], v[5:6]
	v_fma_f64 v[5:6], v[1:2], v[11:12], v[7:8]
	global_store_dwordx4 v[13:14], v[3:6], off
.LBB269_13:
	s_endpgm
	.section	.rodata,"a",@progbits
	.p2align	6, 0x0
	.amdhsa_kernel _ZN9rocsparseL19gebsrmvn_1xn_kernelILj128ELj10ELj8E21rocsparse_complex_numIdEEEvi20rocsparse_direction_NS_24const_host_device_scalarIT2_EEPKiS8_PKS5_SA_S6_PS5_21rocsparse_index_base_b
		.amdhsa_group_segment_fixed_size 0
		.amdhsa_private_segment_fixed_size 0
		.amdhsa_kernarg_size 88
		.amdhsa_user_sgpr_count 6
		.amdhsa_user_sgpr_private_segment_buffer 1
		.amdhsa_user_sgpr_dispatch_ptr 0
		.amdhsa_user_sgpr_queue_ptr 0
		.amdhsa_user_sgpr_kernarg_segment_ptr 1
		.amdhsa_user_sgpr_dispatch_id 0
		.amdhsa_user_sgpr_flat_scratch_init 0
		.amdhsa_user_sgpr_private_segment_size 0
		.amdhsa_wavefront_size32 1
		.amdhsa_uses_dynamic_stack 0
		.amdhsa_system_sgpr_private_segment_wavefront_offset 0
		.amdhsa_system_sgpr_workgroup_id_x 1
		.amdhsa_system_sgpr_workgroup_id_y 0
		.amdhsa_system_sgpr_workgroup_id_z 0
		.amdhsa_system_sgpr_workgroup_info 0
		.amdhsa_system_vgpr_workitem_id 0
		.amdhsa_next_free_vgpr 71
		.amdhsa_next_free_sgpr 13
		.amdhsa_reserve_vcc 1
		.amdhsa_reserve_flat_scratch 0
		.amdhsa_float_round_mode_32 0
		.amdhsa_float_round_mode_16_64 0
		.amdhsa_float_denorm_mode_32 3
		.amdhsa_float_denorm_mode_16_64 3
		.amdhsa_dx10_clamp 1
		.amdhsa_ieee_mode 1
		.amdhsa_fp16_overflow 0
		.amdhsa_workgroup_processor_mode 1
		.amdhsa_memory_ordered 1
		.amdhsa_forward_progress 1
		.amdhsa_shared_vgpr_count 0
		.amdhsa_exception_fp_ieee_invalid_op 0
		.amdhsa_exception_fp_denorm_src 0
		.amdhsa_exception_fp_ieee_div_zero 0
		.amdhsa_exception_fp_ieee_overflow 0
		.amdhsa_exception_fp_ieee_underflow 0
		.amdhsa_exception_fp_ieee_inexact 0
		.amdhsa_exception_int_div_zero 0
	.end_amdhsa_kernel
	.section	.text._ZN9rocsparseL19gebsrmvn_1xn_kernelILj128ELj10ELj8E21rocsparse_complex_numIdEEEvi20rocsparse_direction_NS_24const_host_device_scalarIT2_EEPKiS8_PKS5_SA_S6_PS5_21rocsparse_index_base_b,"axG",@progbits,_ZN9rocsparseL19gebsrmvn_1xn_kernelILj128ELj10ELj8E21rocsparse_complex_numIdEEEvi20rocsparse_direction_NS_24const_host_device_scalarIT2_EEPKiS8_PKS5_SA_S6_PS5_21rocsparse_index_base_b,comdat
.Lfunc_end269:
	.size	_ZN9rocsparseL19gebsrmvn_1xn_kernelILj128ELj10ELj8E21rocsparse_complex_numIdEEEvi20rocsparse_direction_NS_24const_host_device_scalarIT2_EEPKiS8_PKS5_SA_S6_PS5_21rocsparse_index_base_b, .Lfunc_end269-_ZN9rocsparseL19gebsrmvn_1xn_kernelILj128ELj10ELj8E21rocsparse_complex_numIdEEEvi20rocsparse_direction_NS_24const_host_device_scalarIT2_EEPKiS8_PKS5_SA_S6_PS5_21rocsparse_index_base_b
                                        ; -- End function
	.set _ZN9rocsparseL19gebsrmvn_1xn_kernelILj128ELj10ELj8E21rocsparse_complex_numIdEEEvi20rocsparse_direction_NS_24const_host_device_scalarIT2_EEPKiS8_PKS5_SA_S6_PS5_21rocsparse_index_base_b.num_vgpr, 71
	.set _ZN9rocsparseL19gebsrmvn_1xn_kernelILj128ELj10ELj8E21rocsparse_complex_numIdEEEvi20rocsparse_direction_NS_24const_host_device_scalarIT2_EEPKiS8_PKS5_SA_S6_PS5_21rocsparse_index_base_b.num_agpr, 0
	.set _ZN9rocsparseL19gebsrmvn_1xn_kernelILj128ELj10ELj8E21rocsparse_complex_numIdEEEvi20rocsparse_direction_NS_24const_host_device_scalarIT2_EEPKiS8_PKS5_SA_S6_PS5_21rocsparse_index_base_b.numbered_sgpr, 13
	.set _ZN9rocsparseL19gebsrmvn_1xn_kernelILj128ELj10ELj8E21rocsparse_complex_numIdEEEvi20rocsparse_direction_NS_24const_host_device_scalarIT2_EEPKiS8_PKS5_SA_S6_PS5_21rocsparse_index_base_b.num_named_barrier, 0
	.set _ZN9rocsparseL19gebsrmvn_1xn_kernelILj128ELj10ELj8E21rocsparse_complex_numIdEEEvi20rocsparse_direction_NS_24const_host_device_scalarIT2_EEPKiS8_PKS5_SA_S6_PS5_21rocsparse_index_base_b.private_seg_size, 0
	.set _ZN9rocsparseL19gebsrmvn_1xn_kernelILj128ELj10ELj8E21rocsparse_complex_numIdEEEvi20rocsparse_direction_NS_24const_host_device_scalarIT2_EEPKiS8_PKS5_SA_S6_PS5_21rocsparse_index_base_b.uses_vcc, 1
	.set _ZN9rocsparseL19gebsrmvn_1xn_kernelILj128ELj10ELj8E21rocsparse_complex_numIdEEEvi20rocsparse_direction_NS_24const_host_device_scalarIT2_EEPKiS8_PKS5_SA_S6_PS5_21rocsparse_index_base_b.uses_flat_scratch, 0
	.set _ZN9rocsparseL19gebsrmvn_1xn_kernelILj128ELj10ELj8E21rocsparse_complex_numIdEEEvi20rocsparse_direction_NS_24const_host_device_scalarIT2_EEPKiS8_PKS5_SA_S6_PS5_21rocsparse_index_base_b.has_dyn_sized_stack, 0
	.set _ZN9rocsparseL19gebsrmvn_1xn_kernelILj128ELj10ELj8E21rocsparse_complex_numIdEEEvi20rocsparse_direction_NS_24const_host_device_scalarIT2_EEPKiS8_PKS5_SA_S6_PS5_21rocsparse_index_base_b.has_recursion, 0
	.set _ZN9rocsparseL19gebsrmvn_1xn_kernelILj128ELj10ELj8E21rocsparse_complex_numIdEEEvi20rocsparse_direction_NS_24const_host_device_scalarIT2_EEPKiS8_PKS5_SA_S6_PS5_21rocsparse_index_base_b.has_indirect_call, 0
	.section	.AMDGPU.csdata,"",@progbits
; Kernel info:
; codeLenInByte = 1784
; TotalNumSgprs: 15
; NumVgprs: 71
; ScratchSize: 0
; MemoryBound: 0
; FloatMode: 240
; IeeeMode: 1
; LDSByteSize: 0 bytes/workgroup (compile time only)
; SGPRBlocks: 0
; VGPRBlocks: 8
; NumSGPRsForWavesPerEU: 15
; NumVGPRsForWavesPerEU: 71
; Occupancy: 12
; WaveLimiterHint : 1
; COMPUTE_PGM_RSRC2:SCRATCH_EN: 0
; COMPUTE_PGM_RSRC2:USER_SGPR: 6
; COMPUTE_PGM_RSRC2:TRAP_HANDLER: 0
; COMPUTE_PGM_RSRC2:TGID_X_EN: 1
; COMPUTE_PGM_RSRC2:TGID_Y_EN: 0
; COMPUTE_PGM_RSRC2:TGID_Z_EN: 0
; COMPUTE_PGM_RSRC2:TIDIG_COMP_CNT: 0
	.section	.text._ZN9rocsparseL19gebsrmvn_1xn_kernelILj128ELj10ELj16E21rocsparse_complex_numIdEEEvi20rocsparse_direction_NS_24const_host_device_scalarIT2_EEPKiS8_PKS5_SA_S6_PS5_21rocsparse_index_base_b,"axG",@progbits,_ZN9rocsparseL19gebsrmvn_1xn_kernelILj128ELj10ELj16E21rocsparse_complex_numIdEEEvi20rocsparse_direction_NS_24const_host_device_scalarIT2_EEPKiS8_PKS5_SA_S6_PS5_21rocsparse_index_base_b,comdat
	.globl	_ZN9rocsparseL19gebsrmvn_1xn_kernelILj128ELj10ELj16E21rocsparse_complex_numIdEEEvi20rocsparse_direction_NS_24const_host_device_scalarIT2_EEPKiS8_PKS5_SA_S6_PS5_21rocsparse_index_base_b ; -- Begin function _ZN9rocsparseL19gebsrmvn_1xn_kernelILj128ELj10ELj16E21rocsparse_complex_numIdEEEvi20rocsparse_direction_NS_24const_host_device_scalarIT2_EEPKiS8_PKS5_SA_S6_PS5_21rocsparse_index_base_b
	.p2align	8
	.type	_ZN9rocsparseL19gebsrmvn_1xn_kernelILj128ELj10ELj16E21rocsparse_complex_numIdEEEvi20rocsparse_direction_NS_24const_host_device_scalarIT2_EEPKiS8_PKS5_SA_S6_PS5_21rocsparse_index_base_b,@function
_ZN9rocsparseL19gebsrmvn_1xn_kernelILj128ELj10ELj16E21rocsparse_complex_numIdEEEvi20rocsparse_direction_NS_24const_host_device_scalarIT2_EEPKiS8_PKS5_SA_S6_PS5_21rocsparse_index_base_b: ; @_ZN9rocsparseL19gebsrmvn_1xn_kernelILj128ELj10ELj16E21rocsparse_complex_numIdEEEvi20rocsparse_direction_NS_24const_host_device_scalarIT2_EEPKiS8_PKS5_SA_S6_PS5_21rocsparse_index_base_b
; %bb.0:
	s_clause 0x1
	s_load_dwordx2 s[8:9], s[4:5], 0x50
	s_load_dwordx2 s[0:1], s[4:5], 0x8
	s_add_u32 s7, s4, 8
	s_addc_u32 s10, s5, 0
	s_add_u32 s11, s4, 56
	s_addc_u32 s12, s5, 0
	s_load_dwordx2 s[2:3], s[4:5], 0x38
	s_waitcnt lgkmcnt(0)
	s_bitcmp1_b32 s9, 0
	s_cselect_b32 s0, s7, s0
	s_cselect_b32 s1, s10, s1
	v_mov_b32_e32 v1, s0
	v_mov_b32_e32 v2, s1
	s_cselect_b32 s0, s11, s2
	s_cselect_b32 s1, s12, s3
	flat_load_dwordx4 v[5:8], v[1:2]
	v_mov_b32_e32 v1, s0
	v_mov_b32_e32 v2, s1
	flat_load_dwordx4 v[1:4], v[1:2]
	s_waitcnt vmcnt(1) lgkmcnt(1)
	v_cmp_eq_f64_e32 vcc_lo, 0, v[5:6]
	v_cmp_eq_f64_e64 s0, 0, v[7:8]
	s_and_b32 s2, vcc_lo, s0
	s_mov_b32 s0, -1
	s_and_saveexec_b32 s1, s2
	s_cbranch_execz .LBB270_2
; %bb.1:
	s_waitcnt vmcnt(0) lgkmcnt(0)
	v_cmp_neq_f64_e32 vcc_lo, 1.0, v[1:2]
	v_cmp_neq_f64_e64 s0, 0, v[3:4]
	s_or_b32 s0, vcc_lo, s0
	s_orn2_b32 s0, s0, exec_lo
.LBB270_2:
	s_or_b32 exec_lo, exec_lo, s1
	s_and_saveexec_b32 s1, s0
	s_cbranch_execz .LBB270_13
; %bb.3:
	s_load_dword s0, s[4:5], 0x0
	v_lshrrev_b32_e32 v9, 4, v0
	v_lshl_or_b32 v9, s6, 3, v9
	s_waitcnt lgkmcnt(0)
	v_cmp_gt_i32_e32 vcc_lo, s0, v9
	s_and_b32 exec_lo, exec_lo, vcc_lo
	s_cbranch_execz .LBB270_13
; %bb.4:
	s_clause 0x1
	s_load_dwordx2 s[0:1], s[4:5], 0x18
	s_load_dwordx2 s[6:7], s[4:5], 0x48
	v_ashrrev_i32_e32 v10, 31, v9
	v_and_b32_e32 v0, 15, v0
	v_mov_b32_e32 v16, 0
	v_mov_b32_e32 v18, 0
	;; [unrolled: 1-line block ×3, first 2 shown]
	v_lshlrev_b64 v[11:12], 2, v[9:10]
	v_subrev_nc_u32_e32 v13, s8, v0
	v_mov_b32_e32 v19, 0
	s_mov_b32 s9, exec_lo
	s_waitcnt lgkmcnt(0)
	v_add_co_u32 v11, vcc_lo, s0, v11
	v_add_co_ci_u32_e64 v12, null, s1, v12, vcc_lo
	global_load_dwordx2 v[11:12], v[11:12], off
	s_waitcnt vmcnt(0)
	v_subrev_nc_u32_e32 v20, s8, v12
	v_add_nc_u32_e32 v11, v11, v13
	v_cmpx_lt_i32_e64 v11, v20
	s_cbranch_execz .LBB270_8
; %bb.5:
	s_clause 0x1
	s_load_dwordx4 s[0:3], s[4:5], 0x20
	s_load_dwordx2 s[4:5], s[4:5], 0x30
	v_mad_u64_u32 v[13:14], null, v11, 10, 9
	v_mov_b32_e32 v16, 0
	v_mov_b32_e32 v18, 0
	;; [unrolled: 1-line block ×5, first 2 shown]
	s_mov_b32 s10, 0
.LBB270_6:                              ; =>This Inner Loop Header: Depth=1
	v_ashrrev_i32_e32 v12, 31, v11
	v_add_nc_u32_e32 v14, -9, v13
	v_mov_b32_e32 v66, v15
	v_lshlrev_b64 v[21:22], 2, v[11:12]
	v_add_nc_u32_e32 v11, 16, v11
	s_waitcnt lgkmcnt(0)
	v_add_co_u32 v21, vcc_lo, s0, v21
	v_add_co_ci_u32_e64 v22, null, s1, v22, vcc_lo
	global_load_dword v12, v[21:22], off
	v_lshlrev_b64 v[21:22], 4, v[14:15]
	v_add_nc_u32_e32 v14, -7, v13
	v_lshlrev_b64 v[23:24], 4, v[14:15]
	v_add_co_u32 v25, vcc_lo, s2, v21
	v_add_co_ci_u32_e64 v26, null, s3, v22, vcc_lo
	v_add_co_u32 v29, vcc_lo, s2, v23
	v_add_co_ci_u32_e64 v30, null, s3, v24, vcc_lo
	s_clause 0x2
	global_load_dwordx4 v[21:24], v[25:26], off offset:16
	global_load_dwordx4 v[25:28], v[25:26], off
	global_load_dwordx4 v[29:32], v[29:30], off
	s_waitcnt vmcnt(3)
	v_subrev_nc_u32_e32 v12, s8, v12
	v_mul_lo_u32 v65, v12, 10
	v_lshlrev_b64 v[33:34], 4, v[65:66]
	v_add_nc_u32_e32 v14, 2, v65
	v_lshlrev_b64 v[41:42], 4, v[14:15]
	v_add_co_u32 v37, vcc_lo, s4, v33
	v_add_co_ci_u32_e64 v38, null, s5, v34, vcc_lo
	v_add_nc_u32_e32 v14, -6, v13
	v_add_co_u32 v47, vcc_lo, s4, v41
	s_clause 0x1
	global_load_dwordx4 v[33:36], v[37:38], off
	global_load_dwordx4 v[37:40], v[37:38], off offset:16
	v_add_co_ci_u32_e64 v48, null, s5, v42, vcc_lo
	v_lshlrev_b64 v[45:46], 4, v[14:15]
	v_add_nc_u32_e32 v14, -5, v13
	global_load_dwordx4 v[41:44], v[47:48], off
	v_add_co_u32 v49, vcc_lo, s2, v45
	v_add_co_ci_u32_e64 v50, null, s3, v46, vcc_lo
	global_load_dwordx4 v[45:48], v[47:48], off offset:16
	global_load_dwordx4 v[49:52], v[49:50], off
	v_lshlrev_b64 v[53:54], 4, v[14:15]
	v_add_nc_u32_e32 v14, 4, v65
	v_lshlrev_b64 v[55:56], 4, v[14:15]
	v_add_co_u32 v53, vcc_lo, s2, v53
	v_add_co_ci_u32_e64 v54, null, s3, v54, vcc_lo
	v_add_nc_u32_e32 v14, -4, v13
	v_add_co_u32 v61, vcc_lo, s4, v55
	v_add_co_ci_u32_e64 v62, null, s5, v56, vcc_lo
	global_load_dwordx4 v[53:56], v[53:54], off
	global_load_dwordx4 v[57:60], v[61:62], off
	v_lshlrev_b64 v[63:64], 4, v[14:15]
	v_add_nc_u32_e32 v14, -3, v13
	v_add_co_u32 v66, vcc_lo, s2, v63
	v_add_co_ci_u32_e64 v67, null, s3, v64, vcc_lo
	global_load_dwordx4 v[61:64], v[61:62], off offset:16
	s_waitcnt vmcnt(7)
	v_fma_f64 v[18:19], v[25:26], v[33:34], v[18:19]
	v_fma_f64 v[16:17], v[27:28], v[33:34], v[16:17]
	v_fma_f64 v[33:34], -v[27:28], v[35:36], v[18:19]
	v_fma_f64 v[35:36], v[25:26], v[35:36], v[16:17]
	global_load_dwordx4 v[16:19], v[66:67], off
	v_lshlrev_b64 v[25:26], 4, v[14:15]
	v_add_nc_u32_e32 v14, 6, v65
	v_lshlrev_b64 v[27:28], 4, v[14:15]
	v_add_co_u32 v25, vcc_lo, s2, v25
	v_add_co_ci_u32_e64 v26, null, s3, v26, vcc_lo
	v_add_nc_u32_e32 v14, -2, v13
	v_add_co_u32 v66, vcc_lo, s4, v27
	v_add_co_ci_u32_e64 v67, null, s5, v28, vcc_lo
	global_load_dwordx4 v[25:28], v[25:26], off
	s_waitcnt vmcnt(8)
	v_fma_f64 v[33:34], v[21:22], v[37:38], v[33:34]
	v_fma_f64 v[35:36], v[23:24], v[37:38], v[35:36]
	v_fma_f64 v[37:38], -v[23:24], v[39:40], v[33:34]
	v_fma_f64 v[39:40], v[21:22], v[39:40], v[35:36]
	global_load_dwordx4 v[21:24], v[66:67], off
	v_lshlrev_b64 v[33:34], 4, v[14:15]
	v_add_nc_u32_e32 v14, -1, v13
	v_add_co_u32 v68, vcc_lo, s2, v33
	v_add_co_ci_u32_e64 v69, null, s3, v34, vcc_lo
	global_load_dwordx4 v[33:36], v[66:67], off offset:16
	s_waitcnt vmcnt(9)
	v_fma_f64 v[37:38], v[29:30], v[41:42], v[37:38]
	v_fma_f64 v[39:40], v[31:32], v[41:42], v[39:40]
	v_fma_f64 v[41:42], -v[31:32], v[43:44], v[37:38]
	v_fma_f64 v[43:44], v[29:30], v[43:44], v[39:40]
	global_load_dwordx4 v[29:32], v[68:69], off
	v_lshlrev_b64 v[37:38], 4, v[14:15]
	v_add_nc_u32_e32 v14, 8, v65
	v_lshlrev_b64 v[39:40], 4, v[14:15]
	v_add_co_u32 v37, vcc_lo, s2, v37
	v_add_co_ci_u32_e64 v38, null, s3, v38, vcc_lo
	v_mov_b32_e32 v14, v15
	v_add_co_u32 v65, vcc_lo, s4, v39
	v_add_co_ci_u32_e64 v66, null, s5, v40, vcc_lo
	global_load_dwordx4 v[37:40], v[37:38], off
	s_waitcnt vmcnt(9)
	v_fma_f64 v[41:42], v[49:50], v[45:46], v[41:42]
	v_fma_f64 v[43:44], v[51:52], v[45:46], v[43:44]
	v_lshlrev_b64 v[45:46], 4, v[13:14]
	v_add_nc_u32_e32 v13, 0xa0, v13
	v_add_co_u32 v45, vcc_lo, s2, v45
	v_add_co_ci_u32_e64 v46, null, s3, v46, vcc_lo
	v_cmp_ge_i32_e32 vcc_lo, v11, v20
	s_or_b32 s10, vcc_lo, s10
	v_fma_f64 v[67:68], -v[51:52], v[47:48], v[41:42]
	v_fma_f64 v[69:70], v[49:50], v[47:48], v[43:44]
	global_load_dwordx4 v[41:44], v[65:66], off
	global_load_dwordx4 v[45:48], v[45:46], off
	global_load_dwordx4 v[49:52], v[65:66], off offset:16
	s_waitcnt vmcnt(10)
	v_fma_f64 v[65:66], v[53:54], v[57:58], v[67:68]
	v_fma_f64 v[57:58], v[55:56], v[57:58], v[69:70]
	v_fma_f64 v[55:56], -v[55:56], v[59:60], v[65:66]
	v_fma_f64 v[53:54], v[53:54], v[59:60], v[57:58]
	s_waitcnt vmcnt(8)
	v_fma_f64 v[55:56], v[16:17], v[61:62], v[55:56]
	v_fma_f64 v[53:54], v[18:19], v[61:62], v[53:54]
	v_fma_f64 v[18:19], -v[18:19], v[63:64], v[55:56]
	v_fma_f64 v[16:17], v[16:17], v[63:64], v[53:54]
	;; [unrolled: 5-line block ×6, first 2 shown]
	s_andn2_b32 exec_lo, exec_lo, s10
	s_cbranch_execnz .LBB270_6
; %bb.7:
	s_or_b32 exec_lo, exec_lo, s10
.LBB270_8:
	s_or_b32 exec_lo, exec_lo, s9
	v_mbcnt_lo_u32_b32 v20, -1, 0
	v_xor_b32_e32 v11, 8, v20
	v_xor_b32_e32 v15, 4, v20
	v_cmp_gt_i32_e32 vcc_lo, 32, v11
	v_cndmask_b32_e32 v11, v20, v11, vcc_lo
	v_cmp_gt_i32_e32 vcc_lo, 32, v15
	v_lshlrev_b32_e32 v14, 2, v11
	v_cndmask_b32_e32 v15, v20, v15, vcc_lo
	ds_bpermute_b32 v11, v14, v18
	ds_bpermute_b32 v12, v14, v19
	;; [unrolled: 1-line block ×4, first 2 shown]
	s_waitcnt lgkmcnt(2)
	v_add_f64 v[11:12], v[18:19], v[11:12]
	v_lshlrev_b32_e32 v18, 2, v15
	s_waitcnt lgkmcnt(0)
	v_add_f64 v[13:14], v[16:17], v[13:14]
	ds_bpermute_b32 v15, v18, v11
	ds_bpermute_b32 v16, v18, v12
	;; [unrolled: 1-line block ×4, first 2 shown]
	s_waitcnt lgkmcnt(2)
	v_add_f64 v[11:12], v[11:12], v[15:16]
	v_xor_b32_e32 v15, 2, v20
	s_waitcnt lgkmcnt(0)
	v_add_f64 v[13:14], v[13:14], v[17:18]
	v_cmp_gt_i32_e32 vcc_lo, 32, v15
	v_cndmask_b32_e32 v15, v20, v15, vcc_lo
	v_lshlrev_b32_e32 v18, 2, v15
	ds_bpermute_b32 v15, v18, v11
	ds_bpermute_b32 v16, v18, v12
	;; [unrolled: 1-line block ×4, first 2 shown]
	s_waitcnt lgkmcnt(2)
	v_add_f64 v[11:12], v[11:12], v[15:16]
	v_xor_b32_e32 v15, 1, v20
	s_waitcnt lgkmcnt(0)
	v_add_f64 v[13:14], v[13:14], v[17:18]
	v_cmp_gt_i32_e32 vcc_lo, 32, v15
	v_cndmask_b32_e32 v15, v20, v15, vcc_lo
	v_cmp_eq_u32_e32 vcc_lo, 15, v0
	v_lshlrev_b32_e32 v18, 2, v15
	ds_bpermute_b32 v15, v18, v11
	ds_bpermute_b32 v16, v18, v12
	;; [unrolled: 1-line block ×4, first 2 shown]
	s_and_b32 exec_lo, exec_lo, vcc_lo
	s_cbranch_execz .LBB270_13
; %bb.9:
	s_waitcnt lgkmcnt(0)
	v_add_f64 v[13:14], v[13:14], v[17:18]
	v_add_f64 v[11:12], v[11:12], v[15:16]
	v_cmp_eq_f64_e32 vcc_lo, 0, v[1:2]
	v_cmp_eq_f64_e64 s0, 0, v[3:4]
	v_lshlrev_b64 v[9:10], 4, v[9:10]
	v_mul_f64 v[15:16], v[13:14], -v[7:8]
	v_mul_f64 v[13:14], v[5:6], v[13:14]
	s_and_b32 s0, vcc_lo, s0
	v_fma_f64 v[5:6], v[5:6], v[11:12], v[15:16]
	v_fma_f64 v[7:8], v[7:8], v[11:12], v[13:14]
	s_and_saveexec_b32 s1, s0
	s_xor_b32 s0, exec_lo, s1
	s_cbranch_execz .LBB270_11
; %bb.10:
	v_add_co_u32 v0, vcc_lo, s6, v9
	v_add_co_ci_u32_e64 v1, null, s7, v10, vcc_lo
                                        ; implicit-def: $vgpr9_vgpr10
	global_store_dwordx4 v[0:1], v[5:8], off
                                        ; implicit-def: $vgpr1_vgpr2
                                        ; implicit-def: $vgpr5_vgpr6
.LBB270_11:
	s_andn2_saveexec_b32 s0, s0
	s_cbranch_execz .LBB270_13
; %bb.12:
	v_add_co_u32 v13, vcc_lo, s6, v9
	v_add_co_ci_u32_e64 v14, null, s7, v10, vcc_lo
	global_load_dwordx4 v[9:12], v[13:14], off
	s_waitcnt vmcnt(0)
	v_fma_f64 v[5:6], v[1:2], v[9:10], v[5:6]
	v_fma_f64 v[7:8], v[3:4], v[9:10], v[7:8]
	v_fma_f64 v[3:4], -v[3:4], v[11:12], v[5:6]
	v_fma_f64 v[5:6], v[1:2], v[11:12], v[7:8]
	global_store_dwordx4 v[13:14], v[3:6], off
.LBB270_13:
	s_endpgm
	.section	.rodata,"a",@progbits
	.p2align	6, 0x0
	.amdhsa_kernel _ZN9rocsparseL19gebsrmvn_1xn_kernelILj128ELj10ELj16E21rocsparse_complex_numIdEEEvi20rocsparse_direction_NS_24const_host_device_scalarIT2_EEPKiS8_PKS5_SA_S6_PS5_21rocsparse_index_base_b
		.amdhsa_group_segment_fixed_size 0
		.amdhsa_private_segment_fixed_size 0
		.amdhsa_kernarg_size 88
		.amdhsa_user_sgpr_count 6
		.amdhsa_user_sgpr_private_segment_buffer 1
		.amdhsa_user_sgpr_dispatch_ptr 0
		.amdhsa_user_sgpr_queue_ptr 0
		.amdhsa_user_sgpr_kernarg_segment_ptr 1
		.amdhsa_user_sgpr_dispatch_id 0
		.amdhsa_user_sgpr_flat_scratch_init 0
		.amdhsa_user_sgpr_private_segment_size 0
		.amdhsa_wavefront_size32 1
		.amdhsa_uses_dynamic_stack 0
		.amdhsa_system_sgpr_private_segment_wavefront_offset 0
		.amdhsa_system_sgpr_workgroup_id_x 1
		.amdhsa_system_sgpr_workgroup_id_y 0
		.amdhsa_system_sgpr_workgroup_id_z 0
		.amdhsa_system_sgpr_workgroup_info 0
		.amdhsa_system_vgpr_workitem_id 0
		.amdhsa_next_free_vgpr 71
		.amdhsa_next_free_sgpr 13
		.amdhsa_reserve_vcc 1
		.amdhsa_reserve_flat_scratch 0
		.amdhsa_float_round_mode_32 0
		.amdhsa_float_round_mode_16_64 0
		.amdhsa_float_denorm_mode_32 3
		.amdhsa_float_denorm_mode_16_64 3
		.amdhsa_dx10_clamp 1
		.amdhsa_ieee_mode 1
		.amdhsa_fp16_overflow 0
		.amdhsa_workgroup_processor_mode 1
		.amdhsa_memory_ordered 1
		.amdhsa_forward_progress 1
		.amdhsa_shared_vgpr_count 0
		.amdhsa_exception_fp_ieee_invalid_op 0
		.amdhsa_exception_fp_denorm_src 0
		.amdhsa_exception_fp_ieee_div_zero 0
		.amdhsa_exception_fp_ieee_overflow 0
		.amdhsa_exception_fp_ieee_underflow 0
		.amdhsa_exception_fp_ieee_inexact 0
		.amdhsa_exception_int_div_zero 0
	.end_amdhsa_kernel
	.section	.text._ZN9rocsparseL19gebsrmvn_1xn_kernelILj128ELj10ELj16E21rocsparse_complex_numIdEEEvi20rocsparse_direction_NS_24const_host_device_scalarIT2_EEPKiS8_PKS5_SA_S6_PS5_21rocsparse_index_base_b,"axG",@progbits,_ZN9rocsparseL19gebsrmvn_1xn_kernelILj128ELj10ELj16E21rocsparse_complex_numIdEEEvi20rocsparse_direction_NS_24const_host_device_scalarIT2_EEPKiS8_PKS5_SA_S6_PS5_21rocsparse_index_base_b,comdat
.Lfunc_end270:
	.size	_ZN9rocsparseL19gebsrmvn_1xn_kernelILj128ELj10ELj16E21rocsparse_complex_numIdEEEvi20rocsparse_direction_NS_24const_host_device_scalarIT2_EEPKiS8_PKS5_SA_S6_PS5_21rocsparse_index_base_b, .Lfunc_end270-_ZN9rocsparseL19gebsrmvn_1xn_kernelILj128ELj10ELj16E21rocsparse_complex_numIdEEEvi20rocsparse_direction_NS_24const_host_device_scalarIT2_EEPKiS8_PKS5_SA_S6_PS5_21rocsparse_index_base_b
                                        ; -- End function
	.set _ZN9rocsparseL19gebsrmvn_1xn_kernelILj128ELj10ELj16E21rocsparse_complex_numIdEEEvi20rocsparse_direction_NS_24const_host_device_scalarIT2_EEPKiS8_PKS5_SA_S6_PS5_21rocsparse_index_base_b.num_vgpr, 71
	.set _ZN9rocsparseL19gebsrmvn_1xn_kernelILj128ELj10ELj16E21rocsparse_complex_numIdEEEvi20rocsparse_direction_NS_24const_host_device_scalarIT2_EEPKiS8_PKS5_SA_S6_PS5_21rocsparse_index_base_b.num_agpr, 0
	.set _ZN9rocsparseL19gebsrmvn_1xn_kernelILj128ELj10ELj16E21rocsparse_complex_numIdEEEvi20rocsparse_direction_NS_24const_host_device_scalarIT2_EEPKiS8_PKS5_SA_S6_PS5_21rocsparse_index_base_b.numbered_sgpr, 13
	.set _ZN9rocsparseL19gebsrmvn_1xn_kernelILj128ELj10ELj16E21rocsparse_complex_numIdEEEvi20rocsparse_direction_NS_24const_host_device_scalarIT2_EEPKiS8_PKS5_SA_S6_PS5_21rocsparse_index_base_b.num_named_barrier, 0
	.set _ZN9rocsparseL19gebsrmvn_1xn_kernelILj128ELj10ELj16E21rocsparse_complex_numIdEEEvi20rocsparse_direction_NS_24const_host_device_scalarIT2_EEPKiS8_PKS5_SA_S6_PS5_21rocsparse_index_base_b.private_seg_size, 0
	.set _ZN9rocsparseL19gebsrmvn_1xn_kernelILj128ELj10ELj16E21rocsparse_complex_numIdEEEvi20rocsparse_direction_NS_24const_host_device_scalarIT2_EEPKiS8_PKS5_SA_S6_PS5_21rocsparse_index_base_b.uses_vcc, 1
	.set _ZN9rocsparseL19gebsrmvn_1xn_kernelILj128ELj10ELj16E21rocsparse_complex_numIdEEEvi20rocsparse_direction_NS_24const_host_device_scalarIT2_EEPKiS8_PKS5_SA_S6_PS5_21rocsparse_index_base_b.uses_flat_scratch, 0
	.set _ZN9rocsparseL19gebsrmvn_1xn_kernelILj128ELj10ELj16E21rocsparse_complex_numIdEEEvi20rocsparse_direction_NS_24const_host_device_scalarIT2_EEPKiS8_PKS5_SA_S6_PS5_21rocsparse_index_base_b.has_dyn_sized_stack, 0
	.set _ZN9rocsparseL19gebsrmvn_1xn_kernelILj128ELj10ELj16E21rocsparse_complex_numIdEEEvi20rocsparse_direction_NS_24const_host_device_scalarIT2_EEPKiS8_PKS5_SA_S6_PS5_21rocsparse_index_base_b.has_recursion, 0
	.set _ZN9rocsparseL19gebsrmvn_1xn_kernelILj128ELj10ELj16E21rocsparse_complex_numIdEEEvi20rocsparse_direction_NS_24const_host_device_scalarIT2_EEPKiS8_PKS5_SA_S6_PS5_21rocsparse_index_base_b.has_indirect_call, 0
	.section	.AMDGPU.csdata,"",@progbits
; Kernel info:
; codeLenInByte = 1856
; TotalNumSgprs: 15
; NumVgprs: 71
; ScratchSize: 0
; MemoryBound: 0
; FloatMode: 240
; IeeeMode: 1
; LDSByteSize: 0 bytes/workgroup (compile time only)
; SGPRBlocks: 0
; VGPRBlocks: 8
; NumSGPRsForWavesPerEU: 15
; NumVGPRsForWavesPerEU: 71
; Occupancy: 12
; WaveLimiterHint : 1
; COMPUTE_PGM_RSRC2:SCRATCH_EN: 0
; COMPUTE_PGM_RSRC2:USER_SGPR: 6
; COMPUTE_PGM_RSRC2:TRAP_HANDLER: 0
; COMPUTE_PGM_RSRC2:TGID_X_EN: 1
; COMPUTE_PGM_RSRC2:TGID_Y_EN: 0
; COMPUTE_PGM_RSRC2:TGID_Z_EN: 0
; COMPUTE_PGM_RSRC2:TIDIG_COMP_CNT: 0
	.section	.text._ZN9rocsparseL19gebsrmvn_1xn_kernelILj128ELj10ELj32E21rocsparse_complex_numIdEEEvi20rocsparse_direction_NS_24const_host_device_scalarIT2_EEPKiS8_PKS5_SA_S6_PS5_21rocsparse_index_base_b,"axG",@progbits,_ZN9rocsparseL19gebsrmvn_1xn_kernelILj128ELj10ELj32E21rocsparse_complex_numIdEEEvi20rocsparse_direction_NS_24const_host_device_scalarIT2_EEPKiS8_PKS5_SA_S6_PS5_21rocsparse_index_base_b,comdat
	.globl	_ZN9rocsparseL19gebsrmvn_1xn_kernelILj128ELj10ELj32E21rocsparse_complex_numIdEEEvi20rocsparse_direction_NS_24const_host_device_scalarIT2_EEPKiS8_PKS5_SA_S6_PS5_21rocsparse_index_base_b ; -- Begin function _ZN9rocsparseL19gebsrmvn_1xn_kernelILj128ELj10ELj32E21rocsparse_complex_numIdEEEvi20rocsparse_direction_NS_24const_host_device_scalarIT2_EEPKiS8_PKS5_SA_S6_PS5_21rocsparse_index_base_b
	.p2align	8
	.type	_ZN9rocsparseL19gebsrmvn_1xn_kernelILj128ELj10ELj32E21rocsparse_complex_numIdEEEvi20rocsparse_direction_NS_24const_host_device_scalarIT2_EEPKiS8_PKS5_SA_S6_PS5_21rocsparse_index_base_b,@function
_ZN9rocsparseL19gebsrmvn_1xn_kernelILj128ELj10ELj32E21rocsparse_complex_numIdEEEvi20rocsparse_direction_NS_24const_host_device_scalarIT2_EEPKiS8_PKS5_SA_S6_PS5_21rocsparse_index_base_b: ; @_ZN9rocsparseL19gebsrmvn_1xn_kernelILj128ELj10ELj32E21rocsparse_complex_numIdEEEvi20rocsparse_direction_NS_24const_host_device_scalarIT2_EEPKiS8_PKS5_SA_S6_PS5_21rocsparse_index_base_b
; %bb.0:
	s_clause 0x1
	s_load_dwordx2 s[8:9], s[4:5], 0x50
	s_load_dwordx2 s[0:1], s[4:5], 0x8
	s_add_u32 s7, s4, 8
	s_addc_u32 s10, s5, 0
	s_add_u32 s11, s4, 56
	s_addc_u32 s12, s5, 0
	s_load_dwordx2 s[2:3], s[4:5], 0x38
	s_waitcnt lgkmcnt(0)
	s_bitcmp1_b32 s9, 0
	s_cselect_b32 s0, s7, s0
	s_cselect_b32 s1, s10, s1
	v_mov_b32_e32 v1, s0
	v_mov_b32_e32 v2, s1
	s_cselect_b32 s0, s11, s2
	s_cselect_b32 s1, s12, s3
	flat_load_dwordx4 v[5:8], v[1:2]
	v_mov_b32_e32 v1, s0
	v_mov_b32_e32 v2, s1
	flat_load_dwordx4 v[1:4], v[1:2]
	s_waitcnt vmcnt(1) lgkmcnt(1)
	v_cmp_eq_f64_e32 vcc_lo, 0, v[5:6]
	v_cmp_eq_f64_e64 s0, 0, v[7:8]
	s_and_b32 s2, vcc_lo, s0
	s_mov_b32 s0, -1
	s_and_saveexec_b32 s1, s2
	s_cbranch_execz .LBB271_2
; %bb.1:
	s_waitcnt vmcnt(0) lgkmcnt(0)
	v_cmp_neq_f64_e32 vcc_lo, 1.0, v[1:2]
	v_cmp_neq_f64_e64 s0, 0, v[3:4]
	s_or_b32 s0, vcc_lo, s0
	s_orn2_b32 s0, s0, exec_lo
.LBB271_2:
	s_or_b32 exec_lo, exec_lo, s1
	s_and_saveexec_b32 s1, s0
	s_cbranch_execz .LBB271_13
; %bb.3:
	s_load_dword s0, s[4:5], 0x0
	v_lshrrev_b32_e32 v9, 5, v0
	v_lshl_or_b32 v9, s6, 2, v9
	s_waitcnt lgkmcnt(0)
	v_cmp_gt_i32_e32 vcc_lo, s0, v9
	s_and_b32 exec_lo, exec_lo, vcc_lo
	s_cbranch_execz .LBB271_13
; %bb.4:
	s_clause 0x1
	s_load_dwordx2 s[0:1], s[4:5], 0x18
	s_load_dwordx2 s[6:7], s[4:5], 0x48
	v_ashrrev_i32_e32 v10, 31, v9
	v_and_b32_e32 v0, 31, v0
	v_mov_b32_e32 v16, 0
	v_mov_b32_e32 v18, 0
	;; [unrolled: 1-line block ×3, first 2 shown]
	v_lshlrev_b64 v[11:12], 2, v[9:10]
	v_subrev_nc_u32_e32 v13, s8, v0
	v_mov_b32_e32 v19, 0
	s_mov_b32 s9, exec_lo
	s_waitcnt lgkmcnt(0)
	v_add_co_u32 v11, vcc_lo, s0, v11
	v_add_co_ci_u32_e64 v12, null, s1, v12, vcc_lo
	global_load_dwordx2 v[11:12], v[11:12], off
	s_waitcnt vmcnt(0)
	v_subrev_nc_u32_e32 v20, s8, v12
	v_add_nc_u32_e32 v11, v11, v13
	v_cmpx_lt_i32_e64 v11, v20
	s_cbranch_execz .LBB271_8
; %bb.5:
	s_clause 0x1
	s_load_dwordx4 s[0:3], s[4:5], 0x20
	s_load_dwordx2 s[4:5], s[4:5], 0x30
	v_mad_u64_u32 v[13:14], null, v11, 10, 9
	v_mov_b32_e32 v16, 0
	v_mov_b32_e32 v18, 0
	;; [unrolled: 1-line block ×5, first 2 shown]
	s_mov_b32 s10, 0
.LBB271_6:                              ; =>This Inner Loop Header: Depth=1
	v_ashrrev_i32_e32 v12, 31, v11
	v_add_nc_u32_e32 v14, -9, v13
	v_mov_b32_e32 v66, v15
	v_lshlrev_b64 v[21:22], 2, v[11:12]
	v_add_nc_u32_e32 v11, 32, v11
	s_waitcnt lgkmcnt(0)
	v_add_co_u32 v21, vcc_lo, s0, v21
	v_add_co_ci_u32_e64 v22, null, s1, v22, vcc_lo
	global_load_dword v12, v[21:22], off
	v_lshlrev_b64 v[21:22], 4, v[14:15]
	v_add_nc_u32_e32 v14, -7, v13
	v_lshlrev_b64 v[23:24], 4, v[14:15]
	v_add_co_u32 v25, vcc_lo, s2, v21
	v_add_co_ci_u32_e64 v26, null, s3, v22, vcc_lo
	v_add_co_u32 v29, vcc_lo, s2, v23
	v_add_co_ci_u32_e64 v30, null, s3, v24, vcc_lo
	s_clause 0x2
	global_load_dwordx4 v[21:24], v[25:26], off offset:16
	global_load_dwordx4 v[25:28], v[25:26], off
	global_load_dwordx4 v[29:32], v[29:30], off
	s_waitcnt vmcnt(3)
	v_subrev_nc_u32_e32 v12, s8, v12
	v_mul_lo_u32 v65, v12, 10
	v_lshlrev_b64 v[33:34], 4, v[65:66]
	v_add_nc_u32_e32 v14, 2, v65
	v_lshlrev_b64 v[41:42], 4, v[14:15]
	v_add_co_u32 v37, vcc_lo, s4, v33
	v_add_co_ci_u32_e64 v38, null, s5, v34, vcc_lo
	v_add_nc_u32_e32 v14, -6, v13
	v_add_co_u32 v47, vcc_lo, s4, v41
	s_clause 0x1
	global_load_dwordx4 v[33:36], v[37:38], off
	global_load_dwordx4 v[37:40], v[37:38], off offset:16
	v_add_co_ci_u32_e64 v48, null, s5, v42, vcc_lo
	v_lshlrev_b64 v[45:46], 4, v[14:15]
	v_add_nc_u32_e32 v14, -5, v13
	global_load_dwordx4 v[41:44], v[47:48], off
	v_add_co_u32 v49, vcc_lo, s2, v45
	v_add_co_ci_u32_e64 v50, null, s3, v46, vcc_lo
	global_load_dwordx4 v[45:48], v[47:48], off offset:16
	global_load_dwordx4 v[49:52], v[49:50], off
	v_lshlrev_b64 v[53:54], 4, v[14:15]
	v_add_nc_u32_e32 v14, 4, v65
	v_lshlrev_b64 v[55:56], 4, v[14:15]
	v_add_co_u32 v53, vcc_lo, s2, v53
	v_add_co_ci_u32_e64 v54, null, s3, v54, vcc_lo
	v_add_nc_u32_e32 v14, -4, v13
	v_add_co_u32 v61, vcc_lo, s4, v55
	v_add_co_ci_u32_e64 v62, null, s5, v56, vcc_lo
	global_load_dwordx4 v[53:56], v[53:54], off
	global_load_dwordx4 v[57:60], v[61:62], off
	v_lshlrev_b64 v[63:64], 4, v[14:15]
	v_add_nc_u32_e32 v14, -3, v13
	v_add_co_u32 v66, vcc_lo, s2, v63
	v_add_co_ci_u32_e64 v67, null, s3, v64, vcc_lo
	global_load_dwordx4 v[61:64], v[61:62], off offset:16
	s_waitcnt vmcnt(7)
	v_fma_f64 v[18:19], v[25:26], v[33:34], v[18:19]
	v_fma_f64 v[16:17], v[27:28], v[33:34], v[16:17]
	v_fma_f64 v[33:34], -v[27:28], v[35:36], v[18:19]
	v_fma_f64 v[35:36], v[25:26], v[35:36], v[16:17]
	global_load_dwordx4 v[16:19], v[66:67], off
	v_lshlrev_b64 v[25:26], 4, v[14:15]
	v_add_nc_u32_e32 v14, 6, v65
	v_lshlrev_b64 v[27:28], 4, v[14:15]
	v_add_co_u32 v25, vcc_lo, s2, v25
	v_add_co_ci_u32_e64 v26, null, s3, v26, vcc_lo
	v_add_nc_u32_e32 v14, -2, v13
	v_add_co_u32 v66, vcc_lo, s4, v27
	v_add_co_ci_u32_e64 v67, null, s5, v28, vcc_lo
	global_load_dwordx4 v[25:28], v[25:26], off
	s_waitcnt vmcnt(8)
	v_fma_f64 v[33:34], v[21:22], v[37:38], v[33:34]
	v_fma_f64 v[35:36], v[23:24], v[37:38], v[35:36]
	v_fma_f64 v[37:38], -v[23:24], v[39:40], v[33:34]
	v_fma_f64 v[39:40], v[21:22], v[39:40], v[35:36]
	global_load_dwordx4 v[21:24], v[66:67], off
	v_lshlrev_b64 v[33:34], 4, v[14:15]
	v_add_nc_u32_e32 v14, -1, v13
	v_add_co_u32 v68, vcc_lo, s2, v33
	v_add_co_ci_u32_e64 v69, null, s3, v34, vcc_lo
	global_load_dwordx4 v[33:36], v[66:67], off offset:16
	s_waitcnt vmcnt(9)
	v_fma_f64 v[37:38], v[29:30], v[41:42], v[37:38]
	v_fma_f64 v[39:40], v[31:32], v[41:42], v[39:40]
	v_fma_f64 v[41:42], -v[31:32], v[43:44], v[37:38]
	v_fma_f64 v[43:44], v[29:30], v[43:44], v[39:40]
	global_load_dwordx4 v[29:32], v[68:69], off
	v_lshlrev_b64 v[37:38], 4, v[14:15]
	v_add_nc_u32_e32 v14, 8, v65
	v_lshlrev_b64 v[39:40], 4, v[14:15]
	v_add_co_u32 v37, vcc_lo, s2, v37
	v_add_co_ci_u32_e64 v38, null, s3, v38, vcc_lo
	v_mov_b32_e32 v14, v15
	v_add_co_u32 v65, vcc_lo, s4, v39
	v_add_co_ci_u32_e64 v66, null, s5, v40, vcc_lo
	global_load_dwordx4 v[37:40], v[37:38], off
	s_waitcnt vmcnt(9)
	v_fma_f64 v[41:42], v[49:50], v[45:46], v[41:42]
	v_fma_f64 v[43:44], v[51:52], v[45:46], v[43:44]
	v_lshlrev_b64 v[45:46], 4, v[13:14]
	v_add_nc_u32_e32 v13, 0x140, v13
	v_add_co_u32 v45, vcc_lo, s2, v45
	v_add_co_ci_u32_e64 v46, null, s3, v46, vcc_lo
	v_cmp_ge_i32_e32 vcc_lo, v11, v20
	s_or_b32 s10, vcc_lo, s10
	v_fma_f64 v[67:68], -v[51:52], v[47:48], v[41:42]
	v_fma_f64 v[69:70], v[49:50], v[47:48], v[43:44]
	global_load_dwordx4 v[41:44], v[65:66], off
	global_load_dwordx4 v[45:48], v[45:46], off
	global_load_dwordx4 v[49:52], v[65:66], off offset:16
	s_waitcnt vmcnt(10)
	v_fma_f64 v[65:66], v[53:54], v[57:58], v[67:68]
	v_fma_f64 v[57:58], v[55:56], v[57:58], v[69:70]
	v_fma_f64 v[55:56], -v[55:56], v[59:60], v[65:66]
	v_fma_f64 v[53:54], v[53:54], v[59:60], v[57:58]
	s_waitcnt vmcnt(8)
	v_fma_f64 v[55:56], v[16:17], v[61:62], v[55:56]
	v_fma_f64 v[53:54], v[18:19], v[61:62], v[53:54]
	v_fma_f64 v[18:19], -v[18:19], v[63:64], v[55:56]
	v_fma_f64 v[16:17], v[16:17], v[63:64], v[53:54]
	;; [unrolled: 5-line block ×6, first 2 shown]
	s_andn2_b32 exec_lo, exec_lo, s10
	s_cbranch_execnz .LBB271_6
; %bb.7:
	s_or_b32 exec_lo, exec_lo, s10
.LBB271_8:
	s_or_b32 exec_lo, exec_lo, s9
	v_mbcnt_lo_u32_b32 v20, -1, 0
	v_xor_b32_e32 v11, 16, v20
	v_xor_b32_e32 v15, 8, v20
	v_cmp_gt_i32_e32 vcc_lo, 32, v11
	v_cndmask_b32_e32 v11, v20, v11, vcc_lo
	v_cmp_gt_i32_e32 vcc_lo, 32, v15
	v_lshlrev_b32_e32 v14, 2, v11
	v_cndmask_b32_e32 v15, v20, v15, vcc_lo
	ds_bpermute_b32 v11, v14, v18
	ds_bpermute_b32 v12, v14, v19
	;; [unrolled: 1-line block ×4, first 2 shown]
	s_waitcnt lgkmcnt(2)
	v_add_f64 v[11:12], v[18:19], v[11:12]
	v_lshlrev_b32_e32 v18, 2, v15
	s_waitcnt lgkmcnt(0)
	v_add_f64 v[13:14], v[16:17], v[13:14]
	ds_bpermute_b32 v15, v18, v11
	ds_bpermute_b32 v16, v18, v12
	;; [unrolled: 1-line block ×4, first 2 shown]
	s_waitcnt lgkmcnt(2)
	v_add_f64 v[11:12], v[11:12], v[15:16]
	v_xor_b32_e32 v15, 4, v20
	s_waitcnt lgkmcnt(0)
	v_add_f64 v[13:14], v[13:14], v[17:18]
	v_cmp_gt_i32_e32 vcc_lo, 32, v15
	v_cndmask_b32_e32 v15, v20, v15, vcc_lo
	v_lshlrev_b32_e32 v18, 2, v15
	ds_bpermute_b32 v15, v18, v11
	ds_bpermute_b32 v16, v18, v12
	;; [unrolled: 1-line block ×4, first 2 shown]
	s_waitcnt lgkmcnt(2)
	v_add_f64 v[11:12], v[11:12], v[15:16]
	v_xor_b32_e32 v15, 2, v20
	s_waitcnt lgkmcnt(0)
	v_add_f64 v[13:14], v[13:14], v[17:18]
	v_cmp_gt_i32_e32 vcc_lo, 32, v15
	v_cndmask_b32_e32 v15, v20, v15, vcc_lo
	v_lshlrev_b32_e32 v18, 2, v15
	ds_bpermute_b32 v15, v18, v11
	ds_bpermute_b32 v16, v18, v12
	;; [unrolled: 1-line block ×4, first 2 shown]
	s_waitcnt lgkmcnt(2)
	v_add_f64 v[11:12], v[11:12], v[15:16]
	v_xor_b32_e32 v15, 1, v20
	s_waitcnt lgkmcnt(0)
	v_add_f64 v[13:14], v[13:14], v[17:18]
	v_cmp_gt_i32_e32 vcc_lo, 32, v15
	v_cndmask_b32_e32 v15, v20, v15, vcc_lo
	v_cmp_eq_u32_e32 vcc_lo, 31, v0
	v_lshlrev_b32_e32 v18, 2, v15
	ds_bpermute_b32 v15, v18, v11
	ds_bpermute_b32 v16, v18, v12
	ds_bpermute_b32 v17, v18, v13
	ds_bpermute_b32 v18, v18, v14
	s_and_b32 exec_lo, exec_lo, vcc_lo
	s_cbranch_execz .LBB271_13
; %bb.9:
	s_waitcnt lgkmcnt(0)
	v_add_f64 v[13:14], v[13:14], v[17:18]
	v_add_f64 v[11:12], v[11:12], v[15:16]
	v_cmp_eq_f64_e32 vcc_lo, 0, v[1:2]
	v_cmp_eq_f64_e64 s0, 0, v[3:4]
	v_lshlrev_b64 v[9:10], 4, v[9:10]
	v_mul_f64 v[15:16], v[13:14], -v[7:8]
	v_mul_f64 v[13:14], v[5:6], v[13:14]
	s_and_b32 s0, vcc_lo, s0
	v_fma_f64 v[5:6], v[5:6], v[11:12], v[15:16]
	v_fma_f64 v[7:8], v[7:8], v[11:12], v[13:14]
	s_and_saveexec_b32 s1, s0
	s_xor_b32 s0, exec_lo, s1
	s_cbranch_execz .LBB271_11
; %bb.10:
	v_add_co_u32 v0, vcc_lo, s6, v9
	v_add_co_ci_u32_e64 v1, null, s7, v10, vcc_lo
                                        ; implicit-def: $vgpr9_vgpr10
	global_store_dwordx4 v[0:1], v[5:8], off
                                        ; implicit-def: $vgpr1_vgpr2
                                        ; implicit-def: $vgpr5_vgpr6
.LBB271_11:
	s_andn2_saveexec_b32 s0, s0
	s_cbranch_execz .LBB271_13
; %bb.12:
	v_add_co_u32 v13, vcc_lo, s6, v9
	v_add_co_ci_u32_e64 v14, null, s7, v10, vcc_lo
	global_load_dwordx4 v[9:12], v[13:14], off
	s_waitcnt vmcnt(0)
	v_fma_f64 v[5:6], v[1:2], v[9:10], v[5:6]
	v_fma_f64 v[7:8], v[3:4], v[9:10], v[7:8]
	v_fma_f64 v[3:4], -v[3:4], v[11:12], v[5:6]
	v_fma_f64 v[5:6], v[1:2], v[11:12], v[7:8]
	global_store_dwordx4 v[13:14], v[3:6], off
.LBB271_13:
	s_endpgm
	.section	.rodata,"a",@progbits
	.p2align	6, 0x0
	.amdhsa_kernel _ZN9rocsparseL19gebsrmvn_1xn_kernelILj128ELj10ELj32E21rocsparse_complex_numIdEEEvi20rocsparse_direction_NS_24const_host_device_scalarIT2_EEPKiS8_PKS5_SA_S6_PS5_21rocsparse_index_base_b
		.amdhsa_group_segment_fixed_size 0
		.amdhsa_private_segment_fixed_size 0
		.amdhsa_kernarg_size 88
		.amdhsa_user_sgpr_count 6
		.amdhsa_user_sgpr_private_segment_buffer 1
		.amdhsa_user_sgpr_dispatch_ptr 0
		.amdhsa_user_sgpr_queue_ptr 0
		.amdhsa_user_sgpr_kernarg_segment_ptr 1
		.amdhsa_user_sgpr_dispatch_id 0
		.amdhsa_user_sgpr_flat_scratch_init 0
		.amdhsa_user_sgpr_private_segment_size 0
		.amdhsa_wavefront_size32 1
		.amdhsa_uses_dynamic_stack 0
		.amdhsa_system_sgpr_private_segment_wavefront_offset 0
		.amdhsa_system_sgpr_workgroup_id_x 1
		.amdhsa_system_sgpr_workgroup_id_y 0
		.amdhsa_system_sgpr_workgroup_id_z 0
		.amdhsa_system_sgpr_workgroup_info 0
		.amdhsa_system_vgpr_workitem_id 0
		.amdhsa_next_free_vgpr 71
		.amdhsa_next_free_sgpr 13
		.amdhsa_reserve_vcc 1
		.amdhsa_reserve_flat_scratch 0
		.amdhsa_float_round_mode_32 0
		.amdhsa_float_round_mode_16_64 0
		.amdhsa_float_denorm_mode_32 3
		.amdhsa_float_denorm_mode_16_64 3
		.amdhsa_dx10_clamp 1
		.amdhsa_ieee_mode 1
		.amdhsa_fp16_overflow 0
		.amdhsa_workgroup_processor_mode 1
		.amdhsa_memory_ordered 1
		.amdhsa_forward_progress 1
		.amdhsa_shared_vgpr_count 0
		.amdhsa_exception_fp_ieee_invalid_op 0
		.amdhsa_exception_fp_denorm_src 0
		.amdhsa_exception_fp_ieee_div_zero 0
		.amdhsa_exception_fp_ieee_overflow 0
		.amdhsa_exception_fp_ieee_underflow 0
		.amdhsa_exception_fp_ieee_inexact 0
		.amdhsa_exception_int_div_zero 0
	.end_amdhsa_kernel
	.section	.text._ZN9rocsparseL19gebsrmvn_1xn_kernelILj128ELj10ELj32E21rocsparse_complex_numIdEEEvi20rocsparse_direction_NS_24const_host_device_scalarIT2_EEPKiS8_PKS5_SA_S6_PS5_21rocsparse_index_base_b,"axG",@progbits,_ZN9rocsparseL19gebsrmvn_1xn_kernelILj128ELj10ELj32E21rocsparse_complex_numIdEEEvi20rocsparse_direction_NS_24const_host_device_scalarIT2_EEPKiS8_PKS5_SA_S6_PS5_21rocsparse_index_base_b,comdat
.Lfunc_end271:
	.size	_ZN9rocsparseL19gebsrmvn_1xn_kernelILj128ELj10ELj32E21rocsparse_complex_numIdEEEvi20rocsparse_direction_NS_24const_host_device_scalarIT2_EEPKiS8_PKS5_SA_S6_PS5_21rocsparse_index_base_b, .Lfunc_end271-_ZN9rocsparseL19gebsrmvn_1xn_kernelILj128ELj10ELj32E21rocsparse_complex_numIdEEEvi20rocsparse_direction_NS_24const_host_device_scalarIT2_EEPKiS8_PKS5_SA_S6_PS5_21rocsparse_index_base_b
                                        ; -- End function
	.set _ZN9rocsparseL19gebsrmvn_1xn_kernelILj128ELj10ELj32E21rocsparse_complex_numIdEEEvi20rocsparse_direction_NS_24const_host_device_scalarIT2_EEPKiS8_PKS5_SA_S6_PS5_21rocsparse_index_base_b.num_vgpr, 71
	.set _ZN9rocsparseL19gebsrmvn_1xn_kernelILj128ELj10ELj32E21rocsparse_complex_numIdEEEvi20rocsparse_direction_NS_24const_host_device_scalarIT2_EEPKiS8_PKS5_SA_S6_PS5_21rocsparse_index_base_b.num_agpr, 0
	.set _ZN9rocsparseL19gebsrmvn_1xn_kernelILj128ELj10ELj32E21rocsparse_complex_numIdEEEvi20rocsparse_direction_NS_24const_host_device_scalarIT2_EEPKiS8_PKS5_SA_S6_PS5_21rocsparse_index_base_b.numbered_sgpr, 13
	.set _ZN9rocsparseL19gebsrmvn_1xn_kernelILj128ELj10ELj32E21rocsparse_complex_numIdEEEvi20rocsparse_direction_NS_24const_host_device_scalarIT2_EEPKiS8_PKS5_SA_S6_PS5_21rocsparse_index_base_b.num_named_barrier, 0
	.set _ZN9rocsparseL19gebsrmvn_1xn_kernelILj128ELj10ELj32E21rocsparse_complex_numIdEEEvi20rocsparse_direction_NS_24const_host_device_scalarIT2_EEPKiS8_PKS5_SA_S6_PS5_21rocsparse_index_base_b.private_seg_size, 0
	.set _ZN9rocsparseL19gebsrmvn_1xn_kernelILj128ELj10ELj32E21rocsparse_complex_numIdEEEvi20rocsparse_direction_NS_24const_host_device_scalarIT2_EEPKiS8_PKS5_SA_S6_PS5_21rocsparse_index_base_b.uses_vcc, 1
	.set _ZN9rocsparseL19gebsrmvn_1xn_kernelILj128ELj10ELj32E21rocsparse_complex_numIdEEEvi20rocsparse_direction_NS_24const_host_device_scalarIT2_EEPKiS8_PKS5_SA_S6_PS5_21rocsparse_index_base_b.uses_flat_scratch, 0
	.set _ZN9rocsparseL19gebsrmvn_1xn_kernelILj128ELj10ELj32E21rocsparse_complex_numIdEEEvi20rocsparse_direction_NS_24const_host_device_scalarIT2_EEPKiS8_PKS5_SA_S6_PS5_21rocsparse_index_base_b.has_dyn_sized_stack, 0
	.set _ZN9rocsparseL19gebsrmvn_1xn_kernelILj128ELj10ELj32E21rocsparse_complex_numIdEEEvi20rocsparse_direction_NS_24const_host_device_scalarIT2_EEPKiS8_PKS5_SA_S6_PS5_21rocsparse_index_base_b.has_recursion, 0
	.set _ZN9rocsparseL19gebsrmvn_1xn_kernelILj128ELj10ELj32E21rocsparse_complex_numIdEEEvi20rocsparse_direction_NS_24const_host_device_scalarIT2_EEPKiS8_PKS5_SA_S6_PS5_21rocsparse_index_base_b.has_indirect_call, 0
	.section	.AMDGPU.csdata,"",@progbits
; Kernel info:
; codeLenInByte = 1928
; TotalNumSgprs: 15
; NumVgprs: 71
; ScratchSize: 0
; MemoryBound: 0
; FloatMode: 240
; IeeeMode: 1
; LDSByteSize: 0 bytes/workgroup (compile time only)
; SGPRBlocks: 0
; VGPRBlocks: 8
; NumSGPRsForWavesPerEU: 15
; NumVGPRsForWavesPerEU: 71
; Occupancy: 12
; WaveLimiterHint : 1
; COMPUTE_PGM_RSRC2:SCRATCH_EN: 0
; COMPUTE_PGM_RSRC2:USER_SGPR: 6
; COMPUTE_PGM_RSRC2:TRAP_HANDLER: 0
; COMPUTE_PGM_RSRC2:TGID_X_EN: 1
; COMPUTE_PGM_RSRC2:TGID_Y_EN: 0
; COMPUTE_PGM_RSRC2:TGID_Z_EN: 0
; COMPUTE_PGM_RSRC2:TIDIG_COMP_CNT: 0
	.section	.text._ZN9rocsparseL19gebsrmvn_1xn_kernelILj128ELj10ELj64E21rocsparse_complex_numIdEEEvi20rocsparse_direction_NS_24const_host_device_scalarIT2_EEPKiS8_PKS5_SA_S6_PS5_21rocsparse_index_base_b,"axG",@progbits,_ZN9rocsparseL19gebsrmvn_1xn_kernelILj128ELj10ELj64E21rocsparse_complex_numIdEEEvi20rocsparse_direction_NS_24const_host_device_scalarIT2_EEPKiS8_PKS5_SA_S6_PS5_21rocsparse_index_base_b,comdat
	.globl	_ZN9rocsparseL19gebsrmvn_1xn_kernelILj128ELj10ELj64E21rocsparse_complex_numIdEEEvi20rocsparse_direction_NS_24const_host_device_scalarIT2_EEPKiS8_PKS5_SA_S6_PS5_21rocsparse_index_base_b ; -- Begin function _ZN9rocsparseL19gebsrmvn_1xn_kernelILj128ELj10ELj64E21rocsparse_complex_numIdEEEvi20rocsparse_direction_NS_24const_host_device_scalarIT2_EEPKiS8_PKS5_SA_S6_PS5_21rocsparse_index_base_b
	.p2align	8
	.type	_ZN9rocsparseL19gebsrmvn_1xn_kernelILj128ELj10ELj64E21rocsparse_complex_numIdEEEvi20rocsparse_direction_NS_24const_host_device_scalarIT2_EEPKiS8_PKS5_SA_S6_PS5_21rocsparse_index_base_b,@function
_ZN9rocsparseL19gebsrmvn_1xn_kernelILj128ELj10ELj64E21rocsparse_complex_numIdEEEvi20rocsparse_direction_NS_24const_host_device_scalarIT2_EEPKiS8_PKS5_SA_S6_PS5_21rocsparse_index_base_b: ; @_ZN9rocsparseL19gebsrmvn_1xn_kernelILj128ELj10ELj64E21rocsparse_complex_numIdEEEvi20rocsparse_direction_NS_24const_host_device_scalarIT2_EEPKiS8_PKS5_SA_S6_PS5_21rocsparse_index_base_b
; %bb.0:
	s_clause 0x1
	s_load_dwordx2 s[8:9], s[4:5], 0x50
	s_load_dwordx2 s[0:1], s[4:5], 0x8
	s_add_u32 s7, s4, 8
	s_addc_u32 s10, s5, 0
	s_add_u32 s11, s4, 56
	s_addc_u32 s12, s5, 0
	s_load_dwordx2 s[2:3], s[4:5], 0x38
	s_waitcnt lgkmcnt(0)
	s_bitcmp1_b32 s9, 0
	s_cselect_b32 s0, s7, s0
	s_cselect_b32 s1, s10, s1
	v_mov_b32_e32 v1, s0
	v_mov_b32_e32 v2, s1
	s_cselect_b32 s0, s11, s2
	s_cselect_b32 s1, s12, s3
	flat_load_dwordx4 v[5:8], v[1:2]
	v_mov_b32_e32 v1, s0
	v_mov_b32_e32 v2, s1
	flat_load_dwordx4 v[1:4], v[1:2]
	s_waitcnt vmcnt(1) lgkmcnt(1)
	v_cmp_eq_f64_e32 vcc_lo, 0, v[5:6]
	v_cmp_eq_f64_e64 s0, 0, v[7:8]
	s_and_b32 s2, vcc_lo, s0
	s_mov_b32 s0, -1
	s_and_saveexec_b32 s1, s2
	s_cbranch_execz .LBB272_2
; %bb.1:
	s_waitcnt vmcnt(0) lgkmcnt(0)
	v_cmp_neq_f64_e32 vcc_lo, 1.0, v[1:2]
	v_cmp_neq_f64_e64 s0, 0, v[3:4]
	s_or_b32 s0, vcc_lo, s0
	s_orn2_b32 s0, s0, exec_lo
.LBB272_2:
	s_or_b32 exec_lo, exec_lo, s1
	s_and_saveexec_b32 s1, s0
	s_cbranch_execz .LBB272_13
; %bb.3:
	s_load_dword s0, s[4:5], 0x0
	v_lshrrev_b32_e32 v9, 6, v0
	v_lshl_or_b32 v9, s6, 1, v9
	s_waitcnt lgkmcnt(0)
	v_cmp_gt_i32_e32 vcc_lo, s0, v9
	s_and_b32 exec_lo, exec_lo, vcc_lo
	s_cbranch_execz .LBB272_13
; %bb.4:
	s_clause 0x1
	s_load_dwordx2 s[0:1], s[4:5], 0x18
	s_load_dwordx2 s[6:7], s[4:5], 0x48
	v_ashrrev_i32_e32 v10, 31, v9
	v_and_b32_e32 v0, 63, v0
	v_mov_b32_e32 v16, 0
	v_mov_b32_e32 v18, 0
	;; [unrolled: 1-line block ×3, first 2 shown]
	v_lshlrev_b64 v[11:12], 2, v[9:10]
	v_subrev_nc_u32_e32 v13, s8, v0
	v_mov_b32_e32 v19, 0
	s_mov_b32 s9, exec_lo
	s_waitcnt lgkmcnt(0)
	v_add_co_u32 v11, vcc_lo, s0, v11
	v_add_co_ci_u32_e64 v12, null, s1, v12, vcc_lo
	global_load_dwordx2 v[11:12], v[11:12], off
	s_waitcnt vmcnt(0)
	v_subrev_nc_u32_e32 v20, s8, v12
	v_add_nc_u32_e32 v11, v11, v13
	v_cmpx_lt_i32_e64 v11, v20
	s_cbranch_execz .LBB272_8
; %bb.5:
	s_clause 0x1
	s_load_dwordx4 s[0:3], s[4:5], 0x20
	s_load_dwordx2 s[4:5], s[4:5], 0x30
	v_mad_u64_u32 v[13:14], null, v11, 10, 9
	v_mov_b32_e32 v16, 0
	v_mov_b32_e32 v18, 0
	;; [unrolled: 1-line block ×5, first 2 shown]
	s_mov_b32 s10, 0
.LBB272_6:                              ; =>This Inner Loop Header: Depth=1
	v_ashrrev_i32_e32 v12, 31, v11
	v_add_nc_u32_e32 v14, -9, v13
	v_mov_b32_e32 v66, v15
	v_lshlrev_b64 v[21:22], 2, v[11:12]
	v_add_nc_u32_e32 v11, 64, v11
	s_waitcnt lgkmcnt(0)
	v_add_co_u32 v21, vcc_lo, s0, v21
	v_add_co_ci_u32_e64 v22, null, s1, v22, vcc_lo
	global_load_dword v12, v[21:22], off
	v_lshlrev_b64 v[21:22], 4, v[14:15]
	v_add_nc_u32_e32 v14, -7, v13
	v_lshlrev_b64 v[23:24], 4, v[14:15]
	v_add_co_u32 v25, vcc_lo, s2, v21
	v_add_co_ci_u32_e64 v26, null, s3, v22, vcc_lo
	v_add_co_u32 v29, vcc_lo, s2, v23
	v_add_co_ci_u32_e64 v30, null, s3, v24, vcc_lo
	s_clause 0x2
	global_load_dwordx4 v[21:24], v[25:26], off offset:16
	global_load_dwordx4 v[25:28], v[25:26], off
	global_load_dwordx4 v[29:32], v[29:30], off
	s_waitcnt vmcnt(3)
	v_subrev_nc_u32_e32 v12, s8, v12
	v_mul_lo_u32 v65, v12, 10
	v_lshlrev_b64 v[33:34], 4, v[65:66]
	v_add_nc_u32_e32 v14, 2, v65
	v_lshlrev_b64 v[41:42], 4, v[14:15]
	v_add_co_u32 v37, vcc_lo, s4, v33
	v_add_co_ci_u32_e64 v38, null, s5, v34, vcc_lo
	v_add_nc_u32_e32 v14, -6, v13
	v_add_co_u32 v47, vcc_lo, s4, v41
	s_clause 0x1
	global_load_dwordx4 v[33:36], v[37:38], off
	global_load_dwordx4 v[37:40], v[37:38], off offset:16
	v_add_co_ci_u32_e64 v48, null, s5, v42, vcc_lo
	v_lshlrev_b64 v[45:46], 4, v[14:15]
	v_add_nc_u32_e32 v14, -5, v13
	global_load_dwordx4 v[41:44], v[47:48], off
	v_add_co_u32 v49, vcc_lo, s2, v45
	v_add_co_ci_u32_e64 v50, null, s3, v46, vcc_lo
	global_load_dwordx4 v[45:48], v[47:48], off offset:16
	global_load_dwordx4 v[49:52], v[49:50], off
	v_lshlrev_b64 v[53:54], 4, v[14:15]
	v_add_nc_u32_e32 v14, 4, v65
	v_lshlrev_b64 v[55:56], 4, v[14:15]
	v_add_co_u32 v53, vcc_lo, s2, v53
	v_add_co_ci_u32_e64 v54, null, s3, v54, vcc_lo
	v_add_nc_u32_e32 v14, -4, v13
	v_add_co_u32 v61, vcc_lo, s4, v55
	v_add_co_ci_u32_e64 v62, null, s5, v56, vcc_lo
	global_load_dwordx4 v[53:56], v[53:54], off
	global_load_dwordx4 v[57:60], v[61:62], off
	v_lshlrev_b64 v[63:64], 4, v[14:15]
	v_add_nc_u32_e32 v14, -3, v13
	v_add_co_u32 v66, vcc_lo, s2, v63
	v_add_co_ci_u32_e64 v67, null, s3, v64, vcc_lo
	global_load_dwordx4 v[61:64], v[61:62], off offset:16
	s_waitcnt vmcnt(7)
	v_fma_f64 v[18:19], v[25:26], v[33:34], v[18:19]
	v_fma_f64 v[16:17], v[27:28], v[33:34], v[16:17]
	v_fma_f64 v[33:34], -v[27:28], v[35:36], v[18:19]
	v_fma_f64 v[35:36], v[25:26], v[35:36], v[16:17]
	global_load_dwordx4 v[16:19], v[66:67], off
	v_lshlrev_b64 v[25:26], 4, v[14:15]
	v_add_nc_u32_e32 v14, 6, v65
	v_lshlrev_b64 v[27:28], 4, v[14:15]
	v_add_co_u32 v25, vcc_lo, s2, v25
	v_add_co_ci_u32_e64 v26, null, s3, v26, vcc_lo
	v_add_nc_u32_e32 v14, -2, v13
	v_add_co_u32 v66, vcc_lo, s4, v27
	v_add_co_ci_u32_e64 v67, null, s5, v28, vcc_lo
	global_load_dwordx4 v[25:28], v[25:26], off
	s_waitcnt vmcnt(8)
	v_fma_f64 v[33:34], v[21:22], v[37:38], v[33:34]
	v_fma_f64 v[35:36], v[23:24], v[37:38], v[35:36]
	v_fma_f64 v[37:38], -v[23:24], v[39:40], v[33:34]
	v_fma_f64 v[39:40], v[21:22], v[39:40], v[35:36]
	global_load_dwordx4 v[21:24], v[66:67], off
	v_lshlrev_b64 v[33:34], 4, v[14:15]
	v_add_nc_u32_e32 v14, -1, v13
	v_add_co_u32 v68, vcc_lo, s2, v33
	v_add_co_ci_u32_e64 v69, null, s3, v34, vcc_lo
	global_load_dwordx4 v[33:36], v[66:67], off offset:16
	s_waitcnt vmcnt(9)
	v_fma_f64 v[37:38], v[29:30], v[41:42], v[37:38]
	v_fma_f64 v[39:40], v[31:32], v[41:42], v[39:40]
	v_fma_f64 v[41:42], -v[31:32], v[43:44], v[37:38]
	v_fma_f64 v[43:44], v[29:30], v[43:44], v[39:40]
	global_load_dwordx4 v[29:32], v[68:69], off
	v_lshlrev_b64 v[37:38], 4, v[14:15]
	v_add_nc_u32_e32 v14, 8, v65
	v_lshlrev_b64 v[39:40], 4, v[14:15]
	v_add_co_u32 v37, vcc_lo, s2, v37
	v_add_co_ci_u32_e64 v38, null, s3, v38, vcc_lo
	v_mov_b32_e32 v14, v15
	v_add_co_u32 v65, vcc_lo, s4, v39
	v_add_co_ci_u32_e64 v66, null, s5, v40, vcc_lo
	global_load_dwordx4 v[37:40], v[37:38], off
	s_waitcnt vmcnt(9)
	v_fma_f64 v[41:42], v[49:50], v[45:46], v[41:42]
	v_fma_f64 v[43:44], v[51:52], v[45:46], v[43:44]
	v_lshlrev_b64 v[45:46], 4, v[13:14]
	v_add_nc_u32_e32 v13, 0x280, v13
	v_add_co_u32 v45, vcc_lo, s2, v45
	v_add_co_ci_u32_e64 v46, null, s3, v46, vcc_lo
	v_cmp_ge_i32_e32 vcc_lo, v11, v20
	s_or_b32 s10, vcc_lo, s10
	v_fma_f64 v[67:68], -v[51:52], v[47:48], v[41:42]
	v_fma_f64 v[69:70], v[49:50], v[47:48], v[43:44]
	global_load_dwordx4 v[41:44], v[65:66], off
	global_load_dwordx4 v[45:48], v[45:46], off
	global_load_dwordx4 v[49:52], v[65:66], off offset:16
	s_waitcnt vmcnt(10)
	v_fma_f64 v[65:66], v[53:54], v[57:58], v[67:68]
	v_fma_f64 v[57:58], v[55:56], v[57:58], v[69:70]
	v_fma_f64 v[55:56], -v[55:56], v[59:60], v[65:66]
	v_fma_f64 v[53:54], v[53:54], v[59:60], v[57:58]
	s_waitcnt vmcnt(8)
	v_fma_f64 v[55:56], v[16:17], v[61:62], v[55:56]
	v_fma_f64 v[53:54], v[18:19], v[61:62], v[53:54]
	v_fma_f64 v[18:19], -v[18:19], v[63:64], v[55:56]
	v_fma_f64 v[16:17], v[16:17], v[63:64], v[53:54]
	;; [unrolled: 5-line block ×6, first 2 shown]
	s_andn2_b32 exec_lo, exec_lo, s10
	s_cbranch_execnz .LBB272_6
; %bb.7:
	s_or_b32 exec_lo, exec_lo, s10
.LBB272_8:
	s_or_b32 exec_lo, exec_lo, s9
	v_mbcnt_lo_u32_b32 v20, -1, 0
	v_or_b32_e32 v11, 32, v20
	v_xor_b32_e32 v15, 16, v20
	v_cmp_gt_i32_e32 vcc_lo, 32, v11
	v_cndmask_b32_e32 v11, v20, v11, vcc_lo
	v_cmp_gt_i32_e32 vcc_lo, 32, v15
	v_lshlrev_b32_e32 v14, 2, v11
	v_cndmask_b32_e32 v15, v20, v15, vcc_lo
	ds_bpermute_b32 v11, v14, v18
	ds_bpermute_b32 v12, v14, v19
	;; [unrolled: 1-line block ×4, first 2 shown]
	s_waitcnt lgkmcnt(2)
	v_add_f64 v[11:12], v[18:19], v[11:12]
	v_lshlrev_b32_e32 v18, 2, v15
	s_waitcnt lgkmcnt(0)
	v_add_f64 v[13:14], v[16:17], v[13:14]
	ds_bpermute_b32 v15, v18, v11
	ds_bpermute_b32 v16, v18, v12
	ds_bpermute_b32 v17, v18, v13
	ds_bpermute_b32 v18, v18, v14
	s_waitcnt lgkmcnt(2)
	v_add_f64 v[11:12], v[11:12], v[15:16]
	v_xor_b32_e32 v15, 8, v20
	s_waitcnt lgkmcnt(0)
	v_add_f64 v[13:14], v[13:14], v[17:18]
	v_cmp_gt_i32_e32 vcc_lo, 32, v15
	v_cndmask_b32_e32 v15, v20, v15, vcc_lo
	v_lshlrev_b32_e32 v18, 2, v15
	ds_bpermute_b32 v15, v18, v11
	ds_bpermute_b32 v16, v18, v12
	ds_bpermute_b32 v17, v18, v13
	ds_bpermute_b32 v18, v18, v14
	s_waitcnt lgkmcnt(2)
	v_add_f64 v[11:12], v[11:12], v[15:16]
	v_xor_b32_e32 v15, 4, v20
	s_waitcnt lgkmcnt(0)
	v_add_f64 v[13:14], v[13:14], v[17:18]
	v_cmp_gt_i32_e32 vcc_lo, 32, v15
	v_cndmask_b32_e32 v15, v20, v15, vcc_lo
	v_lshlrev_b32_e32 v18, 2, v15
	;; [unrolled: 12-line block ×3, first 2 shown]
	ds_bpermute_b32 v15, v18, v11
	ds_bpermute_b32 v16, v18, v12
	;; [unrolled: 1-line block ×4, first 2 shown]
	s_waitcnt lgkmcnt(2)
	v_add_f64 v[11:12], v[11:12], v[15:16]
	v_xor_b32_e32 v15, 1, v20
	s_waitcnt lgkmcnt(0)
	v_add_f64 v[13:14], v[13:14], v[17:18]
	v_cmp_gt_i32_e32 vcc_lo, 32, v15
	v_cndmask_b32_e32 v15, v20, v15, vcc_lo
	v_cmp_eq_u32_e32 vcc_lo, 63, v0
	v_lshlrev_b32_e32 v18, 2, v15
	ds_bpermute_b32 v15, v18, v11
	ds_bpermute_b32 v16, v18, v12
	;; [unrolled: 1-line block ×4, first 2 shown]
	s_and_b32 exec_lo, exec_lo, vcc_lo
	s_cbranch_execz .LBB272_13
; %bb.9:
	s_waitcnt lgkmcnt(0)
	v_add_f64 v[13:14], v[13:14], v[17:18]
	v_add_f64 v[11:12], v[11:12], v[15:16]
	v_cmp_eq_f64_e32 vcc_lo, 0, v[1:2]
	v_cmp_eq_f64_e64 s0, 0, v[3:4]
	v_lshlrev_b64 v[9:10], 4, v[9:10]
	v_mul_f64 v[15:16], v[13:14], -v[7:8]
	v_mul_f64 v[13:14], v[5:6], v[13:14]
	s_and_b32 s0, vcc_lo, s0
	v_fma_f64 v[5:6], v[5:6], v[11:12], v[15:16]
	v_fma_f64 v[7:8], v[7:8], v[11:12], v[13:14]
	s_and_saveexec_b32 s1, s0
	s_xor_b32 s0, exec_lo, s1
	s_cbranch_execz .LBB272_11
; %bb.10:
	v_add_co_u32 v0, vcc_lo, s6, v9
	v_add_co_ci_u32_e64 v1, null, s7, v10, vcc_lo
                                        ; implicit-def: $vgpr9_vgpr10
	global_store_dwordx4 v[0:1], v[5:8], off
                                        ; implicit-def: $vgpr1_vgpr2
                                        ; implicit-def: $vgpr5_vgpr6
.LBB272_11:
	s_andn2_saveexec_b32 s0, s0
	s_cbranch_execz .LBB272_13
; %bb.12:
	v_add_co_u32 v13, vcc_lo, s6, v9
	v_add_co_ci_u32_e64 v14, null, s7, v10, vcc_lo
	global_load_dwordx4 v[9:12], v[13:14], off
	s_waitcnt vmcnt(0)
	v_fma_f64 v[5:6], v[1:2], v[9:10], v[5:6]
	v_fma_f64 v[7:8], v[3:4], v[9:10], v[7:8]
	v_fma_f64 v[3:4], -v[3:4], v[11:12], v[5:6]
	v_fma_f64 v[5:6], v[1:2], v[11:12], v[7:8]
	global_store_dwordx4 v[13:14], v[3:6], off
.LBB272_13:
	s_endpgm
	.section	.rodata,"a",@progbits
	.p2align	6, 0x0
	.amdhsa_kernel _ZN9rocsparseL19gebsrmvn_1xn_kernelILj128ELj10ELj64E21rocsparse_complex_numIdEEEvi20rocsparse_direction_NS_24const_host_device_scalarIT2_EEPKiS8_PKS5_SA_S6_PS5_21rocsparse_index_base_b
		.amdhsa_group_segment_fixed_size 0
		.amdhsa_private_segment_fixed_size 0
		.amdhsa_kernarg_size 88
		.amdhsa_user_sgpr_count 6
		.amdhsa_user_sgpr_private_segment_buffer 1
		.amdhsa_user_sgpr_dispatch_ptr 0
		.amdhsa_user_sgpr_queue_ptr 0
		.amdhsa_user_sgpr_kernarg_segment_ptr 1
		.amdhsa_user_sgpr_dispatch_id 0
		.amdhsa_user_sgpr_flat_scratch_init 0
		.amdhsa_user_sgpr_private_segment_size 0
		.amdhsa_wavefront_size32 1
		.amdhsa_uses_dynamic_stack 0
		.amdhsa_system_sgpr_private_segment_wavefront_offset 0
		.amdhsa_system_sgpr_workgroup_id_x 1
		.amdhsa_system_sgpr_workgroup_id_y 0
		.amdhsa_system_sgpr_workgroup_id_z 0
		.amdhsa_system_sgpr_workgroup_info 0
		.amdhsa_system_vgpr_workitem_id 0
		.amdhsa_next_free_vgpr 71
		.amdhsa_next_free_sgpr 13
		.amdhsa_reserve_vcc 1
		.amdhsa_reserve_flat_scratch 0
		.amdhsa_float_round_mode_32 0
		.amdhsa_float_round_mode_16_64 0
		.amdhsa_float_denorm_mode_32 3
		.amdhsa_float_denorm_mode_16_64 3
		.amdhsa_dx10_clamp 1
		.amdhsa_ieee_mode 1
		.amdhsa_fp16_overflow 0
		.amdhsa_workgroup_processor_mode 1
		.amdhsa_memory_ordered 1
		.amdhsa_forward_progress 1
		.amdhsa_shared_vgpr_count 0
		.amdhsa_exception_fp_ieee_invalid_op 0
		.amdhsa_exception_fp_denorm_src 0
		.amdhsa_exception_fp_ieee_div_zero 0
		.amdhsa_exception_fp_ieee_overflow 0
		.amdhsa_exception_fp_ieee_underflow 0
		.amdhsa_exception_fp_ieee_inexact 0
		.amdhsa_exception_int_div_zero 0
	.end_amdhsa_kernel
	.section	.text._ZN9rocsparseL19gebsrmvn_1xn_kernelILj128ELj10ELj64E21rocsparse_complex_numIdEEEvi20rocsparse_direction_NS_24const_host_device_scalarIT2_EEPKiS8_PKS5_SA_S6_PS5_21rocsparse_index_base_b,"axG",@progbits,_ZN9rocsparseL19gebsrmvn_1xn_kernelILj128ELj10ELj64E21rocsparse_complex_numIdEEEvi20rocsparse_direction_NS_24const_host_device_scalarIT2_EEPKiS8_PKS5_SA_S6_PS5_21rocsparse_index_base_b,comdat
.Lfunc_end272:
	.size	_ZN9rocsparseL19gebsrmvn_1xn_kernelILj128ELj10ELj64E21rocsparse_complex_numIdEEEvi20rocsparse_direction_NS_24const_host_device_scalarIT2_EEPKiS8_PKS5_SA_S6_PS5_21rocsparse_index_base_b, .Lfunc_end272-_ZN9rocsparseL19gebsrmvn_1xn_kernelILj128ELj10ELj64E21rocsparse_complex_numIdEEEvi20rocsparse_direction_NS_24const_host_device_scalarIT2_EEPKiS8_PKS5_SA_S6_PS5_21rocsparse_index_base_b
                                        ; -- End function
	.set _ZN9rocsparseL19gebsrmvn_1xn_kernelILj128ELj10ELj64E21rocsparse_complex_numIdEEEvi20rocsparse_direction_NS_24const_host_device_scalarIT2_EEPKiS8_PKS5_SA_S6_PS5_21rocsparse_index_base_b.num_vgpr, 71
	.set _ZN9rocsparseL19gebsrmvn_1xn_kernelILj128ELj10ELj64E21rocsparse_complex_numIdEEEvi20rocsparse_direction_NS_24const_host_device_scalarIT2_EEPKiS8_PKS5_SA_S6_PS5_21rocsparse_index_base_b.num_agpr, 0
	.set _ZN9rocsparseL19gebsrmvn_1xn_kernelILj128ELj10ELj64E21rocsparse_complex_numIdEEEvi20rocsparse_direction_NS_24const_host_device_scalarIT2_EEPKiS8_PKS5_SA_S6_PS5_21rocsparse_index_base_b.numbered_sgpr, 13
	.set _ZN9rocsparseL19gebsrmvn_1xn_kernelILj128ELj10ELj64E21rocsparse_complex_numIdEEEvi20rocsparse_direction_NS_24const_host_device_scalarIT2_EEPKiS8_PKS5_SA_S6_PS5_21rocsparse_index_base_b.num_named_barrier, 0
	.set _ZN9rocsparseL19gebsrmvn_1xn_kernelILj128ELj10ELj64E21rocsparse_complex_numIdEEEvi20rocsparse_direction_NS_24const_host_device_scalarIT2_EEPKiS8_PKS5_SA_S6_PS5_21rocsparse_index_base_b.private_seg_size, 0
	.set _ZN9rocsparseL19gebsrmvn_1xn_kernelILj128ELj10ELj64E21rocsparse_complex_numIdEEEvi20rocsparse_direction_NS_24const_host_device_scalarIT2_EEPKiS8_PKS5_SA_S6_PS5_21rocsparse_index_base_b.uses_vcc, 1
	.set _ZN9rocsparseL19gebsrmvn_1xn_kernelILj128ELj10ELj64E21rocsparse_complex_numIdEEEvi20rocsparse_direction_NS_24const_host_device_scalarIT2_EEPKiS8_PKS5_SA_S6_PS5_21rocsparse_index_base_b.uses_flat_scratch, 0
	.set _ZN9rocsparseL19gebsrmvn_1xn_kernelILj128ELj10ELj64E21rocsparse_complex_numIdEEEvi20rocsparse_direction_NS_24const_host_device_scalarIT2_EEPKiS8_PKS5_SA_S6_PS5_21rocsparse_index_base_b.has_dyn_sized_stack, 0
	.set _ZN9rocsparseL19gebsrmvn_1xn_kernelILj128ELj10ELj64E21rocsparse_complex_numIdEEEvi20rocsparse_direction_NS_24const_host_device_scalarIT2_EEPKiS8_PKS5_SA_S6_PS5_21rocsparse_index_base_b.has_recursion, 0
	.set _ZN9rocsparseL19gebsrmvn_1xn_kernelILj128ELj10ELj64E21rocsparse_complex_numIdEEEvi20rocsparse_direction_NS_24const_host_device_scalarIT2_EEPKiS8_PKS5_SA_S6_PS5_21rocsparse_index_base_b.has_indirect_call, 0
	.section	.AMDGPU.csdata,"",@progbits
; Kernel info:
; codeLenInByte = 2000
; TotalNumSgprs: 15
; NumVgprs: 71
; ScratchSize: 0
; MemoryBound: 0
; FloatMode: 240
; IeeeMode: 1
; LDSByteSize: 0 bytes/workgroup (compile time only)
; SGPRBlocks: 0
; VGPRBlocks: 8
; NumSGPRsForWavesPerEU: 15
; NumVGPRsForWavesPerEU: 71
; Occupancy: 12
; WaveLimiterHint : 1
; COMPUTE_PGM_RSRC2:SCRATCH_EN: 0
; COMPUTE_PGM_RSRC2:USER_SGPR: 6
; COMPUTE_PGM_RSRC2:TRAP_HANDLER: 0
; COMPUTE_PGM_RSRC2:TGID_X_EN: 1
; COMPUTE_PGM_RSRC2:TGID_Y_EN: 0
; COMPUTE_PGM_RSRC2:TGID_Z_EN: 0
; COMPUTE_PGM_RSRC2:TIDIG_COMP_CNT: 0
	.section	.text._ZN9rocsparseL19gebsrmvn_1xn_kernelILj128ELj11ELj4E21rocsparse_complex_numIdEEEvi20rocsparse_direction_NS_24const_host_device_scalarIT2_EEPKiS8_PKS5_SA_S6_PS5_21rocsparse_index_base_b,"axG",@progbits,_ZN9rocsparseL19gebsrmvn_1xn_kernelILj128ELj11ELj4E21rocsparse_complex_numIdEEEvi20rocsparse_direction_NS_24const_host_device_scalarIT2_EEPKiS8_PKS5_SA_S6_PS5_21rocsparse_index_base_b,comdat
	.globl	_ZN9rocsparseL19gebsrmvn_1xn_kernelILj128ELj11ELj4E21rocsparse_complex_numIdEEEvi20rocsparse_direction_NS_24const_host_device_scalarIT2_EEPKiS8_PKS5_SA_S6_PS5_21rocsparse_index_base_b ; -- Begin function _ZN9rocsparseL19gebsrmvn_1xn_kernelILj128ELj11ELj4E21rocsparse_complex_numIdEEEvi20rocsparse_direction_NS_24const_host_device_scalarIT2_EEPKiS8_PKS5_SA_S6_PS5_21rocsparse_index_base_b
	.p2align	8
	.type	_ZN9rocsparseL19gebsrmvn_1xn_kernelILj128ELj11ELj4E21rocsparse_complex_numIdEEEvi20rocsparse_direction_NS_24const_host_device_scalarIT2_EEPKiS8_PKS5_SA_S6_PS5_21rocsparse_index_base_b,@function
_ZN9rocsparseL19gebsrmvn_1xn_kernelILj128ELj11ELj4E21rocsparse_complex_numIdEEEvi20rocsparse_direction_NS_24const_host_device_scalarIT2_EEPKiS8_PKS5_SA_S6_PS5_21rocsparse_index_base_b: ; @_ZN9rocsparseL19gebsrmvn_1xn_kernelILj128ELj11ELj4E21rocsparse_complex_numIdEEEvi20rocsparse_direction_NS_24const_host_device_scalarIT2_EEPKiS8_PKS5_SA_S6_PS5_21rocsparse_index_base_b
; %bb.0:
	s_clause 0x1
	s_load_dwordx2 s[8:9], s[4:5], 0x50
	s_load_dwordx2 s[0:1], s[4:5], 0x8
	s_add_u32 s7, s4, 8
	s_addc_u32 s10, s5, 0
	s_add_u32 s11, s4, 56
	s_addc_u32 s12, s5, 0
	s_load_dwordx2 s[2:3], s[4:5], 0x38
	s_waitcnt lgkmcnt(0)
	s_bitcmp1_b32 s9, 0
	s_cselect_b32 s0, s7, s0
	s_cselect_b32 s1, s10, s1
	v_mov_b32_e32 v1, s0
	v_mov_b32_e32 v2, s1
	s_cselect_b32 s0, s11, s2
	s_cselect_b32 s1, s12, s3
	flat_load_dwordx4 v[5:8], v[1:2]
	v_mov_b32_e32 v1, s0
	v_mov_b32_e32 v2, s1
	flat_load_dwordx4 v[1:4], v[1:2]
	s_waitcnt vmcnt(1) lgkmcnt(1)
	v_cmp_eq_f64_e32 vcc_lo, 0, v[5:6]
	v_cmp_eq_f64_e64 s0, 0, v[7:8]
	s_and_b32 s2, vcc_lo, s0
	s_mov_b32 s0, -1
	s_and_saveexec_b32 s1, s2
	s_cbranch_execz .LBB273_2
; %bb.1:
	s_waitcnt vmcnt(0) lgkmcnt(0)
	v_cmp_neq_f64_e32 vcc_lo, 1.0, v[1:2]
	v_cmp_neq_f64_e64 s0, 0, v[3:4]
	s_or_b32 s0, vcc_lo, s0
	s_orn2_b32 s0, s0, exec_lo
.LBB273_2:
	s_or_b32 exec_lo, exec_lo, s1
	s_and_saveexec_b32 s1, s0
	s_cbranch_execz .LBB273_13
; %bb.3:
	s_load_dword s0, s[4:5], 0x0
	v_lshrrev_b32_e32 v9, 2, v0
	v_lshl_or_b32 v9, s6, 5, v9
	s_waitcnt lgkmcnt(0)
	v_cmp_gt_i32_e32 vcc_lo, s0, v9
	s_and_b32 exec_lo, exec_lo, vcc_lo
	s_cbranch_execz .LBB273_13
; %bb.4:
	s_clause 0x1
	s_load_dwordx2 s[0:1], s[4:5], 0x18
	s_load_dwordx2 s[6:7], s[4:5], 0x48
	v_ashrrev_i32_e32 v10, 31, v9
	v_and_b32_e32 v0, 3, v0
	v_mov_b32_e32 v16, 0
	v_mov_b32_e32 v18, 0
	;; [unrolled: 1-line block ×3, first 2 shown]
	v_lshlrev_b64 v[11:12], 2, v[9:10]
	v_subrev_nc_u32_e32 v13, s8, v0
	v_mov_b32_e32 v19, 0
	s_mov_b32 s9, exec_lo
	s_waitcnt lgkmcnt(0)
	v_add_co_u32 v11, vcc_lo, s0, v11
	v_add_co_ci_u32_e64 v12, null, s1, v12, vcc_lo
	global_load_dwordx2 v[11:12], v[11:12], off
	s_waitcnt vmcnt(0)
	v_subrev_nc_u32_e32 v20, s8, v12
	v_add_nc_u32_e32 v11, v11, v13
	v_cmpx_lt_i32_e64 v11, v20
	s_cbranch_execz .LBB273_8
; %bb.5:
	s_clause 0x1
	s_load_dwordx4 s[0:3], s[4:5], 0x20
	s_load_dwordx2 s[4:5], s[4:5], 0x30
	v_mad_u64_u32 v[13:14], null, v11, 11, 10
	v_mov_b32_e32 v16, 0
	v_mov_b32_e32 v18, 0
	;; [unrolled: 1-line block ×5, first 2 shown]
	s_mov_b32 s10, 0
.LBB273_6:                              ; =>This Inner Loop Header: Depth=1
	v_ashrrev_i32_e32 v12, 31, v11
	v_add_nc_u32_e32 v14, -10, v13
	v_mov_b32_e32 v62, v15
	v_lshlrev_b64 v[21:22], 2, v[11:12]
	v_add_nc_u32_e32 v11, 4, v11
	s_waitcnt lgkmcnt(0)
	v_add_co_u32 v21, vcc_lo, s0, v21
	v_add_co_ci_u32_e64 v22, null, s1, v22, vcc_lo
	global_load_dword v12, v[21:22], off
	v_lshlrev_b64 v[21:22], 4, v[14:15]
	v_add_nc_u32_e32 v14, -9, v13
	v_lshlrev_b64 v[23:24], 4, v[14:15]
	v_add_co_u32 v21, vcc_lo, s2, v21
	v_add_co_ci_u32_e64 v22, null, s3, v22, vcc_lo
	v_add_co_u32 v25, vcc_lo, s2, v23
	v_add_co_ci_u32_e64 v26, null, s3, v24, vcc_lo
	s_clause 0x1
	global_load_dwordx4 v[21:24], v[21:22], off
	global_load_dwordx4 v[25:28], v[25:26], off
	s_waitcnt vmcnt(2)
	v_subrev_nc_u32_e32 v12, s8, v12
	v_mul_lo_u32 v61, v12, 11
	v_lshlrev_b64 v[29:30], 4, v[61:62]
	v_add_nc_u32_e32 v14, 1, v61
	v_lshlrev_b64 v[33:34], 4, v[14:15]
	v_add_co_u32 v29, vcc_lo, s4, v29
	v_add_co_ci_u32_e64 v30, null, s5, v30, vcc_lo
	v_add_nc_u32_e32 v14, -8, v13
	v_add_co_u32 v33, vcc_lo, s4, v33
	global_load_dwordx4 v[29:32], v[29:30], off
	v_add_co_ci_u32_e64 v34, null, s5, v34, vcc_lo
	v_lshlrev_b64 v[37:38], 4, v[14:15]
	v_add_nc_u32_e32 v14, 2, v61
	global_load_dwordx4 v[33:36], v[33:34], off
	v_lshlrev_b64 v[39:40], 4, v[14:15]
	v_add_co_u32 v37, vcc_lo, s2, v37
	v_add_co_ci_u32_e64 v38, null, s3, v38, vcc_lo
	v_add_nc_u32_e32 v14, -7, v13
	v_add_co_u32 v41, vcc_lo, s4, v39
	v_add_co_ci_u32_e64 v42, null, s5, v40, vcc_lo
	global_load_dwordx4 v[37:40], v[37:38], off
	v_lshlrev_b64 v[45:46], 4, v[14:15]
	v_add_nc_u32_e32 v14, 3, v61
	global_load_dwordx4 v[41:44], v[41:42], off
	v_lshlrev_b64 v[47:48], 4, v[14:15]
	v_add_co_u32 v45, vcc_lo, s2, v45
	v_add_co_ci_u32_e64 v46, null, s3, v46, vcc_lo
	v_add_nc_u32_e32 v14, -6, v13
	v_add_co_u32 v49, vcc_lo, s4, v47
	v_add_co_ci_u32_e64 v50, null, s5, v48, vcc_lo
	global_load_dwordx4 v[45:48], v[45:46], off
	v_lshlrev_b64 v[53:54], 4, v[14:15]
	v_add_nc_u32_e32 v14, 4, v61
	global_load_dwordx4 v[49:52], v[49:50], off
	v_lshlrev_b64 v[55:56], 4, v[14:15]
	v_add_co_u32 v53, vcc_lo, s2, v53
	v_add_co_ci_u32_e64 v54, null, s3, v54, vcc_lo
	v_add_nc_u32_e32 v14, -5, v13
	v_add_co_u32 v57, vcc_lo, s4, v55
	v_add_co_ci_u32_e64 v58, null, s5, v56, vcc_lo
	global_load_dwordx4 v[53:56], v[53:54], off
	global_load_dwordx4 v[57:60], v[57:58], off
	v_lshlrev_b64 v[62:63], 4, v[14:15]
	v_add_nc_u32_e32 v14, 5, v61
	v_lshlrev_b64 v[64:65], 4, v[14:15]
	v_add_co_u32 v62, vcc_lo, s2, v62
	v_add_co_ci_u32_e64 v63, null, s3, v63, vcc_lo
	v_add_nc_u32_e32 v14, -4, v13
	v_add_co_u32 v64, vcc_lo, s4, v64
	v_add_co_ci_u32_e64 v65, null, s5, v65, vcc_lo
	v_lshlrev_b64 v[66:67], 4, v[14:15]
	v_add_nc_u32_e32 v14, 6, v61
	s_waitcnt vmcnt(7)
	v_fma_f64 v[18:19], v[21:22], v[29:30], v[18:19]
	v_fma_f64 v[16:17], v[23:24], v[29:30], v[16:17]
	v_fma_f64 v[29:30], -v[23:24], v[31:32], v[18:19]
	v_fma_f64 v[31:32], v[21:22], v[31:32], v[16:17]
	global_load_dwordx4 v[16:19], v[62:63], off
	global_load_dwordx4 v[21:24], v[64:65], off
	v_lshlrev_b64 v[62:63], 4, v[14:15]
	v_add_co_u32 v64, vcc_lo, s2, v66
	v_add_co_ci_u32_e64 v65, null, s3, v67, vcc_lo
	v_add_nc_u32_e32 v14, -3, v13
	v_add_co_u32 v62, vcc_lo, s4, v62
	v_add_co_ci_u32_e64 v63, null, s5, v63, vcc_lo
	v_lshlrev_b64 v[66:67], 4, v[14:15]
	v_add_nc_u32_e32 v14, 7, v61
	s_waitcnt vmcnt(8)
	v_fma_f64 v[29:30], v[25:26], v[33:34], v[29:30]
	v_fma_f64 v[31:32], v[27:28], v[33:34], v[31:32]
	v_lshlrev_b64 v[33:34], 4, v[14:15]
	v_add_nc_u32_e32 v14, -2, v13
	v_fma_f64 v[68:69], -v[27:28], v[35:36], v[29:30]
	v_fma_f64 v[70:71], v[25:26], v[35:36], v[31:32]
	global_load_dwordx4 v[25:28], v[64:65], off
	global_load_dwordx4 v[29:32], v[62:63], off
	v_add_co_u32 v35, vcc_lo, s2, v66
	v_add_co_ci_u32_e64 v36, null, s3, v67, vcc_lo
	v_add_co_u32 v62, vcc_lo, s4, v33
	v_add_co_ci_u32_e64 v63, null, s5, v34, vcc_lo
	global_load_dwordx4 v[33:36], v[35:36], off
	s_waitcnt vmcnt(9)
	v_fma_f64 v[64:65], v[37:38], v[41:42], v[68:69]
	v_fma_f64 v[41:42], v[39:40], v[41:42], v[70:71]
	v_fma_f64 v[64:65], -v[39:40], v[43:44], v[64:65]
	v_fma_f64 v[66:67], v[37:38], v[43:44], v[41:42]
	global_load_dwordx4 v[37:40], v[62:63], off
	v_lshlrev_b64 v[41:42], 4, v[14:15]
	v_add_nc_u32_e32 v14, 8, v61
	v_lshlrev_b64 v[43:44], 4, v[14:15]
	v_add_co_u32 v41, vcc_lo, s2, v41
	v_add_co_ci_u32_e64 v42, null, s3, v42, vcc_lo
	v_add_nc_u32_e32 v14, -1, v13
	v_add_co_u32 v62, vcc_lo, s4, v43
	v_add_co_ci_u32_e64 v63, null, s5, v44, vcc_lo
	global_load_dwordx4 v[41:44], v[41:42], off
	s_waitcnt vmcnt(9)
	v_fma_f64 v[64:65], v[45:46], v[49:50], v[64:65]
	v_fma_f64 v[49:50], v[47:48], v[49:50], v[66:67]
	v_fma_f64 v[64:65], -v[47:48], v[51:52], v[64:65]
	v_fma_f64 v[66:67], v[45:46], v[51:52], v[49:50]
	global_load_dwordx4 v[45:48], v[62:63], off
	v_lshlrev_b64 v[49:50], 4, v[14:15]
	v_add_nc_u32_e32 v14, 9, v61
	v_lshlrev_b64 v[51:52], 4, v[14:15]
	v_add_co_u32 v49, vcc_lo, s2, v49
	v_add_co_ci_u32_e64 v50, null, s3, v50, vcc_lo
	v_mov_b32_e32 v14, v15
	v_add_co_u32 v62, vcc_lo, s4, v51
	v_add_co_ci_u32_e64 v63, null, s5, v52, vcc_lo
	global_load_dwordx4 v[49:52], v[49:50], off
	s_waitcnt vmcnt(9)
	v_fma_f64 v[64:65], v[53:54], v[57:58], v[64:65]
	v_fma_f64 v[57:58], v[55:56], v[57:58], v[66:67]
	v_fma_f64 v[65:66], -v[55:56], v[59:60], v[64:65]
	v_fma_f64 v[67:68], v[53:54], v[59:60], v[57:58]
	global_load_dwordx4 v[53:56], v[62:63], off
	v_lshlrev_b64 v[57:58], 4, v[13:14]
	v_add_nc_u32_e32 v14, 10, v61
	v_add_nc_u32_e32 v13, 44, v13
	v_lshlrev_b64 v[59:60], 4, v[14:15]
	v_add_co_u32 v57, vcc_lo, s2, v57
	v_add_co_ci_u32_e64 v58, null, s3, v58, vcc_lo
	v_add_co_u32 v61, vcc_lo, s4, v59
	v_add_co_ci_u32_e64 v62, null, s5, v60, vcc_lo
	global_load_dwordx4 v[57:60], v[57:58], off
	global_load_dwordx4 v[61:64], v[61:62], off
	v_cmp_ge_i32_e32 vcc_lo, v11, v20
	s_or_b32 s10, vcc_lo, s10
	s_waitcnt vmcnt(10)
	v_fma_f64 v[65:66], v[16:17], v[21:22], v[65:66]
	v_fma_f64 v[21:22], v[18:19], v[21:22], v[67:68]
	v_fma_f64 v[18:19], -v[18:19], v[23:24], v[65:66]
	v_fma_f64 v[16:17], v[16:17], v[23:24], v[21:22]
	s_waitcnt vmcnt(8)
	v_fma_f64 v[18:19], v[25:26], v[29:30], v[18:19]
	v_fma_f64 v[16:17], v[27:28], v[29:30], v[16:17]
	v_fma_f64 v[18:19], -v[27:28], v[31:32], v[18:19]
	v_fma_f64 v[16:17], v[25:26], v[31:32], v[16:17]
	;; [unrolled: 5-line block ×6, first 2 shown]
	s_andn2_b32 exec_lo, exec_lo, s10
	s_cbranch_execnz .LBB273_6
; %bb.7:
	s_or_b32 exec_lo, exec_lo, s10
.LBB273_8:
	s_or_b32 exec_lo, exec_lo, s9
	v_mbcnt_lo_u32_b32 v15, -1, 0
	v_xor_b32_e32 v11, 2, v15
	v_cmp_gt_i32_e32 vcc_lo, 32, v11
	v_cndmask_b32_e32 v11, v15, v11, vcc_lo
	v_lshlrev_b32_e32 v14, 2, v11
	ds_bpermute_b32 v11, v14, v18
	ds_bpermute_b32 v12, v14, v19
	;; [unrolled: 1-line block ×4, first 2 shown]
	s_waitcnt lgkmcnt(2)
	v_add_f64 v[11:12], v[18:19], v[11:12]
	s_waitcnt lgkmcnt(0)
	v_add_f64 v[13:14], v[16:17], v[13:14]
	v_xor_b32_e32 v16, 1, v15
	v_cmp_gt_i32_e32 vcc_lo, 32, v16
	v_cndmask_b32_e32 v15, v15, v16, vcc_lo
	v_cmp_eq_u32_e32 vcc_lo, 3, v0
	v_lshlrev_b32_e32 v18, 2, v15
	ds_bpermute_b32 v15, v18, v11
	ds_bpermute_b32 v16, v18, v12
	;; [unrolled: 1-line block ×4, first 2 shown]
	s_and_b32 exec_lo, exec_lo, vcc_lo
	s_cbranch_execz .LBB273_13
; %bb.9:
	s_waitcnt lgkmcnt(0)
	v_add_f64 v[13:14], v[13:14], v[17:18]
	v_add_f64 v[11:12], v[11:12], v[15:16]
	v_cmp_eq_f64_e32 vcc_lo, 0, v[1:2]
	v_cmp_eq_f64_e64 s0, 0, v[3:4]
	v_lshlrev_b64 v[9:10], 4, v[9:10]
	v_mul_f64 v[15:16], v[13:14], -v[7:8]
	v_mul_f64 v[13:14], v[5:6], v[13:14]
	s_and_b32 s0, vcc_lo, s0
	v_fma_f64 v[5:6], v[5:6], v[11:12], v[15:16]
	v_fma_f64 v[7:8], v[7:8], v[11:12], v[13:14]
	s_and_saveexec_b32 s1, s0
	s_xor_b32 s0, exec_lo, s1
	s_cbranch_execz .LBB273_11
; %bb.10:
	v_add_co_u32 v0, vcc_lo, s6, v9
	v_add_co_ci_u32_e64 v1, null, s7, v10, vcc_lo
                                        ; implicit-def: $vgpr9_vgpr10
	global_store_dwordx4 v[0:1], v[5:8], off
                                        ; implicit-def: $vgpr1_vgpr2
                                        ; implicit-def: $vgpr5_vgpr6
.LBB273_11:
	s_andn2_saveexec_b32 s0, s0
	s_cbranch_execz .LBB273_13
; %bb.12:
	v_add_co_u32 v13, vcc_lo, s6, v9
	v_add_co_ci_u32_e64 v14, null, s7, v10, vcc_lo
	global_load_dwordx4 v[9:12], v[13:14], off
	s_waitcnt vmcnt(0)
	v_fma_f64 v[5:6], v[1:2], v[9:10], v[5:6]
	v_fma_f64 v[7:8], v[3:4], v[9:10], v[7:8]
	v_fma_f64 v[3:4], -v[3:4], v[11:12], v[5:6]
	v_fma_f64 v[5:6], v[1:2], v[11:12], v[7:8]
	global_store_dwordx4 v[13:14], v[3:6], off
.LBB273_13:
	s_endpgm
	.section	.rodata,"a",@progbits
	.p2align	6, 0x0
	.amdhsa_kernel _ZN9rocsparseL19gebsrmvn_1xn_kernelILj128ELj11ELj4E21rocsparse_complex_numIdEEEvi20rocsparse_direction_NS_24const_host_device_scalarIT2_EEPKiS8_PKS5_SA_S6_PS5_21rocsparse_index_base_b
		.amdhsa_group_segment_fixed_size 0
		.amdhsa_private_segment_fixed_size 0
		.amdhsa_kernarg_size 88
		.amdhsa_user_sgpr_count 6
		.amdhsa_user_sgpr_private_segment_buffer 1
		.amdhsa_user_sgpr_dispatch_ptr 0
		.amdhsa_user_sgpr_queue_ptr 0
		.amdhsa_user_sgpr_kernarg_segment_ptr 1
		.amdhsa_user_sgpr_dispatch_id 0
		.amdhsa_user_sgpr_flat_scratch_init 0
		.amdhsa_user_sgpr_private_segment_size 0
		.amdhsa_wavefront_size32 1
		.amdhsa_uses_dynamic_stack 0
		.amdhsa_system_sgpr_private_segment_wavefront_offset 0
		.amdhsa_system_sgpr_workgroup_id_x 1
		.amdhsa_system_sgpr_workgroup_id_y 0
		.amdhsa_system_sgpr_workgroup_id_z 0
		.amdhsa_system_sgpr_workgroup_info 0
		.amdhsa_system_vgpr_workitem_id 0
		.amdhsa_next_free_vgpr 72
		.amdhsa_next_free_sgpr 13
		.amdhsa_reserve_vcc 1
		.amdhsa_reserve_flat_scratch 0
		.amdhsa_float_round_mode_32 0
		.amdhsa_float_round_mode_16_64 0
		.amdhsa_float_denorm_mode_32 3
		.amdhsa_float_denorm_mode_16_64 3
		.amdhsa_dx10_clamp 1
		.amdhsa_ieee_mode 1
		.amdhsa_fp16_overflow 0
		.amdhsa_workgroup_processor_mode 1
		.amdhsa_memory_ordered 1
		.amdhsa_forward_progress 1
		.amdhsa_shared_vgpr_count 0
		.amdhsa_exception_fp_ieee_invalid_op 0
		.amdhsa_exception_fp_denorm_src 0
		.amdhsa_exception_fp_ieee_div_zero 0
		.amdhsa_exception_fp_ieee_overflow 0
		.amdhsa_exception_fp_ieee_underflow 0
		.amdhsa_exception_fp_ieee_inexact 0
		.amdhsa_exception_int_div_zero 0
	.end_amdhsa_kernel
	.section	.text._ZN9rocsparseL19gebsrmvn_1xn_kernelILj128ELj11ELj4E21rocsparse_complex_numIdEEEvi20rocsparse_direction_NS_24const_host_device_scalarIT2_EEPKiS8_PKS5_SA_S6_PS5_21rocsparse_index_base_b,"axG",@progbits,_ZN9rocsparseL19gebsrmvn_1xn_kernelILj128ELj11ELj4E21rocsparse_complex_numIdEEEvi20rocsparse_direction_NS_24const_host_device_scalarIT2_EEPKiS8_PKS5_SA_S6_PS5_21rocsparse_index_base_b,comdat
.Lfunc_end273:
	.size	_ZN9rocsparseL19gebsrmvn_1xn_kernelILj128ELj11ELj4E21rocsparse_complex_numIdEEEvi20rocsparse_direction_NS_24const_host_device_scalarIT2_EEPKiS8_PKS5_SA_S6_PS5_21rocsparse_index_base_b, .Lfunc_end273-_ZN9rocsparseL19gebsrmvn_1xn_kernelILj128ELj11ELj4E21rocsparse_complex_numIdEEEvi20rocsparse_direction_NS_24const_host_device_scalarIT2_EEPKiS8_PKS5_SA_S6_PS5_21rocsparse_index_base_b
                                        ; -- End function
	.set _ZN9rocsparseL19gebsrmvn_1xn_kernelILj128ELj11ELj4E21rocsparse_complex_numIdEEEvi20rocsparse_direction_NS_24const_host_device_scalarIT2_EEPKiS8_PKS5_SA_S6_PS5_21rocsparse_index_base_b.num_vgpr, 72
	.set _ZN9rocsparseL19gebsrmvn_1xn_kernelILj128ELj11ELj4E21rocsparse_complex_numIdEEEvi20rocsparse_direction_NS_24const_host_device_scalarIT2_EEPKiS8_PKS5_SA_S6_PS5_21rocsparse_index_base_b.num_agpr, 0
	.set _ZN9rocsparseL19gebsrmvn_1xn_kernelILj128ELj11ELj4E21rocsparse_complex_numIdEEEvi20rocsparse_direction_NS_24const_host_device_scalarIT2_EEPKiS8_PKS5_SA_S6_PS5_21rocsparse_index_base_b.numbered_sgpr, 13
	.set _ZN9rocsparseL19gebsrmvn_1xn_kernelILj128ELj11ELj4E21rocsparse_complex_numIdEEEvi20rocsparse_direction_NS_24const_host_device_scalarIT2_EEPKiS8_PKS5_SA_S6_PS5_21rocsparse_index_base_b.num_named_barrier, 0
	.set _ZN9rocsparseL19gebsrmvn_1xn_kernelILj128ELj11ELj4E21rocsparse_complex_numIdEEEvi20rocsparse_direction_NS_24const_host_device_scalarIT2_EEPKiS8_PKS5_SA_S6_PS5_21rocsparse_index_base_b.private_seg_size, 0
	.set _ZN9rocsparseL19gebsrmvn_1xn_kernelILj128ELj11ELj4E21rocsparse_complex_numIdEEEvi20rocsparse_direction_NS_24const_host_device_scalarIT2_EEPKiS8_PKS5_SA_S6_PS5_21rocsparse_index_base_b.uses_vcc, 1
	.set _ZN9rocsparseL19gebsrmvn_1xn_kernelILj128ELj11ELj4E21rocsparse_complex_numIdEEEvi20rocsparse_direction_NS_24const_host_device_scalarIT2_EEPKiS8_PKS5_SA_S6_PS5_21rocsparse_index_base_b.uses_flat_scratch, 0
	.set _ZN9rocsparseL19gebsrmvn_1xn_kernelILj128ELj11ELj4E21rocsparse_complex_numIdEEEvi20rocsparse_direction_NS_24const_host_device_scalarIT2_EEPKiS8_PKS5_SA_S6_PS5_21rocsparse_index_base_b.has_dyn_sized_stack, 0
	.set _ZN9rocsparseL19gebsrmvn_1xn_kernelILj128ELj11ELj4E21rocsparse_complex_numIdEEEvi20rocsparse_direction_NS_24const_host_device_scalarIT2_EEPKiS8_PKS5_SA_S6_PS5_21rocsparse_index_base_b.has_recursion, 0
	.set _ZN9rocsparseL19gebsrmvn_1xn_kernelILj128ELj11ELj4E21rocsparse_complex_numIdEEEvi20rocsparse_direction_NS_24const_host_device_scalarIT2_EEPKiS8_PKS5_SA_S6_PS5_21rocsparse_index_base_b.has_indirect_call, 0
	.section	.AMDGPU.csdata,"",@progbits
; Kernel info:
; codeLenInByte = 1980
; TotalNumSgprs: 15
; NumVgprs: 72
; ScratchSize: 0
; MemoryBound: 0
; FloatMode: 240
; IeeeMode: 1
; LDSByteSize: 0 bytes/workgroup (compile time only)
; SGPRBlocks: 0
; VGPRBlocks: 8
; NumSGPRsForWavesPerEU: 15
; NumVGPRsForWavesPerEU: 72
; Occupancy: 12
; WaveLimiterHint : 1
; COMPUTE_PGM_RSRC2:SCRATCH_EN: 0
; COMPUTE_PGM_RSRC2:USER_SGPR: 6
; COMPUTE_PGM_RSRC2:TRAP_HANDLER: 0
; COMPUTE_PGM_RSRC2:TGID_X_EN: 1
; COMPUTE_PGM_RSRC2:TGID_Y_EN: 0
; COMPUTE_PGM_RSRC2:TGID_Z_EN: 0
; COMPUTE_PGM_RSRC2:TIDIG_COMP_CNT: 0
	.section	.text._ZN9rocsparseL19gebsrmvn_1xn_kernelILj128ELj11ELj8E21rocsparse_complex_numIdEEEvi20rocsparse_direction_NS_24const_host_device_scalarIT2_EEPKiS8_PKS5_SA_S6_PS5_21rocsparse_index_base_b,"axG",@progbits,_ZN9rocsparseL19gebsrmvn_1xn_kernelILj128ELj11ELj8E21rocsparse_complex_numIdEEEvi20rocsparse_direction_NS_24const_host_device_scalarIT2_EEPKiS8_PKS5_SA_S6_PS5_21rocsparse_index_base_b,comdat
	.globl	_ZN9rocsparseL19gebsrmvn_1xn_kernelILj128ELj11ELj8E21rocsparse_complex_numIdEEEvi20rocsparse_direction_NS_24const_host_device_scalarIT2_EEPKiS8_PKS5_SA_S6_PS5_21rocsparse_index_base_b ; -- Begin function _ZN9rocsparseL19gebsrmvn_1xn_kernelILj128ELj11ELj8E21rocsparse_complex_numIdEEEvi20rocsparse_direction_NS_24const_host_device_scalarIT2_EEPKiS8_PKS5_SA_S6_PS5_21rocsparse_index_base_b
	.p2align	8
	.type	_ZN9rocsparseL19gebsrmvn_1xn_kernelILj128ELj11ELj8E21rocsparse_complex_numIdEEEvi20rocsparse_direction_NS_24const_host_device_scalarIT2_EEPKiS8_PKS5_SA_S6_PS5_21rocsparse_index_base_b,@function
_ZN9rocsparseL19gebsrmvn_1xn_kernelILj128ELj11ELj8E21rocsparse_complex_numIdEEEvi20rocsparse_direction_NS_24const_host_device_scalarIT2_EEPKiS8_PKS5_SA_S6_PS5_21rocsparse_index_base_b: ; @_ZN9rocsparseL19gebsrmvn_1xn_kernelILj128ELj11ELj8E21rocsparse_complex_numIdEEEvi20rocsparse_direction_NS_24const_host_device_scalarIT2_EEPKiS8_PKS5_SA_S6_PS5_21rocsparse_index_base_b
; %bb.0:
	s_clause 0x1
	s_load_dwordx2 s[8:9], s[4:5], 0x50
	s_load_dwordx2 s[0:1], s[4:5], 0x8
	s_add_u32 s7, s4, 8
	s_addc_u32 s10, s5, 0
	s_add_u32 s11, s4, 56
	s_addc_u32 s12, s5, 0
	s_load_dwordx2 s[2:3], s[4:5], 0x38
	s_waitcnt lgkmcnt(0)
	s_bitcmp1_b32 s9, 0
	s_cselect_b32 s0, s7, s0
	s_cselect_b32 s1, s10, s1
	v_mov_b32_e32 v1, s0
	v_mov_b32_e32 v2, s1
	s_cselect_b32 s0, s11, s2
	s_cselect_b32 s1, s12, s3
	flat_load_dwordx4 v[5:8], v[1:2]
	v_mov_b32_e32 v1, s0
	v_mov_b32_e32 v2, s1
	flat_load_dwordx4 v[1:4], v[1:2]
	s_waitcnt vmcnt(1) lgkmcnt(1)
	v_cmp_eq_f64_e32 vcc_lo, 0, v[5:6]
	v_cmp_eq_f64_e64 s0, 0, v[7:8]
	s_and_b32 s2, vcc_lo, s0
	s_mov_b32 s0, -1
	s_and_saveexec_b32 s1, s2
	s_cbranch_execz .LBB274_2
; %bb.1:
	s_waitcnt vmcnt(0) lgkmcnt(0)
	v_cmp_neq_f64_e32 vcc_lo, 1.0, v[1:2]
	v_cmp_neq_f64_e64 s0, 0, v[3:4]
	s_or_b32 s0, vcc_lo, s0
	s_orn2_b32 s0, s0, exec_lo
.LBB274_2:
	s_or_b32 exec_lo, exec_lo, s1
	s_and_saveexec_b32 s1, s0
	s_cbranch_execz .LBB274_13
; %bb.3:
	s_load_dword s0, s[4:5], 0x0
	v_lshrrev_b32_e32 v9, 3, v0
	v_lshl_or_b32 v9, s6, 4, v9
	s_waitcnt lgkmcnt(0)
	v_cmp_gt_i32_e32 vcc_lo, s0, v9
	s_and_b32 exec_lo, exec_lo, vcc_lo
	s_cbranch_execz .LBB274_13
; %bb.4:
	s_clause 0x1
	s_load_dwordx2 s[0:1], s[4:5], 0x18
	s_load_dwordx2 s[6:7], s[4:5], 0x48
	v_ashrrev_i32_e32 v10, 31, v9
	v_and_b32_e32 v0, 7, v0
	v_mov_b32_e32 v16, 0
	v_mov_b32_e32 v18, 0
	;; [unrolled: 1-line block ×3, first 2 shown]
	v_lshlrev_b64 v[11:12], 2, v[9:10]
	v_subrev_nc_u32_e32 v13, s8, v0
	v_mov_b32_e32 v19, 0
	s_mov_b32 s9, exec_lo
	s_waitcnt lgkmcnt(0)
	v_add_co_u32 v11, vcc_lo, s0, v11
	v_add_co_ci_u32_e64 v12, null, s1, v12, vcc_lo
	global_load_dwordx2 v[11:12], v[11:12], off
	s_waitcnt vmcnt(0)
	v_subrev_nc_u32_e32 v20, s8, v12
	v_add_nc_u32_e32 v11, v11, v13
	v_cmpx_lt_i32_e64 v11, v20
	s_cbranch_execz .LBB274_8
; %bb.5:
	s_clause 0x1
	s_load_dwordx4 s[0:3], s[4:5], 0x20
	s_load_dwordx2 s[4:5], s[4:5], 0x30
	v_mad_u64_u32 v[13:14], null, v11, 11, 10
	v_mov_b32_e32 v16, 0
	v_mov_b32_e32 v18, 0
	;; [unrolled: 1-line block ×5, first 2 shown]
	s_mov_b32 s10, 0
.LBB274_6:                              ; =>This Inner Loop Header: Depth=1
	v_ashrrev_i32_e32 v12, 31, v11
	v_add_nc_u32_e32 v14, -10, v13
	v_mov_b32_e32 v62, v15
	v_lshlrev_b64 v[21:22], 2, v[11:12]
	v_add_nc_u32_e32 v11, 8, v11
	s_waitcnt lgkmcnt(0)
	v_add_co_u32 v21, vcc_lo, s0, v21
	v_add_co_ci_u32_e64 v22, null, s1, v22, vcc_lo
	global_load_dword v12, v[21:22], off
	v_lshlrev_b64 v[21:22], 4, v[14:15]
	v_add_nc_u32_e32 v14, -9, v13
	v_lshlrev_b64 v[23:24], 4, v[14:15]
	v_add_co_u32 v21, vcc_lo, s2, v21
	v_add_co_ci_u32_e64 v22, null, s3, v22, vcc_lo
	v_add_co_u32 v25, vcc_lo, s2, v23
	v_add_co_ci_u32_e64 v26, null, s3, v24, vcc_lo
	s_clause 0x1
	global_load_dwordx4 v[21:24], v[21:22], off
	global_load_dwordx4 v[25:28], v[25:26], off
	s_waitcnt vmcnt(2)
	v_subrev_nc_u32_e32 v12, s8, v12
	v_mul_lo_u32 v61, v12, 11
	v_lshlrev_b64 v[29:30], 4, v[61:62]
	v_add_nc_u32_e32 v14, 1, v61
	v_lshlrev_b64 v[33:34], 4, v[14:15]
	v_add_co_u32 v29, vcc_lo, s4, v29
	v_add_co_ci_u32_e64 v30, null, s5, v30, vcc_lo
	v_add_nc_u32_e32 v14, -8, v13
	v_add_co_u32 v33, vcc_lo, s4, v33
	global_load_dwordx4 v[29:32], v[29:30], off
	v_add_co_ci_u32_e64 v34, null, s5, v34, vcc_lo
	v_lshlrev_b64 v[37:38], 4, v[14:15]
	v_add_nc_u32_e32 v14, 2, v61
	global_load_dwordx4 v[33:36], v[33:34], off
	v_lshlrev_b64 v[39:40], 4, v[14:15]
	v_add_co_u32 v37, vcc_lo, s2, v37
	v_add_co_ci_u32_e64 v38, null, s3, v38, vcc_lo
	v_add_nc_u32_e32 v14, -7, v13
	v_add_co_u32 v41, vcc_lo, s4, v39
	v_add_co_ci_u32_e64 v42, null, s5, v40, vcc_lo
	global_load_dwordx4 v[37:40], v[37:38], off
	v_lshlrev_b64 v[45:46], 4, v[14:15]
	v_add_nc_u32_e32 v14, 3, v61
	global_load_dwordx4 v[41:44], v[41:42], off
	v_lshlrev_b64 v[47:48], 4, v[14:15]
	v_add_co_u32 v45, vcc_lo, s2, v45
	v_add_co_ci_u32_e64 v46, null, s3, v46, vcc_lo
	v_add_nc_u32_e32 v14, -6, v13
	v_add_co_u32 v49, vcc_lo, s4, v47
	v_add_co_ci_u32_e64 v50, null, s5, v48, vcc_lo
	global_load_dwordx4 v[45:48], v[45:46], off
	;; [unrolled: 10-line block ×3, first 2 shown]
	global_load_dwordx4 v[57:60], v[57:58], off
	v_lshlrev_b64 v[62:63], 4, v[14:15]
	v_add_nc_u32_e32 v14, 5, v61
	v_lshlrev_b64 v[64:65], 4, v[14:15]
	v_add_co_u32 v62, vcc_lo, s2, v62
	v_add_co_ci_u32_e64 v63, null, s3, v63, vcc_lo
	v_add_nc_u32_e32 v14, -4, v13
	v_add_co_u32 v64, vcc_lo, s4, v64
	v_add_co_ci_u32_e64 v65, null, s5, v65, vcc_lo
	v_lshlrev_b64 v[66:67], 4, v[14:15]
	v_add_nc_u32_e32 v14, 6, v61
	s_waitcnt vmcnt(7)
	v_fma_f64 v[18:19], v[21:22], v[29:30], v[18:19]
	v_fma_f64 v[16:17], v[23:24], v[29:30], v[16:17]
	v_fma_f64 v[29:30], -v[23:24], v[31:32], v[18:19]
	v_fma_f64 v[31:32], v[21:22], v[31:32], v[16:17]
	global_load_dwordx4 v[16:19], v[62:63], off
	global_load_dwordx4 v[21:24], v[64:65], off
	v_lshlrev_b64 v[62:63], 4, v[14:15]
	v_add_co_u32 v64, vcc_lo, s2, v66
	v_add_co_ci_u32_e64 v65, null, s3, v67, vcc_lo
	v_add_nc_u32_e32 v14, -3, v13
	v_add_co_u32 v62, vcc_lo, s4, v62
	v_add_co_ci_u32_e64 v63, null, s5, v63, vcc_lo
	v_lshlrev_b64 v[66:67], 4, v[14:15]
	v_add_nc_u32_e32 v14, 7, v61
	s_waitcnt vmcnt(8)
	v_fma_f64 v[29:30], v[25:26], v[33:34], v[29:30]
	v_fma_f64 v[31:32], v[27:28], v[33:34], v[31:32]
	v_lshlrev_b64 v[33:34], 4, v[14:15]
	v_add_nc_u32_e32 v14, -2, v13
	v_fma_f64 v[68:69], -v[27:28], v[35:36], v[29:30]
	v_fma_f64 v[70:71], v[25:26], v[35:36], v[31:32]
	global_load_dwordx4 v[25:28], v[64:65], off
	global_load_dwordx4 v[29:32], v[62:63], off
	v_add_co_u32 v35, vcc_lo, s2, v66
	v_add_co_ci_u32_e64 v36, null, s3, v67, vcc_lo
	v_add_co_u32 v62, vcc_lo, s4, v33
	v_add_co_ci_u32_e64 v63, null, s5, v34, vcc_lo
	global_load_dwordx4 v[33:36], v[35:36], off
	s_waitcnt vmcnt(9)
	v_fma_f64 v[64:65], v[37:38], v[41:42], v[68:69]
	v_fma_f64 v[41:42], v[39:40], v[41:42], v[70:71]
	v_fma_f64 v[64:65], -v[39:40], v[43:44], v[64:65]
	v_fma_f64 v[66:67], v[37:38], v[43:44], v[41:42]
	global_load_dwordx4 v[37:40], v[62:63], off
	v_lshlrev_b64 v[41:42], 4, v[14:15]
	v_add_nc_u32_e32 v14, 8, v61
	v_lshlrev_b64 v[43:44], 4, v[14:15]
	v_add_co_u32 v41, vcc_lo, s2, v41
	v_add_co_ci_u32_e64 v42, null, s3, v42, vcc_lo
	v_add_nc_u32_e32 v14, -1, v13
	v_add_co_u32 v62, vcc_lo, s4, v43
	v_add_co_ci_u32_e64 v63, null, s5, v44, vcc_lo
	global_load_dwordx4 v[41:44], v[41:42], off
	s_waitcnt vmcnt(9)
	v_fma_f64 v[64:65], v[45:46], v[49:50], v[64:65]
	v_fma_f64 v[49:50], v[47:48], v[49:50], v[66:67]
	v_fma_f64 v[64:65], -v[47:48], v[51:52], v[64:65]
	v_fma_f64 v[66:67], v[45:46], v[51:52], v[49:50]
	global_load_dwordx4 v[45:48], v[62:63], off
	v_lshlrev_b64 v[49:50], 4, v[14:15]
	v_add_nc_u32_e32 v14, 9, v61
	v_lshlrev_b64 v[51:52], 4, v[14:15]
	v_add_co_u32 v49, vcc_lo, s2, v49
	v_add_co_ci_u32_e64 v50, null, s3, v50, vcc_lo
	v_mov_b32_e32 v14, v15
	v_add_co_u32 v62, vcc_lo, s4, v51
	v_add_co_ci_u32_e64 v63, null, s5, v52, vcc_lo
	global_load_dwordx4 v[49:52], v[49:50], off
	s_waitcnt vmcnt(9)
	v_fma_f64 v[64:65], v[53:54], v[57:58], v[64:65]
	v_fma_f64 v[57:58], v[55:56], v[57:58], v[66:67]
	v_fma_f64 v[65:66], -v[55:56], v[59:60], v[64:65]
	v_fma_f64 v[67:68], v[53:54], v[59:60], v[57:58]
	global_load_dwordx4 v[53:56], v[62:63], off
	v_lshlrev_b64 v[57:58], 4, v[13:14]
	v_add_nc_u32_e32 v14, 10, v61
	v_add_nc_u32_e32 v13, 0x58, v13
	v_lshlrev_b64 v[59:60], 4, v[14:15]
	v_add_co_u32 v57, vcc_lo, s2, v57
	v_add_co_ci_u32_e64 v58, null, s3, v58, vcc_lo
	v_add_co_u32 v61, vcc_lo, s4, v59
	v_add_co_ci_u32_e64 v62, null, s5, v60, vcc_lo
	global_load_dwordx4 v[57:60], v[57:58], off
	global_load_dwordx4 v[61:64], v[61:62], off
	v_cmp_ge_i32_e32 vcc_lo, v11, v20
	s_or_b32 s10, vcc_lo, s10
	s_waitcnt vmcnt(10)
	v_fma_f64 v[65:66], v[16:17], v[21:22], v[65:66]
	v_fma_f64 v[21:22], v[18:19], v[21:22], v[67:68]
	v_fma_f64 v[18:19], -v[18:19], v[23:24], v[65:66]
	v_fma_f64 v[16:17], v[16:17], v[23:24], v[21:22]
	s_waitcnt vmcnt(8)
	v_fma_f64 v[18:19], v[25:26], v[29:30], v[18:19]
	v_fma_f64 v[16:17], v[27:28], v[29:30], v[16:17]
	v_fma_f64 v[18:19], -v[27:28], v[31:32], v[18:19]
	v_fma_f64 v[16:17], v[25:26], v[31:32], v[16:17]
	;; [unrolled: 5-line block ×6, first 2 shown]
	s_andn2_b32 exec_lo, exec_lo, s10
	s_cbranch_execnz .LBB274_6
; %bb.7:
	s_or_b32 exec_lo, exec_lo, s10
.LBB274_8:
	s_or_b32 exec_lo, exec_lo, s9
	v_mbcnt_lo_u32_b32 v20, -1, 0
	v_xor_b32_e32 v11, 4, v20
	v_xor_b32_e32 v15, 2, v20
	v_cmp_gt_i32_e32 vcc_lo, 32, v11
	v_cndmask_b32_e32 v11, v20, v11, vcc_lo
	v_cmp_gt_i32_e32 vcc_lo, 32, v15
	v_lshlrev_b32_e32 v14, 2, v11
	v_cndmask_b32_e32 v15, v20, v15, vcc_lo
	ds_bpermute_b32 v11, v14, v18
	ds_bpermute_b32 v12, v14, v19
	;; [unrolled: 1-line block ×4, first 2 shown]
	s_waitcnt lgkmcnt(2)
	v_add_f64 v[11:12], v[18:19], v[11:12]
	v_lshlrev_b32_e32 v18, 2, v15
	s_waitcnt lgkmcnt(0)
	v_add_f64 v[13:14], v[16:17], v[13:14]
	ds_bpermute_b32 v15, v18, v11
	ds_bpermute_b32 v16, v18, v12
	;; [unrolled: 1-line block ×4, first 2 shown]
	s_waitcnt lgkmcnt(2)
	v_add_f64 v[11:12], v[11:12], v[15:16]
	v_xor_b32_e32 v15, 1, v20
	s_waitcnt lgkmcnt(0)
	v_add_f64 v[13:14], v[13:14], v[17:18]
	v_cmp_gt_i32_e32 vcc_lo, 32, v15
	v_cndmask_b32_e32 v15, v20, v15, vcc_lo
	v_cmp_eq_u32_e32 vcc_lo, 7, v0
	v_lshlrev_b32_e32 v18, 2, v15
	ds_bpermute_b32 v15, v18, v11
	ds_bpermute_b32 v16, v18, v12
	;; [unrolled: 1-line block ×4, first 2 shown]
	s_and_b32 exec_lo, exec_lo, vcc_lo
	s_cbranch_execz .LBB274_13
; %bb.9:
	s_waitcnt lgkmcnt(0)
	v_add_f64 v[13:14], v[13:14], v[17:18]
	v_add_f64 v[11:12], v[11:12], v[15:16]
	v_cmp_eq_f64_e32 vcc_lo, 0, v[1:2]
	v_cmp_eq_f64_e64 s0, 0, v[3:4]
	v_lshlrev_b64 v[9:10], 4, v[9:10]
	v_mul_f64 v[15:16], v[13:14], -v[7:8]
	v_mul_f64 v[13:14], v[5:6], v[13:14]
	s_and_b32 s0, vcc_lo, s0
	v_fma_f64 v[5:6], v[5:6], v[11:12], v[15:16]
	v_fma_f64 v[7:8], v[7:8], v[11:12], v[13:14]
	s_and_saveexec_b32 s1, s0
	s_xor_b32 s0, exec_lo, s1
	s_cbranch_execz .LBB274_11
; %bb.10:
	v_add_co_u32 v0, vcc_lo, s6, v9
	v_add_co_ci_u32_e64 v1, null, s7, v10, vcc_lo
                                        ; implicit-def: $vgpr9_vgpr10
	global_store_dwordx4 v[0:1], v[5:8], off
                                        ; implicit-def: $vgpr1_vgpr2
                                        ; implicit-def: $vgpr5_vgpr6
.LBB274_11:
	s_andn2_saveexec_b32 s0, s0
	s_cbranch_execz .LBB274_13
; %bb.12:
	v_add_co_u32 v13, vcc_lo, s6, v9
	v_add_co_ci_u32_e64 v14, null, s7, v10, vcc_lo
	global_load_dwordx4 v[9:12], v[13:14], off
	s_waitcnt vmcnt(0)
	v_fma_f64 v[5:6], v[1:2], v[9:10], v[5:6]
	v_fma_f64 v[7:8], v[3:4], v[9:10], v[7:8]
	v_fma_f64 v[3:4], -v[3:4], v[11:12], v[5:6]
	v_fma_f64 v[5:6], v[1:2], v[11:12], v[7:8]
	global_store_dwordx4 v[13:14], v[3:6], off
.LBB274_13:
	s_endpgm
	.section	.rodata,"a",@progbits
	.p2align	6, 0x0
	.amdhsa_kernel _ZN9rocsparseL19gebsrmvn_1xn_kernelILj128ELj11ELj8E21rocsparse_complex_numIdEEEvi20rocsparse_direction_NS_24const_host_device_scalarIT2_EEPKiS8_PKS5_SA_S6_PS5_21rocsparse_index_base_b
		.amdhsa_group_segment_fixed_size 0
		.amdhsa_private_segment_fixed_size 0
		.amdhsa_kernarg_size 88
		.amdhsa_user_sgpr_count 6
		.amdhsa_user_sgpr_private_segment_buffer 1
		.amdhsa_user_sgpr_dispatch_ptr 0
		.amdhsa_user_sgpr_queue_ptr 0
		.amdhsa_user_sgpr_kernarg_segment_ptr 1
		.amdhsa_user_sgpr_dispatch_id 0
		.amdhsa_user_sgpr_flat_scratch_init 0
		.amdhsa_user_sgpr_private_segment_size 0
		.amdhsa_wavefront_size32 1
		.amdhsa_uses_dynamic_stack 0
		.amdhsa_system_sgpr_private_segment_wavefront_offset 0
		.amdhsa_system_sgpr_workgroup_id_x 1
		.amdhsa_system_sgpr_workgroup_id_y 0
		.amdhsa_system_sgpr_workgroup_id_z 0
		.amdhsa_system_sgpr_workgroup_info 0
		.amdhsa_system_vgpr_workitem_id 0
		.amdhsa_next_free_vgpr 72
		.amdhsa_next_free_sgpr 13
		.amdhsa_reserve_vcc 1
		.amdhsa_reserve_flat_scratch 0
		.amdhsa_float_round_mode_32 0
		.amdhsa_float_round_mode_16_64 0
		.amdhsa_float_denorm_mode_32 3
		.amdhsa_float_denorm_mode_16_64 3
		.amdhsa_dx10_clamp 1
		.amdhsa_ieee_mode 1
		.amdhsa_fp16_overflow 0
		.amdhsa_workgroup_processor_mode 1
		.amdhsa_memory_ordered 1
		.amdhsa_forward_progress 1
		.amdhsa_shared_vgpr_count 0
		.amdhsa_exception_fp_ieee_invalid_op 0
		.amdhsa_exception_fp_denorm_src 0
		.amdhsa_exception_fp_ieee_div_zero 0
		.amdhsa_exception_fp_ieee_overflow 0
		.amdhsa_exception_fp_ieee_underflow 0
		.amdhsa_exception_fp_ieee_inexact 0
		.amdhsa_exception_int_div_zero 0
	.end_amdhsa_kernel
	.section	.text._ZN9rocsparseL19gebsrmvn_1xn_kernelILj128ELj11ELj8E21rocsparse_complex_numIdEEEvi20rocsparse_direction_NS_24const_host_device_scalarIT2_EEPKiS8_PKS5_SA_S6_PS5_21rocsparse_index_base_b,"axG",@progbits,_ZN9rocsparseL19gebsrmvn_1xn_kernelILj128ELj11ELj8E21rocsparse_complex_numIdEEEvi20rocsparse_direction_NS_24const_host_device_scalarIT2_EEPKiS8_PKS5_SA_S6_PS5_21rocsparse_index_base_b,comdat
.Lfunc_end274:
	.size	_ZN9rocsparseL19gebsrmvn_1xn_kernelILj128ELj11ELj8E21rocsparse_complex_numIdEEEvi20rocsparse_direction_NS_24const_host_device_scalarIT2_EEPKiS8_PKS5_SA_S6_PS5_21rocsparse_index_base_b, .Lfunc_end274-_ZN9rocsparseL19gebsrmvn_1xn_kernelILj128ELj11ELj8E21rocsparse_complex_numIdEEEvi20rocsparse_direction_NS_24const_host_device_scalarIT2_EEPKiS8_PKS5_SA_S6_PS5_21rocsparse_index_base_b
                                        ; -- End function
	.set _ZN9rocsparseL19gebsrmvn_1xn_kernelILj128ELj11ELj8E21rocsparse_complex_numIdEEEvi20rocsparse_direction_NS_24const_host_device_scalarIT2_EEPKiS8_PKS5_SA_S6_PS5_21rocsparse_index_base_b.num_vgpr, 72
	.set _ZN9rocsparseL19gebsrmvn_1xn_kernelILj128ELj11ELj8E21rocsparse_complex_numIdEEEvi20rocsparse_direction_NS_24const_host_device_scalarIT2_EEPKiS8_PKS5_SA_S6_PS5_21rocsparse_index_base_b.num_agpr, 0
	.set _ZN9rocsparseL19gebsrmvn_1xn_kernelILj128ELj11ELj8E21rocsparse_complex_numIdEEEvi20rocsparse_direction_NS_24const_host_device_scalarIT2_EEPKiS8_PKS5_SA_S6_PS5_21rocsparse_index_base_b.numbered_sgpr, 13
	.set _ZN9rocsparseL19gebsrmvn_1xn_kernelILj128ELj11ELj8E21rocsparse_complex_numIdEEEvi20rocsparse_direction_NS_24const_host_device_scalarIT2_EEPKiS8_PKS5_SA_S6_PS5_21rocsparse_index_base_b.num_named_barrier, 0
	.set _ZN9rocsparseL19gebsrmvn_1xn_kernelILj128ELj11ELj8E21rocsparse_complex_numIdEEEvi20rocsparse_direction_NS_24const_host_device_scalarIT2_EEPKiS8_PKS5_SA_S6_PS5_21rocsparse_index_base_b.private_seg_size, 0
	.set _ZN9rocsparseL19gebsrmvn_1xn_kernelILj128ELj11ELj8E21rocsparse_complex_numIdEEEvi20rocsparse_direction_NS_24const_host_device_scalarIT2_EEPKiS8_PKS5_SA_S6_PS5_21rocsparse_index_base_b.uses_vcc, 1
	.set _ZN9rocsparseL19gebsrmvn_1xn_kernelILj128ELj11ELj8E21rocsparse_complex_numIdEEEvi20rocsparse_direction_NS_24const_host_device_scalarIT2_EEPKiS8_PKS5_SA_S6_PS5_21rocsparse_index_base_b.uses_flat_scratch, 0
	.set _ZN9rocsparseL19gebsrmvn_1xn_kernelILj128ELj11ELj8E21rocsparse_complex_numIdEEEvi20rocsparse_direction_NS_24const_host_device_scalarIT2_EEPKiS8_PKS5_SA_S6_PS5_21rocsparse_index_base_b.has_dyn_sized_stack, 0
	.set _ZN9rocsparseL19gebsrmvn_1xn_kernelILj128ELj11ELj8E21rocsparse_complex_numIdEEEvi20rocsparse_direction_NS_24const_host_device_scalarIT2_EEPKiS8_PKS5_SA_S6_PS5_21rocsparse_index_base_b.has_recursion, 0
	.set _ZN9rocsparseL19gebsrmvn_1xn_kernelILj128ELj11ELj8E21rocsparse_complex_numIdEEEvi20rocsparse_direction_NS_24const_host_device_scalarIT2_EEPKiS8_PKS5_SA_S6_PS5_21rocsparse_index_base_b.has_indirect_call, 0
	.section	.AMDGPU.csdata,"",@progbits
; Kernel info:
; codeLenInByte = 2056
; TotalNumSgprs: 15
; NumVgprs: 72
; ScratchSize: 0
; MemoryBound: 0
; FloatMode: 240
; IeeeMode: 1
; LDSByteSize: 0 bytes/workgroup (compile time only)
; SGPRBlocks: 0
; VGPRBlocks: 8
; NumSGPRsForWavesPerEU: 15
; NumVGPRsForWavesPerEU: 72
; Occupancy: 12
; WaveLimiterHint : 1
; COMPUTE_PGM_RSRC2:SCRATCH_EN: 0
; COMPUTE_PGM_RSRC2:USER_SGPR: 6
; COMPUTE_PGM_RSRC2:TRAP_HANDLER: 0
; COMPUTE_PGM_RSRC2:TGID_X_EN: 1
; COMPUTE_PGM_RSRC2:TGID_Y_EN: 0
; COMPUTE_PGM_RSRC2:TGID_Z_EN: 0
; COMPUTE_PGM_RSRC2:TIDIG_COMP_CNT: 0
	.section	.text._ZN9rocsparseL19gebsrmvn_1xn_kernelILj128ELj11ELj16E21rocsparse_complex_numIdEEEvi20rocsparse_direction_NS_24const_host_device_scalarIT2_EEPKiS8_PKS5_SA_S6_PS5_21rocsparse_index_base_b,"axG",@progbits,_ZN9rocsparseL19gebsrmvn_1xn_kernelILj128ELj11ELj16E21rocsparse_complex_numIdEEEvi20rocsparse_direction_NS_24const_host_device_scalarIT2_EEPKiS8_PKS5_SA_S6_PS5_21rocsparse_index_base_b,comdat
	.globl	_ZN9rocsparseL19gebsrmvn_1xn_kernelILj128ELj11ELj16E21rocsparse_complex_numIdEEEvi20rocsparse_direction_NS_24const_host_device_scalarIT2_EEPKiS8_PKS5_SA_S6_PS5_21rocsparse_index_base_b ; -- Begin function _ZN9rocsparseL19gebsrmvn_1xn_kernelILj128ELj11ELj16E21rocsparse_complex_numIdEEEvi20rocsparse_direction_NS_24const_host_device_scalarIT2_EEPKiS8_PKS5_SA_S6_PS5_21rocsparse_index_base_b
	.p2align	8
	.type	_ZN9rocsparseL19gebsrmvn_1xn_kernelILj128ELj11ELj16E21rocsparse_complex_numIdEEEvi20rocsparse_direction_NS_24const_host_device_scalarIT2_EEPKiS8_PKS5_SA_S6_PS5_21rocsparse_index_base_b,@function
_ZN9rocsparseL19gebsrmvn_1xn_kernelILj128ELj11ELj16E21rocsparse_complex_numIdEEEvi20rocsparse_direction_NS_24const_host_device_scalarIT2_EEPKiS8_PKS5_SA_S6_PS5_21rocsparse_index_base_b: ; @_ZN9rocsparseL19gebsrmvn_1xn_kernelILj128ELj11ELj16E21rocsparse_complex_numIdEEEvi20rocsparse_direction_NS_24const_host_device_scalarIT2_EEPKiS8_PKS5_SA_S6_PS5_21rocsparse_index_base_b
; %bb.0:
	s_clause 0x1
	s_load_dwordx2 s[8:9], s[4:5], 0x50
	s_load_dwordx2 s[0:1], s[4:5], 0x8
	s_add_u32 s7, s4, 8
	s_addc_u32 s10, s5, 0
	s_add_u32 s11, s4, 56
	s_addc_u32 s12, s5, 0
	s_load_dwordx2 s[2:3], s[4:5], 0x38
	s_waitcnt lgkmcnt(0)
	s_bitcmp1_b32 s9, 0
	s_cselect_b32 s0, s7, s0
	s_cselect_b32 s1, s10, s1
	v_mov_b32_e32 v1, s0
	v_mov_b32_e32 v2, s1
	s_cselect_b32 s0, s11, s2
	s_cselect_b32 s1, s12, s3
	flat_load_dwordx4 v[5:8], v[1:2]
	v_mov_b32_e32 v1, s0
	v_mov_b32_e32 v2, s1
	flat_load_dwordx4 v[1:4], v[1:2]
	s_waitcnt vmcnt(1) lgkmcnt(1)
	v_cmp_eq_f64_e32 vcc_lo, 0, v[5:6]
	v_cmp_eq_f64_e64 s0, 0, v[7:8]
	s_and_b32 s2, vcc_lo, s0
	s_mov_b32 s0, -1
	s_and_saveexec_b32 s1, s2
	s_cbranch_execz .LBB275_2
; %bb.1:
	s_waitcnt vmcnt(0) lgkmcnt(0)
	v_cmp_neq_f64_e32 vcc_lo, 1.0, v[1:2]
	v_cmp_neq_f64_e64 s0, 0, v[3:4]
	s_or_b32 s0, vcc_lo, s0
	s_orn2_b32 s0, s0, exec_lo
.LBB275_2:
	s_or_b32 exec_lo, exec_lo, s1
	s_and_saveexec_b32 s1, s0
	s_cbranch_execz .LBB275_13
; %bb.3:
	s_load_dword s0, s[4:5], 0x0
	v_lshrrev_b32_e32 v9, 4, v0
	v_lshl_or_b32 v9, s6, 3, v9
	s_waitcnt lgkmcnt(0)
	v_cmp_gt_i32_e32 vcc_lo, s0, v9
	s_and_b32 exec_lo, exec_lo, vcc_lo
	s_cbranch_execz .LBB275_13
; %bb.4:
	s_clause 0x1
	s_load_dwordx2 s[0:1], s[4:5], 0x18
	s_load_dwordx2 s[6:7], s[4:5], 0x48
	v_ashrrev_i32_e32 v10, 31, v9
	v_and_b32_e32 v0, 15, v0
	v_mov_b32_e32 v16, 0
	v_mov_b32_e32 v18, 0
	;; [unrolled: 1-line block ×3, first 2 shown]
	v_lshlrev_b64 v[11:12], 2, v[9:10]
	v_subrev_nc_u32_e32 v13, s8, v0
	v_mov_b32_e32 v19, 0
	s_mov_b32 s9, exec_lo
	s_waitcnt lgkmcnt(0)
	v_add_co_u32 v11, vcc_lo, s0, v11
	v_add_co_ci_u32_e64 v12, null, s1, v12, vcc_lo
	global_load_dwordx2 v[11:12], v[11:12], off
	s_waitcnt vmcnt(0)
	v_subrev_nc_u32_e32 v20, s8, v12
	v_add_nc_u32_e32 v11, v11, v13
	v_cmpx_lt_i32_e64 v11, v20
	s_cbranch_execz .LBB275_8
; %bb.5:
	s_clause 0x1
	s_load_dwordx4 s[0:3], s[4:5], 0x20
	s_load_dwordx2 s[4:5], s[4:5], 0x30
	v_mad_u64_u32 v[13:14], null, v11, 11, 10
	v_mov_b32_e32 v16, 0
	v_mov_b32_e32 v18, 0
	;; [unrolled: 1-line block ×5, first 2 shown]
	s_mov_b32 s10, 0
.LBB275_6:                              ; =>This Inner Loop Header: Depth=1
	v_ashrrev_i32_e32 v12, 31, v11
	v_add_nc_u32_e32 v14, -10, v13
	v_mov_b32_e32 v62, v15
	v_lshlrev_b64 v[21:22], 2, v[11:12]
	v_add_nc_u32_e32 v11, 16, v11
	s_waitcnt lgkmcnt(0)
	v_add_co_u32 v21, vcc_lo, s0, v21
	v_add_co_ci_u32_e64 v22, null, s1, v22, vcc_lo
	global_load_dword v12, v[21:22], off
	v_lshlrev_b64 v[21:22], 4, v[14:15]
	v_add_nc_u32_e32 v14, -9, v13
	v_lshlrev_b64 v[23:24], 4, v[14:15]
	v_add_co_u32 v21, vcc_lo, s2, v21
	v_add_co_ci_u32_e64 v22, null, s3, v22, vcc_lo
	v_add_co_u32 v25, vcc_lo, s2, v23
	v_add_co_ci_u32_e64 v26, null, s3, v24, vcc_lo
	s_clause 0x1
	global_load_dwordx4 v[21:24], v[21:22], off
	global_load_dwordx4 v[25:28], v[25:26], off
	s_waitcnt vmcnt(2)
	v_subrev_nc_u32_e32 v12, s8, v12
	v_mul_lo_u32 v61, v12, 11
	v_lshlrev_b64 v[29:30], 4, v[61:62]
	v_add_nc_u32_e32 v14, 1, v61
	v_lshlrev_b64 v[33:34], 4, v[14:15]
	v_add_co_u32 v29, vcc_lo, s4, v29
	v_add_co_ci_u32_e64 v30, null, s5, v30, vcc_lo
	v_add_nc_u32_e32 v14, -8, v13
	v_add_co_u32 v33, vcc_lo, s4, v33
	global_load_dwordx4 v[29:32], v[29:30], off
	v_add_co_ci_u32_e64 v34, null, s5, v34, vcc_lo
	v_lshlrev_b64 v[37:38], 4, v[14:15]
	v_add_nc_u32_e32 v14, 2, v61
	global_load_dwordx4 v[33:36], v[33:34], off
	v_lshlrev_b64 v[39:40], 4, v[14:15]
	v_add_co_u32 v37, vcc_lo, s2, v37
	v_add_co_ci_u32_e64 v38, null, s3, v38, vcc_lo
	v_add_nc_u32_e32 v14, -7, v13
	v_add_co_u32 v41, vcc_lo, s4, v39
	v_add_co_ci_u32_e64 v42, null, s5, v40, vcc_lo
	global_load_dwordx4 v[37:40], v[37:38], off
	v_lshlrev_b64 v[45:46], 4, v[14:15]
	v_add_nc_u32_e32 v14, 3, v61
	global_load_dwordx4 v[41:44], v[41:42], off
	v_lshlrev_b64 v[47:48], 4, v[14:15]
	v_add_co_u32 v45, vcc_lo, s2, v45
	v_add_co_ci_u32_e64 v46, null, s3, v46, vcc_lo
	v_add_nc_u32_e32 v14, -6, v13
	v_add_co_u32 v49, vcc_lo, s4, v47
	v_add_co_ci_u32_e64 v50, null, s5, v48, vcc_lo
	global_load_dwordx4 v[45:48], v[45:46], off
	;; [unrolled: 10-line block ×3, first 2 shown]
	global_load_dwordx4 v[57:60], v[57:58], off
	v_lshlrev_b64 v[62:63], 4, v[14:15]
	v_add_nc_u32_e32 v14, 5, v61
	v_lshlrev_b64 v[64:65], 4, v[14:15]
	v_add_co_u32 v62, vcc_lo, s2, v62
	v_add_co_ci_u32_e64 v63, null, s3, v63, vcc_lo
	v_add_nc_u32_e32 v14, -4, v13
	v_add_co_u32 v64, vcc_lo, s4, v64
	v_add_co_ci_u32_e64 v65, null, s5, v65, vcc_lo
	v_lshlrev_b64 v[66:67], 4, v[14:15]
	v_add_nc_u32_e32 v14, 6, v61
	s_waitcnt vmcnt(7)
	v_fma_f64 v[18:19], v[21:22], v[29:30], v[18:19]
	v_fma_f64 v[16:17], v[23:24], v[29:30], v[16:17]
	v_fma_f64 v[29:30], -v[23:24], v[31:32], v[18:19]
	v_fma_f64 v[31:32], v[21:22], v[31:32], v[16:17]
	global_load_dwordx4 v[16:19], v[62:63], off
	global_load_dwordx4 v[21:24], v[64:65], off
	v_lshlrev_b64 v[62:63], 4, v[14:15]
	v_add_co_u32 v64, vcc_lo, s2, v66
	v_add_co_ci_u32_e64 v65, null, s3, v67, vcc_lo
	v_add_nc_u32_e32 v14, -3, v13
	v_add_co_u32 v62, vcc_lo, s4, v62
	v_add_co_ci_u32_e64 v63, null, s5, v63, vcc_lo
	v_lshlrev_b64 v[66:67], 4, v[14:15]
	v_add_nc_u32_e32 v14, 7, v61
	s_waitcnt vmcnt(8)
	v_fma_f64 v[29:30], v[25:26], v[33:34], v[29:30]
	v_fma_f64 v[31:32], v[27:28], v[33:34], v[31:32]
	v_lshlrev_b64 v[33:34], 4, v[14:15]
	v_add_nc_u32_e32 v14, -2, v13
	v_fma_f64 v[68:69], -v[27:28], v[35:36], v[29:30]
	v_fma_f64 v[70:71], v[25:26], v[35:36], v[31:32]
	global_load_dwordx4 v[25:28], v[64:65], off
	global_load_dwordx4 v[29:32], v[62:63], off
	v_add_co_u32 v35, vcc_lo, s2, v66
	v_add_co_ci_u32_e64 v36, null, s3, v67, vcc_lo
	v_add_co_u32 v62, vcc_lo, s4, v33
	v_add_co_ci_u32_e64 v63, null, s5, v34, vcc_lo
	global_load_dwordx4 v[33:36], v[35:36], off
	s_waitcnt vmcnt(9)
	v_fma_f64 v[64:65], v[37:38], v[41:42], v[68:69]
	v_fma_f64 v[41:42], v[39:40], v[41:42], v[70:71]
	v_fma_f64 v[64:65], -v[39:40], v[43:44], v[64:65]
	v_fma_f64 v[66:67], v[37:38], v[43:44], v[41:42]
	global_load_dwordx4 v[37:40], v[62:63], off
	v_lshlrev_b64 v[41:42], 4, v[14:15]
	v_add_nc_u32_e32 v14, 8, v61
	v_lshlrev_b64 v[43:44], 4, v[14:15]
	v_add_co_u32 v41, vcc_lo, s2, v41
	v_add_co_ci_u32_e64 v42, null, s3, v42, vcc_lo
	v_add_nc_u32_e32 v14, -1, v13
	v_add_co_u32 v62, vcc_lo, s4, v43
	v_add_co_ci_u32_e64 v63, null, s5, v44, vcc_lo
	global_load_dwordx4 v[41:44], v[41:42], off
	s_waitcnt vmcnt(9)
	v_fma_f64 v[64:65], v[45:46], v[49:50], v[64:65]
	v_fma_f64 v[49:50], v[47:48], v[49:50], v[66:67]
	v_fma_f64 v[64:65], -v[47:48], v[51:52], v[64:65]
	v_fma_f64 v[66:67], v[45:46], v[51:52], v[49:50]
	global_load_dwordx4 v[45:48], v[62:63], off
	v_lshlrev_b64 v[49:50], 4, v[14:15]
	v_add_nc_u32_e32 v14, 9, v61
	v_lshlrev_b64 v[51:52], 4, v[14:15]
	v_add_co_u32 v49, vcc_lo, s2, v49
	v_add_co_ci_u32_e64 v50, null, s3, v50, vcc_lo
	v_mov_b32_e32 v14, v15
	v_add_co_u32 v62, vcc_lo, s4, v51
	v_add_co_ci_u32_e64 v63, null, s5, v52, vcc_lo
	global_load_dwordx4 v[49:52], v[49:50], off
	s_waitcnt vmcnt(9)
	v_fma_f64 v[64:65], v[53:54], v[57:58], v[64:65]
	v_fma_f64 v[57:58], v[55:56], v[57:58], v[66:67]
	v_fma_f64 v[65:66], -v[55:56], v[59:60], v[64:65]
	v_fma_f64 v[67:68], v[53:54], v[59:60], v[57:58]
	global_load_dwordx4 v[53:56], v[62:63], off
	v_lshlrev_b64 v[57:58], 4, v[13:14]
	v_add_nc_u32_e32 v14, 10, v61
	v_add_nc_u32_e32 v13, 0xb0, v13
	v_lshlrev_b64 v[59:60], 4, v[14:15]
	v_add_co_u32 v57, vcc_lo, s2, v57
	v_add_co_ci_u32_e64 v58, null, s3, v58, vcc_lo
	v_add_co_u32 v61, vcc_lo, s4, v59
	v_add_co_ci_u32_e64 v62, null, s5, v60, vcc_lo
	global_load_dwordx4 v[57:60], v[57:58], off
	global_load_dwordx4 v[61:64], v[61:62], off
	v_cmp_ge_i32_e32 vcc_lo, v11, v20
	s_or_b32 s10, vcc_lo, s10
	s_waitcnt vmcnt(10)
	v_fma_f64 v[65:66], v[16:17], v[21:22], v[65:66]
	v_fma_f64 v[21:22], v[18:19], v[21:22], v[67:68]
	v_fma_f64 v[18:19], -v[18:19], v[23:24], v[65:66]
	v_fma_f64 v[16:17], v[16:17], v[23:24], v[21:22]
	s_waitcnt vmcnt(8)
	v_fma_f64 v[18:19], v[25:26], v[29:30], v[18:19]
	v_fma_f64 v[16:17], v[27:28], v[29:30], v[16:17]
	v_fma_f64 v[18:19], -v[27:28], v[31:32], v[18:19]
	v_fma_f64 v[16:17], v[25:26], v[31:32], v[16:17]
	;; [unrolled: 5-line block ×6, first 2 shown]
	s_andn2_b32 exec_lo, exec_lo, s10
	s_cbranch_execnz .LBB275_6
; %bb.7:
	s_or_b32 exec_lo, exec_lo, s10
.LBB275_8:
	s_or_b32 exec_lo, exec_lo, s9
	v_mbcnt_lo_u32_b32 v20, -1, 0
	v_xor_b32_e32 v11, 8, v20
	v_xor_b32_e32 v15, 4, v20
	v_cmp_gt_i32_e32 vcc_lo, 32, v11
	v_cndmask_b32_e32 v11, v20, v11, vcc_lo
	v_cmp_gt_i32_e32 vcc_lo, 32, v15
	v_lshlrev_b32_e32 v14, 2, v11
	v_cndmask_b32_e32 v15, v20, v15, vcc_lo
	ds_bpermute_b32 v11, v14, v18
	ds_bpermute_b32 v12, v14, v19
	;; [unrolled: 1-line block ×4, first 2 shown]
	s_waitcnt lgkmcnt(2)
	v_add_f64 v[11:12], v[18:19], v[11:12]
	v_lshlrev_b32_e32 v18, 2, v15
	s_waitcnt lgkmcnt(0)
	v_add_f64 v[13:14], v[16:17], v[13:14]
	ds_bpermute_b32 v15, v18, v11
	ds_bpermute_b32 v16, v18, v12
	;; [unrolled: 1-line block ×4, first 2 shown]
	s_waitcnt lgkmcnt(2)
	v_add_f64 v[11:12], v[11:12], v[15:16]
	v_xor_b32_e32 v15, 2, v20
	s_waitcnt lgkmcnt(0)
	v_add_f64 v[13:14], v[13:14], v[17:18]
	v_cmp_gt_i32_e32 vcc_lo, 32, v15
	v_cndmask_b32_e32 v15, v20, v15, vcc_lo
	v_lshlrev_b32_e32 v18, 2, v15
	ds_bpermute_b32 v15, v18, v11
	ds_bpermute_b32 v16, v18, v12
	ds_bpermute_b32 v17, v18, v13
	ds_bpermute_b32 v18, v18, v14
	s_waitcnt lgkmcnt(2)
	v_add_f64 v[11:12], v[11:12], v[15:16]
	v_xor_b32_e32 v15, 1, v20
	s_waitcnt lgkmcnt(0)
	v_add_f64 v[13:14], v[13:14], v[17:18]
	v_cmp_gt_i32_e32 vcc_lo, 32, v15
	v_cndmask_b32_e32 v15, v20, v15, vcc_lo
	v_cmp_eq_u32_e32 vcc_lo, 15, v0
	v_lshlrev_b32_e32 v18, 2, v15
	ds_bpermute_b32 v15, v18, v11
	ds_bpermute_b32 v16, v18, v12
	;; [unrolled: 1-line block ×4, first 2 shown]
	s_and_b32 exec_lo, exec_lo, vcc_lo
	s_cbranch_execz .LBB275_13
; %bb.9:
	s_waitcnt lgkmcnt(0)
	v_add_f64 v[13:14], v[13:14], v[17:18]
	v_add_f64 v[11:12], v[11:12], v[15:16]
	v_cmp_eq_f64_e32 vcc_lo, 0, v[1:2]
	v_cmp_eq_f64_e64 s0, 0, v[3:4]
	v_lshlrev_b64 v[9:10], 4, v[9:10]
	v_mul_f64 v[15:16], v[13:14], -v[7:8]
	v_mul_f64 v[13:14], v[5:6], v[13:14]
	s_and_b32 s0, vcc_lo, s0
	v_fma_f64 v[5:6], v[5:6], v[11:12], v[15:16]
	v_fma_f64 v[7:8], v[7:8], v[11:12], v[13:14]
	s_and_saveexec_b32 s1, s0
	s_xor_b32 s0, exec_lo, s1
	s_cbranch_execz .LBB275_11
; %bb.10:
	v_add_co_u32 v0, vcc_lo, s6, v9
	v_add_co_ci_u32_e64 v1, null, s7, v10, vcc_lo
                                        ; implicit-def: $vgpr9_vgpr10
	global_store_dwordx4 v[0:1], v[5:8], off
                                        ; implicit-def: $vgpr1_vgpr2
                                        ; implicit-def: $vgpr5_vgpr6
.LBB275_11:
	s_andn2_saveexec_b32 s0, s0
	s_cbranch_execz .LBB275_13
; %bb.12:
	v_add_co_u32 v13, vcc_lo, s6, v9
	v_add_co_ci_u32_e64 v14, null, s7, v10, vcc_lo
	global_load_dwordx4 v[9:12], v[13:14], off
	s_waitcnt vmcnt(0)
	v_fma_f64 v[5:6], v[1:2], v[9:10], v[5:6]
	v_fma_f64 v[7:8], v[3:4], v[9:10], v[7:8]
	v_fma_f64 v[3:4], -v[3:4], v[11:12], v[5:6]
	v_fma_f64 v[5:6], v[1:2], v[11:12], v[7:8]
	global_store_dwordx4 v[13:14], v[3:6], off
.LBB275_13:
	s_endpgm
	.section	.rodata,"a",@progbits
	.p2align	6, 0x0
	.amdhsa_kernel _ZN9rocsparseL19gebsrmvn_1xn_kernelILj128ELj11ELj16E21rocsparse_complex_numIdEEEvi20rocsparse_direction_NS_24const_host_device_scalarIT2_EEPKiS8_PKS5_SA_S6_PS5_21rocsparse_index_base_b
		.amdhsa_group_segment_fixed_size 0
		.amdhsa_private_segment_fixed_size 0
		.amdhsa_kernarg_size 88
		.amdhsa_user_sgpr_count 6
		.amdhsa_user_sgpr_private_segment_buffer 1
		.amdhsa_user_sgpr_dispatch_ptr 0
		.amdhsa_user_sgpr_queue_ptr 0
		.amdhsa_user_sgpr_kernarg_segment_ptr 1
		.amdhsa_user_sgpr_dispatch_id 0
		.amdhsa_user_sgpr_flat_scratch_init 0
		.amdhsa_user_sgpr_private_segment_size 0
		.amdhsa_wavefront_size32 1
		.amdhsa_uses_dynamic_stack 0
		.amdhsa_system_sgpr_private_segment_wavefront_offset 0
		.amdhsa_system_sgpr_workgroup_id_x 1
		.amdhsa_system_sgpr_workgroup_id_y 0
		.amdhsa_system_sgpr_workgroup_id_z 0
		.amdhsa_system_sgpr_workgroup_info 0
		.amdhsa_system_vgpr_workitem_id 0
		.amdhsa_next_free_vgpr 72
		.amdhsa_next_free_sgpr 13
		.amdhsa_reserve_vcc 1
		.amdhsa_reserve_flat_scratch 0
		.amdhsa_float_round_mode_32 0
		.amdhsa_float_round_mode_16_64 0
		.amdhsa_float_denorm_mode_32 3
		.amdhsa_float_denorm_mode_16_64 3
		.amdhsa_dx10_clamp 1
		.amdhsa_ieee_mode 1
		.amdhsa_fp16_overflow 0
		.amdhsa_workgroup_processor_mode 1
		.amdhsa_memory_ordered 1
		.amdhsa_forward_progress 1
		.amdhsa_shared_vgpr_count 0
		.amdhsa_exception_fp_ieee_invalid_op 0
		.amdhsa_exception_fp_denorm_src 0
		.amdhsa_exception_fp_ieee_div_zero 0
		.amdhsa_exception_fp_ieee_overflow 0
		.amdhsa_exception_fp_ieee_underflow 0
		.amdhsa_exception_fp_ieee_inexact 0
		.amdhsa_exception_int_div_zero 0
	.end_amdhsa_kernel
	.section	.text._ZN9rocsparseL19gebsrmvn_1xn_kernelILj128ELj11ELj16E21rocsparse_complex_numIdEEEvi20rocsparse_direction_NS_24const_host_device_scalarIT2_EEPKiS8_PKS5_SA_S6_PS5_21rocsparse_index_base_b,"axG",@progbits,_ZN9rocsparseL19gebsrmvn_1xn_kernelILj128ELj11ELj16E21rocsparse_complex_numIdEEEvi20rocsparse_direction_NS_24const_host_device_scalarIT2_EEPKiS8_PKS5_SA_S6_PS5_21rocsparse_index_base_b,comdat
.Lfunc_end275:
	.size	_ZN9rocsparseL19gebsrmvn_1xn_kernelILj128ELj11ELj16E21rocsparse_complex_numIdEEEvi20rocsparse_direction_NS_24const_host_device_scalarIT2_EEPKiS8_PKS5_SA_S6_PS5_21rocsparse_index_base_b, .Lfunc_end275-_ZN9rocsparseL19gebsrmvn_1xn_kernelILj128ELj11ELj16E21rocsparse_complex_numIdEEEvi20rocsparse_direction_NS_24const_host_device_scalarIT2_EEPKiS8_PKS5_SA_S6_PS5_21rocsparse_index_base_b
                                        ; -- End function
	.set _ZN9rocsparseL19gebsrmvn_1xn_kernelILj128ELj11ELj16E21rocsparse_complex_numIdEEEvi20rocsparse_direction_NS_24const_host_device_scalarIT2_EEPKiS8_PKS5_SA_S6_PS5_21rocsparse_index_base_b.num_vgpr, 72
	.set _ZN9rocsparseL19gebsrmvn_1xn_kernelILj128ELj11ELj16E21rocsparse_complex_numIdEEEvi20rocsparse_direction_NS_24const_host_device_scalarIT2_EEPKiS8_PKS5_SA_S6_PS5_21rocsparse_index_base_b.num_agpr, 0
	.set _ZN9rocsparseL19gebsrmvn_1xn_kernelILj128ELj11ELj16E21rocsparse_complex_numIdEEEvi20rocsparse_direction_NS_24const_host_device_scalarIT2_EEPKiS8_PKS5_SA_S6_PS5_21rocsparse_index_base_b.numbered_sgpr, 13
	.set _ZN9rocsparseL19gebsrmvn_1xn_kernelILj128ELj11ELj16E21rocsparse_complex_numIdEEEvi20rocsparse_direction_NS_24const_host_device_scalarIT2_EEPKiS8_PKS5_SA_S6_PS5_21rocsparse_index_base_b.num_named_barrier, 0
	.set _ZN9rocsparseL19gebsrmvn_1xn_kernelILj128ELj11ELj16E21rocsparse_complex_numIdEEEvi20rocsparse_direction_NS_24const_host_device_scalarIT2_EEPKiS8_PKS5_SA_S6_PS5_21rocsparse_index_base_b.private_seg_size, 0
	.set _ZN9rocsparseL19gebsrmvn_1xn_kernelILj128ELj11ELj16E21rocsparse_complex_numIdEEEvi20rocsparse_direction_NS_24const_host_device_scalarIT2_EEPKiS8_PKS5_SA_S6_PS5_21rocsparse_index_base_b.uses_vcc, 1
	.set _ZN9rocsparseL19gebsrmvn_1xn_kernelILj128ELj11ELj16E21rocsparse_complex_numIdEEEvi20rocsparse_direction_NS_24const_host_device_scalarIT2_EEPKiS8_PKS5_SA_S6_PS5_21rocsparse_index_base_b.uses_flat_scratch, 0
	.set _ZN9rocsparseL19gebsrmvn_1xn_kernelILj128ELj11ELj16E21rocsparse_complex_numIdEEEvi20rocsparse_direction_NS_24const_host_device_scalarIT2_EEPKiS8_PKS5_SA_S6_PS5_21rocsparse_index_base_b.has_dyn_sized_stack, 0
	.set _ZN9rocsparseL19gebsrmvn_1xn_kernelILj128ELj11ELj16E21rocsparse_complex_numIdEEEvi20rocsparse_direction_NS_24const_host_device_scalarIT2_EEPKiS8_PKS5_SA_S6_PS5_21rocsparse_index_base_b.has_recursion, 0
	.set _ZN9rocsparseL19gebsrmvn_1xn_kernelILj128ELj11ELj16E21rocsparse_complex_numIdEEEvi20rocsparse_direction_NS_24const_host_device_scalarIT2_EEPKiS8_PKS5_SA_S6_PS5_21rocsparse_index_base_b.has_indirect_call, 0
	.section	.AMDGPU.csdata,"",@progbits
; Kernel info:
; codeLenInByte = 2128
; TotalNumSgprs: 15
; NumVgprs: 72
; ScratchSize: 0
; MemoryBound: 0
; FloatMode: 240
; IeeeMode: 1
; LDSByteSize: 0 bytes/workgroup (compile time only)
; SGPRBlocks: 0
; VGPRBlocks: 8
; NumSGPRsForWavesPerEU: 15
; NumVGPRsForWavesPerEU: 72
; Occupancy: 12
; WaveLimiterHint : 1
; COMPUTE_PGM_RSRC2:SCRATCH_EN: 0
; COMPUTE_PGM_RSRC2:USER_SGPR: 6
; COMPUTE_PGM_RSRC2:TRAP_HANDLER: 0
; COMPUTE_PGM_RSRC2:TGID_X_EN: 1
; COMPUTE_PGM_RSRC2:TGID_Y_EN: 0
; COMPUTE_PGM_RSRC2:TGID_Z_EN: 0
; COMPUTE_PGM_RSRC2:TIDIG_COMP_CNT: 0
	.section	.text._ZN9rocsparseL19gebsrmvn_1xn_kernelILj128ELj11ELj32E21rocsparse_complex_numIdEEEvi20rocsparse_direction_NS_24const_host_device_scalarIT2_EEPKiS8_PKS5_SA_S6_PS5_21rocsparse_index_base_b,"axG",@progbits,_ZN9rocsparseL19gebsrmvn_1xn_kernelILj128ELj11ELj32E21rocsparse_complex_numIdEEEvi20rocsparse_direction_NS_24const_host_device_scalarIT2_EEPKiS8_PKS5_SA_S6_PS5_21rocsparse_index_base_b,comdat
	.globl	_ZN9rocsparseL19gebsrmvn_1xn_kernelILj128ELj11ELj32E21rocsparse_complex_numIdEEEvi20rocsparse_direction_NS_24const_host_device_scalarIT2_EEPKiS8_PKS5_SA_S6_PS5_21rocsparse_index_base_b ; -- Begin function _ZN9rocsparseL19gebsrmvn_1xn_kernelILj128ELj11ELj32E21rocsparse_complex_numIdEEEvi20rocsparse_direction_NS_24const_host_device_scalarIT2_EEPKiS8_PKS5_SA_S6_PS5_21rocsparse_index_base_b
	.p2align	8
	.type	_ZN9rocsparseL19gebsrmvn_1xn_kernelILj128ELj11ELj32E21rocsparse_complex_numIdEEEvi20rocsparse_direction_NS_24const_host_device_scalarIT2_EEPKiS8_PKS5_SA_S6_PS5_21rocsparse_index_base_b,@function
_ZN9rocsparseL19gebsrmvn_1xn_kernelILj128ELj11ELj32E21rocsparse_complex_numIdEEEvi20rocsparse_direction_NS_24const_host_device_scalarIT2_EEPKiS8_PKS5_SA_S6_PS5_21rocsparse_index_base_b: ; @_ZN9rocsparseL19gebsrmvn_1xn_kernelILj128ELj11ELj32E21rocsparse_complex_numIdEEEvi20rocsparse_direction_NS_24const_host_device_scalarIT2_EEPKiS8_PKS5_SA_S6_PS5_21rocsparse_index_base_b
; %bb.0:
	s_clause 0x1
	s_load_dwordx2 s[8:9], s[4:5], 0x50
	s_load_dwordx2 s[0:1], s[4:5], 0x8
	s_add_u32 s7, s4, 8
	s_addc_u32 s10, s5, 0
	s_add_u32 s11, s4, 56
	s_addc_u32 s12, s5, 0
	s_load_dwordx2 s[2:3], s[4:5], 0x38
	s_waitcnt lgkmcnt(0)
	s_bitcmp1_b32 s9, 0
	s_cselect_b32 s0, s7, s0
	s_cselect_b32 s1, s10, s1
	v_mov_b32_e32 v1, s0
	v_mov_b32_e32 v2, s1
	s_cselect_b32 s0, s11, s2
	s_cselect_b32 s1, s12, s3
	flat_load_dwordx4 v[5:8], v[1:2]
	v_mov_b32_e32 v1, s0
	v_mov_b32_e32 v2, s1
	flat_load_dwordx4 v[1:4], v[1:2]
	s_waitcnt vmcnt(1) lgkmcnt(1)
	v_cmp_eq_f64_e32 vcc_lo, 0, v[5:6]
	v_cmp_eq_f64_e64 s0, 0, v[7:8]
	s_and_b32 s2, vcc_lo, s0
	s_mov_b32 s0, -1
	s_and_saveexec_b32 s1, s2
	s_cbranch_execz .LBB276_2
; %bb.1:
	s_waitcnt vmcnt(0) lgkmcnt(0)
	v_cmp_neq_f64_e32 vcc_lo, 1.0, v[1:2]
	v_cmp_neq_f64_e64 s0, 0, v[3:4]
	s_or_b32 s0, vcc_lo, s0
	s_orn2_b32 s0, s0, exec_lo
.LBB276_2:
	s_or_b32 exec_lo, exec_lo, s1
	s_and_saveexec_b32 s1, s0
	s_cbranch_execz .LBB276_13
; %bb.3:
	s_load_dword s0, s[4:5], 0x0
	v_lshrrev_b32_e32 v9, 5, v0
	v_lshl_or_b32 v9, s6, 2, v9
	s_waitcnt lgkmcnt(0)
	v_cmp_gt_i32_e32 vcc_lo, s0, v9
	s_and_b32 exec_lo, exec_lo, vcc_lo
	s_cbranch_execz .LBB276_13
; %bb.4:
	s_clause 0x1
	s_load_dwordx2 s[0:1], s[4:5], 0x18
	s_load_dwordx2 s[6:7], s[4:5], 0x48
	v_ashrrev_i32_e32 v10, 31, v9
	v_and_b32_e32 v0, 31, v0
	v_mov_b32_e32 v16, 0
	v_mov_b32_e32 v18, 0
	;; [unrolled: 1-line block ×3, first 2 shown]
	v_lshlrev_b64 v[11:12], 2, v[9:10]
	v_subrev_nc_u32_e32 v13, s8, v0
	v_mov_b32_e32 v19, 0
	s_mov_b32 s9, exec_lo
	s_waitcnt lgkmcnt(0)
	v_add_co_u32 v11, vcc_lo, s0, v11
	v_add_co_ci_u32_e64 v12, null, s1, v12, vcc_lo
	global_load_dwordx2 v[11:12], v[11:12], off
	s_waitcnt vmcnt(0)
	v_subrev_nc_u32_e32 v20, s8, v12
	v_add_nc_u32_e32 v11, v11, v13
	v_cmpx_lt_i32_e64 v11, v20
	s_cbranch_execz .LBB276_8
; %bb.5:
	s_clause 0x1
	s_load_dwordx4 s[0:3], s[4:5], 0x20
	s_load_dwordx2 s[4:5], s[4:5], 0x30
	v_mad_u64_u32 v[13:14], null, v11, 11, 10
	v_mov_b32_e32 v16, 0
	v_mov_b32_e32 v18, 0
	;; [unrolled: 1-line block ×5, first 2 shown]
	s_mov_b32 s10, 0
.LBB276_6:                              ; =>This Inner Loop Header: Depth=1
	v_ashrrev_i32_e32 v12, 31, v11
	v_add_nc_u32_e32 v14, -10, v13
	v_mov_b32_e32 v62, v15
	v_lshlrev_b64 v[21:22], 2, v[11:12]
	v_add_nc_u32_e32 v11, 32, v11
	s_waitcnt lgkmcnt(0)
	v_add_co_u32 v21, vcc_lo, s0, v21
	v_add_co_ci_u32_e64 v22, null, s1, v22, vcc_lo
	global_load_dword v12, v[21:22], off
	v_lshlrev_b64 v[21:22], 4, v[14:15]
	v_add_nc_u32_e32 v14, -9, v13
	v_lshlrev_b64 v[23:24], 4, v[14:15]
	v_add_co_u32 v21, vcc_lo, s2, v21
	v_add_co_ci_u32_e64 v22, null, s3, v22, vcc_lo
	v_add_co_u32 v25, vcc_lo, s2, v23
	v_add_co_ci_u32_e64 v26, null, s3, v24, vcc_lo
	s_clause 0x1
	global_load_dwordx4 v[21:24], v[21:22], off
	global_load_dwordx4 v[25:28], v[25:26], off
	s_waitcnt vmcnt(2)
	v_subrev_nc_u32_e32 v12, s8, v12
	v_mul_lo_u32 v61, v12, 11
	v_lshlrev_b64 v[29:30], 4, v[61:62]
	v_add_nc_u32_e32 v14, 1, v61
	v_lshlrev_b64 v[33:34], 4, v[14:15]
	v_add_co_u32 v29, vcc_lo, s4, v29
	v_add_co_ci_u32_e64 v30, null, s5, v30, vcc_lo
	v_add_nc_u32_e32 v14, -8, v13
	v_add_co_u32 v33, vcc_lo, s4, v33
	global_load_dwordx4 v[29:32], v[29:30], off
	v_add_co_ci_u32_e64 v34, null, s5, v34, vcc_lo
	v_lshlrev_b64 v[37:38], 4, v[14:15]
	v_add_nc_u32_e32 v14, 2, v61
	global_load_dwordx4 v[33:36], v[33:34], off
	v_lshlrev_b64 v[39:40], 4, v[14:15]
	v_add_co_u32 v37, vcc_lo, s2, v37
	v_add_co_ci_u32_e64 v38, null, s3, v38, vcc_lo
	v_add_nc_u32_e32 v14, -7, v13
	v_add_co_u32 v41, vcc_lo, s4, v39
	v_add_co_ci_u32_e64 v42, null, s5, v40, vcc_lo
	global_load_dwordx4 v[37:40], v[37:38], off
	v_lshlrev_b64 v[45:46], 4, v[14:15]
	v_add_nc_u32_e32 v14, 3, v61
	global_load_dwordx4 v[41:44], v[41:42], off
	v_lshlrev_b64 v[47:48], 4, v[14:15]
	v_add_co_u32 v45, vcc_lo, s2, v45
	v_add_co_ci_u32_e64 v46, null, s3, v46, vcc_lo
	v_add_nc_u32_e32 v14, -6, v13
	v_add_co_u32 v49, vcc_lo, s4, v47
	v_add_co_ci_u32_e64 v50, null, s5, v48, vcc_lo
	global_load_dwordx4 v[45:48], v[45:46], off
	;; [unrolled: 10-line block ×3, first 2 shown]
	global_load_dwordx4 v[57:60], v[57:58], off
	v_lshlrev_b64 v[62:63], 4, v[14:15]
	v_add_nc_u32_e32 v14, 5, v61
	v_lshlrev_b64 v[64:65], 4, v[14:15]
	v_add_co_u32 v62, vcc_lo, s2, v62
	v_add_co_ci_u32_e64 v63, null, s3, v63, vcc_lo
	v_add_nc_u32_e32 v14, -4, v13
	v_add_co_u32 v64, vcc_lo, s4, v64
	v_add_co_ci_u32_e64 v65, null, s5, v65, vcc_lo
	v_lshlrev_b64 v[66:67], 4, v[14:15]
	v_add_nc_u32_e32 v14, 6, v61
	s_waitcnt vmcnt(7)
	v_fma_f64 v[18:19], v[21:22], v[29:30], v[18:19]
	v_fma_f64 v[16:17], v[23:24], v[29:30], v[16:17]
	v_fma_f64 v[29:30], -v[23:24], v[31:32], v[18:19]
	v_fma_f64 v[31:32], v[21:22], v[31:32], v[16:17]
	global_load_dwordx4 v[16:19], v[62:63], off
	global_load_dwordx4 v[21:24], v[64:65], off
	v_lshlrev_b64 v[62:63], 4, v[14:15]
	v_add_co_u32 v64, vcc_lo, s2, v66
	v_add_co_ci_u32_e64 v65, null, s3, v67, vcc_lo
	v_add_nc_u32_e32 v14, -3, v13
	v_add_co_u32 v62, vcc_lo, s4, v62
	v_add_co_ci_u32_e64 v63, null, s5, v63, vcc_lo
	v_lshlrev_b64 v[66:67], 4, v[14:15]
	v_add_nc_u32_e32 v14, 7, v61
	s_waitcnt vmcnt(8)
	v_fma_f64 v[29:30], v[25:26], v[33:34], v[29:30]
	v_fma_f64 v[31:32], v[27:28], v[33:34], v[31:32]
	v_lshlrev_b64 v[33:34], 4, v[14:15]
	v_add_nc_u32_e32 v14, -2, v13
	v_fma_f64 v[68:69], -v[27:28], v[35:36], v[29:30]
	v_fma_f64 v[70:71], v[25:26], v[35:36], v[31:32]
	global_load_dwordx4 v[25:28], v[64:65], off
	global_load_dwordx4 v[29:32], v[62:63], off
	v_add_co_u32 v35, vcc_lo, s2, v66
	v_add_co_ci_u32_e64 v36, null, s3, v67, vcc_lo
	v_add_co_u32 v62, vcc_lo, s4, v33
	v_add_co_ci_u32_e64 v63, null, s5, v34, vcc_lo
	global_load_dwordx4 v[33:36], v[35:36], off
	s_waitcnt vmcnt(9)
	v_fma_f64 v[64:65], v[37:38], v[41:42], v[68:69]
	v_fma_f64 v[41:42], v[39:40], v[41:42], v[70:71]
	v_fma_f64 v[64:65], -v[39:40], v[43:44], v[64:65]
	v_fma_f64 v[66:67], v[37:38], v[43:44], v[41:42]
	global_load_dwordx4 v[37:40], v[62:63], off
	v_lshlrev_b64 v[41:42], 4, v[14:15]
	v_add_nc_u32_e32 v14, 8, v61
	v_lshlrev_b64 v[43:44], 4, v[14:15]
	v_add_co_u32 v41, vcc_lo, s2, v41
	v_add_co_ci_u32_e64 v42, null, s3, v42, vcc_lo
	v_add_nc_u32_e32 v14, -1, v13
	v_add_co_u32 v62, vcc_lo, s4, v43
	v_add_co_ci_u32_e64 v63, null, s5, v44, vcc_lo
	global_load_dwordx4 v[41:44], v[41:42], off
	s_waitcnt vmcnt(9)
	v_fma_f64 v[64:65], v[45:46], v[49:50], v[64:65]
	v_fma_f64 v[49:50], v[47:48], v[49:50], v[66:67]
	v_fma_f64 v[64:65], -v[47:48], v[51:52], v[64:65]
	v_fma_f64 v[66:67], v[45:46], v[51:52], v[49:50]
	global_load_dwordx4 v[45:48], v[62:63], off
	v_lshlrev_b64 v[49:50], 4, v[14:15]
	v_add_nc_u32_e32 v14, 9, v61
	v_lshlrev_b64 v[51:52], 4, v[14:15]
	v_add_co_u32 v49, vcc_lo, s2, v49
	v_add_co_ci_u32_e64 v50, null, s3, v50, vcc_lo
	v_mov_b32_e32 v14, v15
	v_add_co_u32 v62, vcc_lo, s4, v51
	v_add_co_ci_u32_e64 v63, null, s5, v52, vcc_lo
	global_load_dwordx4 v[49:52], v[49:50], off
	s_waitcnt vmcnt(9)
	v_fma_f64 v[64:65], v[53:54], v[57:58], v[64:65]
	v_fma_f64 v[57:58], v[55:56], v[57:58], v[66:67]
	v_fma_f64 v[65:66], -v[55:56], v[59:60], v[64:65]
	v_fma_f64 v[67:68], v[53:54], v[59:60], v[57:58]
	global_load_dwordx4 v[53:56], v[62:63], off
	v_lshlrev_b64 v[57:58], 4, v[13:14]
	v_add_nc_u32_e32 v14, 10, v61
	v_add_nc_u32_e32 v13, 0x160, v13
	v_lshlrev_b64 v[59:60], 4, v[14:15]
	v_add_co_u32 v57, vcc_lo, s2, v57
	v_add_co_ci_u32_e64 v58, null, s3, v58, vcc_lo
	v_add_co_u32 v61, vcc_lo, s4, v59
	v_add_co_ci_u32_e64 v62, null, s5, v60, vcc_lo
	global_load_dwordx4 v[57:60], v[57:58], off
	global_load_dwordx4 v[61:64], v[61:62], off
	v_cmp_ge_i32_e32 vcc_lo, v11, v20
	s_or_b32 s10, vcc_lo, s10
	s_waitcnt vmcnt(10)
	v_fma_f64 v[65:66], v[16:17], v[21:22], v[65:66]
	v_fma_f64 v[21:22], v[18:19], v[21:22], v[67:68]
	v_fma_f64 v[18:19], -v[18:19], v[23:24], v[65:66]
	v_fma_f64 v[16:17], v[16:17], v[23:24], v[21:22]
	s_waitcnt vmcnt(8)
	v_fma_f64 v[18:19], v[25:26], v[29:30], v[18:19]
	v_fma_f64 v[16:17], v[27:28], v[29:30], v[16:17]
	v_fma_f64 v[18:19], -v[27:28], v[31:32], v[18:19]
	v_fma_f64 v[16:17], v[25:26], v[31:32], v[16:17]
	;; [unrolled: 5-line block ×6, first 2 shown]
	s_andn2_b32 exec_lo, exec_lo, s10
	s_cbranch_execnz .LBB276_6
; %bb.7:
	s_or_b32 exec_lo, exec_lo, s10
.LBB276_8:
	s_or_b32 exec_lo, exec_lo, s9
	v_mbcnt_lo_u32_b32 v20, -1, 0
	v_xor_b32_e32 v11, 16, v20
	v_xor_b32_e32 v15, 8, v20
	v_cmp_gt_i32_e32 vcc_lo, 32, v11
	v_cndmask_b32_e32 v11, v20, v11, vcc_lo
	v_cmp_gt_i32_e32 vcc_lo, 32, v15
	v_lshlrev_b32_e32 v14, 2, v11
	v_cndmask_b32_e32 v15, v20, v15, vcc_lo
	ds_bpermute_b32 v11, v14, v18
	ds_bpermute_b32 v12, v14, v19
	;; [unrolled: 1-line block ×4, first 2 shown]
	s_waitcnt lgkmcnt(2)
	v_add_f64 v[11:12], v[18:19], v[11:12]
	v_lshlrev_b32_e32 v18, 2, v15
	s_waitcnt lgkmcnt(0)
	v_add_f64 v[13:14], v[16:17], v[13:14]
	ds_bpermute_b32 v15, v18, v11
	ds_bpermute_b32 v16, v18, v12
	;; [unrolled: 1-line block ×4, first 2 shown]
	s_waitcnt lgkmcnt(2)
	v_add_f64 v[11:12], v[11:12], v[15:16]
	v_xor_b32_e32 v15, 4, v20
	s_waitcnt lgkmcnt(0)
	v_add_f64 v[13:14], v[13:14], v[17:18]
	v_cmp_gt_i32_e32 vcc_lo, 32, v15
	v_cndmask_b32_e32 v15, v20, v15, vcc_lo
	v_lshlrev_b32_e32 v18, 2, v15
	ds_bpermute_b32 v15, v18, v11
	ds_bpermute_b32 v16, v18, v12
	;; [unrolled: 1-line block ×4, first 2 shown]
	s_waitcnt lgkmcnt(2)
	v_add_f64 v[11:12], v[11:12], v[15:16]
	v_xor_b32_e32 v15, 2, v20
	s_waitcnt lgkmcnt(0)
	v_add_f64 v[13:14], v[13:14], v[17:18]
	v_cmp_gt_i32_e32 vcc_lo, 32, v15
	v_cndmask_b32_e32 v15, v20, v15, vcc_lo
	v_lshlrev_b32_e32 v18, 2, v15
	ds_bpermute_b32 v15, v18, v11
	ds_bpermute_b32 v16, v18, v12
	;; [unrolled: 1-line block ×4, first 2 shown]
	s_waitcnt lgkmcnt(2)
	v_add_f64 v[11:12], v[11:12], v[15:16]
	v_xor_b32_e32 v15, 1, v20
	s_waitcnt lgkmcnt(0)
	v_add_f64 v[13:14], v[13:14], v[17:18]
	v_cmp_gt_i32_e32 vcc_lo, 32, v15
	v_cndmask_b32_e32 v15, v20, v15, vcc_lo
	v_cmp_eq_u32_e32 vcc_lo, 31, v0
	v_lshlrev_b32_e32 v18, 2, v15
	ds_bpermute_b32 v15, v18, v11
	ds_bpermute_b32 v16, v18, v12
	;; [unrolled: 1-line block ×4, first 2 shown]
	s_and_b32 exec_lo, exec_lo, vcc_lo
	s_cbranch_execz .LBB276_13
; %bb.9:
	s_waitcnt lgkmcnt(0)
	v_add_f64 v[13:14], v[13:14], v[17:18]
	v_add_f64 v[11:12], v[11:12], v[15:16]
	v_cmp_eq_f64_e32 vcc_lo, 0, v[1:2]
	v_cmp_eq_f64_e64 s0, 0, v[3:4]
	v_lshlrev_b64 v[9:10], 4, v[9:10]
	v_mul_f64 v[15:16], v[13:14], -v[7:8]
	v_mul_f64 v[13:14], v[5:6], v[13:14]
	s_and_b32 s0, vcc_lo, s0
	v_fma_f64 v[5:6], v[5:6], v[11:12], v[15:16]
	v_fma_f64 v[7:8], v[7:8], v[11:12], v[13:14]
	s_and_saveexec_b32 s1, s0
	s_xor_b32 s0, exec_lo, s1
	s_cbranch_execz .LBB276_11
; %bb.10:
	v_add_co_u32 v0, vcc_lo, s6, v9
	v_add_co_ci_u32_e64 v1, null, s7, v10, vcc_lo
                                        ; implicit-def: $vgpr9_vgpr10
	global_store_dwordx4 v[0:1], v[5:8], off
                                        ; implicit-def: $vgpr1_vgpr2
                                        ; implicit-def: $vgpr5_vgpr6
.LBB276_11:
	s_andn2_saveexec_b32 s0, s0
	s_cbranch_execz .LBB276_13
; %bb.12:
	v_add_co_u32 v13, vcc_lo, s6, v9
	v_add_co_ci_u32_e64 v14, null, s7, v10, vcc_lo
	global_load_dwordx4 v[9:12], v[13:14], off
	s_waitcnt vmcnt(0)
	v_fma_f64 v[5:6], v[1:2], v[9:10], v[5:6]
	v_fma_f64 v[7:8], v[3:4], v[9:10], v[7:8]
	v_fma_f64 v[3:4], -v[3:4], v[11:12], v[5:6]
	v_fma_f64 v[5:6], v[1:2], v[11:12], v[7:8]
	global_store_dwordx4 v[13:14], v[3:6], off
.LBB276_13:
	s_endpgm
	.section	.rodata,"a",@progbits
	.p2align	6, 0x0
	.amdhsa_kernel _ZN9rocsparseL19gebsrmvn_1xn_kernelILj128ELj11ELj32E21rocsparse_complex_numIdEEEvi20rocsparse_direction_NS_24const_host_device_scalarIT2_EEPKiS8_PKS5_SA_S6_PS5_21rocsparse_index_base_b
		.amdhsa_group_segment_fixed_size 0
		.amdhsa_private_segment_fixed_size 0
		.amdhsa_kernarg_size 88
		.amdhsa_user_sgpr_count 6
		.amdhsa_user_sgpr_private_segment_buffer 1
		.amdhsa_user_sgpr_dispatch_ptr 0
		.amdhsa_user_sgpr_queue_ptr 0
		.amdhsa_user_sgpr_kernarg_segment_ptr 1
		.amdhsa_user_sgpr_dispatch_id 0
		.amdhsa_user_sgpr_flat_scratch_init 0
		.amdhsa_user_sgpr_private_segment_size 0
		.amdhsa_wavefront_size32 1
		.amdhsa_uses_dynamic_stack 0
		.amdhsa_system_sgpr_private_segment_wavefront_offset 0
		.amdhsa_system_sgpr_workgroup_id_x 1
		.amdhsa_system_sgpr_workgroup_id_y 0
		.amdhsa_system_sgpr_workgroup_id_z 0
		.amdhsa_system_sgpr_workgroup_info 0
		.amdhsa_system_vgpr_workitem_id 0
		.amdhsa_next_free_vgpr 72
		.amdhsa_next_free_sgpr 13
		.amdhsa_reserve_vcc 1
		.amdhsa_reserve_flat_scratch 0
		.amdhsa_float_round_mode_32 0
		.amdhsa_float_round_mode_16_64 0
		.amdhsa_float_denorm_mode_32 3
		.amdhsa_float_denorm_mode_16_64 3
		.amdhsa_dx10_clamp 1
		.amdhsa_ieee_mode 1
		.amdhsa_fp16_overflow 0
		.amdhsa_workgroup_processor_mode 1
		.amdhsa_memory_ordered 1
		.amdhsa_forward_progress 1
		.amdhsa_shared_vgpr_count 0
		.amdhsa_exception_fp_ieee_invalid_op 0
		.amdhsa_exception_fp_denorm_src 0
		.amdhsa_exception_fp_ieee_div_zero 0
		.amdhsa_exception_fp_ieee_overflow 0
		.amdhsa_exception_fp_ieee_underflow 0
		.amdhsa_exception_fp_ieee_inexact 0
		.amdhsa_exception_int_div_zero 0
	.end_amdhsa_kernel
	.section	.text._ZN9rocsparseL19gebsrmvn_1xn_kernelILj128ELj11ELj32E21rocsparse_complex_numIdEEEvi20rocsparse_direction_NS_24const_host_device_scalarIT2_EEPKiS8_PKS5_SA_S6_PS5_21rocsparse_index_base_b,"axG",@progbits,_ZN9rocsparseL19gebsrmvn_1xn_kernelILj128ELj11ELj32E21rocsparse_complex_numIdEEEvi20rocsparse_direction_NS_24const_host_device_scalarIT2_EEPKiS8_PKS5_SA_S6_PS5_21rocsparse_index_base_b,comdat
.Lfunc_end276:
	.size	_ZN9rocsparseL19gebsrmvn_1xn_kernelILj128ELj11ELj32E21rocsparse_complex_numIdEEEvi20rocsparse_direction_NS_24const_host_device_scalarIT2_EEPKiS8_PKS5_SA_S6_PS5_21rocsparse_index_base_b, .Lfunc_end276-_ZN9rocsparseL19gebsrmvn_1xn_kernelILj128ELj11ELj32E21rocsparse_complex_numIdEEEvi20rocsparse_direction_NS_24const_host_device_scalarIT2_EEPKiS8_PKS5_SA_S6_PS5_21rocsparse_index_base_b
                                        ; -- End function
	.set _ZN9rocsparseL19gebsrmvn_1xn_kernelILj128ELj11ELj32E21rocsparse_complex_numIdEEEvi20rocsparse_direction_NS_24const_host_device_scalarIT2_EEPKiS8_PKS5_SA_S6_PS5_21rocsparse_index_base_b.num_vgpr, 72
	.set _ZN9rocsparseL19gebsrmvn_1xn_kernelILj128ELj11ELj32E21rocsparse_complex_numIdEEEvi20rocsparse_direction_NS_24const_host_device_scalarIT2_EEPKiS8_PKS5_SA_S6_PS5_21rocsparse_index_base_b.num_agpr, 0
	.set _ZN9rocsparseL19gebsrmvn_1xn_kernelILj128ELj11ELj32E21rocsparse_complex_numIdEEEvi20rocsparse_direction_NS_24const_host_device_scalarIT2_EEPKiS8_PKS5_SA_S6_PS5_21rocsparse_index_base_b.numbered_sgpr, 13
	.set _ZN9rocsparseL19gebsrmvn_1xn_kernelILj128ELj11ELj32E21rocsparse_complex_numIdEEEvi20rocsparse_direction_NS_24const_host_device_scalarIT2_EEPKiS8_PKS5_SA_S6_PS5_21rocsparse_index_base_b.num_named_barrier, 0
	.set _ZN9rocsparseL19gebsrmvn_1xn_kernelILj128ELj11ELj32E21rocsparse_complex_numIdEEEvi20rocsparse_direction_NS_24const_host_device_scalarIT2_EEPKiS8_PKS5_SA_S6_PS5_21rocsparse_index_base_b.private_seg_size, 0
	.set _ZN9rocsparseL19gebsrmvn_1xn_kernelILj128ELj11ELj32E21rocsparse_complex_numIdEEEvi20rocsparse_direction_NS_24const_host_device_scalarIT2_EEPKiS8_PKS5_SA_S6_PS5_21rocsparse_index_base_b.uses_vcc, 1
	.set _ZN9rocsparseL19gebsrmvn_1xn_kernelILj128ELj11ELj32E21rocsparse_complex_numIdEEEvi20rocsparse_direction_NS_24const_host_device_scalarIT2_EEPKiS8_PKS5_SA_S6_PS5_21rocsparse_index_base_b.uses_flat_scratch, 0
	.set _ZN9rocsparseL19gebsrmvn_1xn_kernelILj128ELj11ELj32E21rocsparse_complex_numIdEEEvi20rocsparse_direction_NS_24const_host_device_scalarIT2_EEPKiS8_PKS5_SA_S6_PS5_21rocsparse_index_base_b.has_dyn_sized_stack, 0
	.set _ZN9rocsparseL19gebsrmvn_1xn_kernelILj128ELj11ELj32E21rocsparse_complex_numIdEEEvi20rocsparse_direction_NS_24const_host_device_scalarIT2_EEPKiS8_PKS5_SA_S6_PS5_21rocsparse_index_base_b.has_recursion, 0
	.set _ZN9rocsparseL19gebsrmvn_1xn_kernelILj128ELj11ELj32E21rocsparse_complex_numIdEEEvi20rocsparse_direction_NS_24const_host_device_scalarIT2_EEPKiS8_PKS5_SA_S6_PS5_21rocsparse_index_base_b.has_indirect_call, 0
	.section	.AMDGPU.csdata,"",@progbits
; Kernel info:
; codeLenInByte = 2200
; TotalNumSgprs: 15
; NumVgprs: 72
; ScratchSize: 0
; MemoryBound: 0
; FloatMode: 240
; IeeeMode: 1
; LDSByteSize: 0 bytes/workgroup (compile time only)
; SGPRBlocks: 0
; VGPRBlocks: 8
; NumSGPRsForWavesPerEU: 15
; NumVGPRsForWavesPerEU: 72
; Occupancy: 12
; WaveLimiterHint : 1
; COMPUTE_PGM_RSRC2:SCRATCH_EN: 0
; COMPUTE_PGM_RSRC2:USER_SGPR: 6
; COMPUTE_PGM_RSRC2:TRAP_HANDLER: 0
; COMPUTE_PGM_RSRC2:TGID_X_EN: 1
; COMPUTE_PGM_RSRC2:TGID_Y_EN: 0
; COMPUTE_PGM_RSRC2:TGID_Z_EN: 0
; COMPUTE_PGM_RSRC2:TIDIG_COMP_CNT: 0
	.section	.text._ZN9rocsparseL19gebsrmvn_1xn_kernelILj128ELj11ELj64E21rocsparse_complex_numIdEEEvi20rocsparse_direction_NS_24const_host_device_scalarIT2_EEPKiS8_PKS5_SA_S6_PS5_21rocsparse_index_base_b,"axG",@progbits,_ZN9rocsparseL19gebsrmvn_1xn_kernelILj128ELj11ELj64E21rocsparse_complex_numIdEEEvi20rocsparse_direction_NS_24const_host_device_scalarIT2_EEPKiS8_PKS5_SA_S6_PS5_21rocsparse_index_base_b,comdat
	.globl	_ZN9rocsparseL19gebsrmvn_1xn_kernelILj128ELj11ELj64E21rocsparse_complex_numIdEEEvi20rocsparse_direction_NS_24const_host_device_scalarIT2_EEPKiS8_PKS5_SA_S6_PS5_21rocsparse_index_base_b ; -- Begin function _ZN9rocsparseL19gebsrmvn_1xn_kernelILj128ELj11ELj64E21rocsparse_complex_numIdEEEvi20rocsparse_direction_NS_24const_host_device_scalarIT2_EEPKiS8_PKS5_SA_S6_PS5_21rocsparse_index_base_b
	.p2align	8
	.type	_ZN9rocsparseL19gebsrmvn_1xn_kernelILj128ELj11ELj64E21rocsparse_complex_numIdEEEvi20rocsparse_direction_NS_24const_host_device_scalarIT2_EEPKiS8_PKS5_SA_S6_PS5_21rocsparse_index_base_b,@function
_ZN9rocsparseL19gebsrmvn_1xn_kernelILj128ELj11ELj64E21rocsparse_complex_numIdEEEvi20rocsparse_direction_NS_24const_host_device_scalarIT2_EEPKiS8_PKS5_SA_S6_PS5_21rocsparse_index_base_b: ; @_ZN9rocsparseL19gebsrmvn_1xn_kernelILj128ELj11ELj64E21rocsparse_complex_numIdEEEvi20rocsparse_direction_NS_24const_host_device_scalarIT2_EEPKiS8_PKS5_SA_S6_PS5_21rocsparse_index_base_b
; %bb.0:
	s_clause 0x1
	s_load_dwordx2 s[8:9], s[4:5], 0x50
	s_load_dwordx2 s[0:1], s[4:5], 0x8
	s_add_u32 s7, s4, 8
	s_addc_u32 s10, s5, 0
	s_add_u32 s11, s4, 56
	s_addc_u32 s12, s5, 0
	s_load_dwordx2 s[2:3], s[4:5], 0x38
	s_waitcnt lgkmcnt(0)
	s_bitcmp1_b32 s9, 0
	s_cselect_b32 s0, s7, s0
	s_cselect_b32 s1, s10, s1
	v_mov_b32_e32 v1, s0
	v_mov_b32_e32 v2, s1
	s_cselect_b32 s0, s11, s2
	s_cselect_b32 s1, s12, s3
	flat_load_dwordx4 v[5:8], v[1:2]
	v_mov_b32_e32 v1, s0
	v_mov_b32_e32 v2, s1
	flat_load_dwordx4 v[1:4], v[1:2]
	s_waitcnt vmcnt(1) lgkmcnt(1)
	v_cmp_eq_f64_e32 vcc_lo, 0, v[5:6]
	v_cmp_eq_f64_e64 s0, 0, v[7:8]
	s_and_b32 s2, vcc_lo, s0
	s_mov_b32 s0, -1
	s_and_saveexec_b32 s1, s2
	s_cbranch_execz .LBB277_2
; %bb.1:
	s_waitcnt vmcnt(0) lgkmcnt(0)
	v_cmp_neq_f64_e32 vcc_lo, 1.0, v[1:2]
	v_cmp_neq_f64_e64 s0, 0, v[3:4]
	s_or_b32 s0, vcc_lo, s0
	s_orn2_b32 s0, s0, exec_lo
.LBB277_2:
	s_or_b32 exec_lo, exec_lo, s1
	s_and_saveexec_b32 s1, s0
	s_cbranch_execz .LBB277_13
; %bb.3:
	s_load_dword s0, s[4:5], 0x0
	v_lshrrev_b32_e32 v9, 6, v0
	v_lshl_or_b32 v9, s6, 1, v9
	s_waitcnt lgkmcnt(0)
	v_cmp_gt_i32_e32 vcc_lo, s0, v9
	s_and_b32 exec_lo, exec_lo, vcc_lo
	s_cbranch_execz .LBB277_13
; %bb.4:
	s_clause 0x1
	s_load_dwordx2 s[0:1], s[4:5], 0x18
	s_load_dwordx2 s[6:7], s[4:5], 0x48
	v_ashrrev_i32_e32 v10, 31, v9
	v_and_b32_e32 v0, 63, v0
	v_mov_b32_e32 v16, 0
	v_mov_b32_e32 v18, 0
	;; [unrolled: 1-line block ×3, first 2 shown]
	v_lshlrev_b64 v[11:12], 2, v[9:10]
	v_subrev_nc_u32_e32 v13, s8, v0
	v_mov_b32_e32 v19, 0
	s_mov_b32 s9, exec_lo
	s_waitcnt lgkmcnt(0)
	v_add_co_u32 v11, vcc_lo, s0, v11
	v_add_co_ci_u32_e64 v12, null, s1, v12, vcc_lo
	global_load_dwordx2 v[11:12], v[11:12], off
	s_waitcnt vmcnt(0)
	v_subrev_nc_u32_e32 v20, s8, v12
	v_add_nc_u32_e32 v11, v11, v13
	v_cmpx_lt_i32_e64 v11, v20
	s_cbranch_execz .LBB277_8
; %bb.5:
	s_clause 0x1
	s_load_dwordx4 s[0:3], s[4:5], 0x20
	s_load_dwordx2 s[4:5], s[4:5], 0x30
	v_mad_u64_u32 v[13:14], null, v11, 11, 10
	v_mov_b32_e32 v16, 0
	v_mov_b32_e32 v18, 0
	;; [unrolled: 1-line block ×5, first 2 shown]
	s_mov_b32 s10, 0
.LBB277_6:                              ; =>This Inner Loop Header: Depth=1
	v_ashrrev_i32_e32 v12, 31, v11
	v_add_nc_u32_e32 v14, -10, v13
	v_mov_b32_e32 v62, v15
	v_lshlrev_b64 v[21:22], 2, v[11:12]
	v_add_nc_u32_e32 v11, 64, v11
	s_waitcnt lgkmcnt(0)
	v_add_co_u32 v21, vcc_lo, s0, v21
	v_add_co_ci_u32_e64 v22, null, s1, v22, vcc_lo
	global_load_dword v12, v[21:22], off
	v_lshlrev_b64 v[21:22], 4, v[14:15]
	v_add_nc_u32_e32 v14, -9, v13
	v_lshlrev_b64 v[23:24], 4, v[14:15]
	v_add_co_u32 v21, vcc_lo, s2, v21
	v_add_co_ci_u32_e64 v22, null, s3, v22, vcc_lo
	v_add_co_u32 v25, vcc_lo, s2, v23
	v_add_co_ci_u32_e64 v26, null, s3, v24, vcc_lo
	s_clause 0x1
	global_load_dwordx4 v[21:24], v[21:22], off
	global_load_dwordx4 v[25:28], v[25:26], off
	s_waitcnt vmcnt(2)
	v_subrev_nc_u32_e32 v12, s8, v12
	v_mul_lo_u32 v61, v12, 11
	v_lshlrev_b64 v[29:30], 4, v[61:62]
	v_add_nc_u32_e32 v14, 1, v61
	v_lshlrev_b64 v[33:34], 4, v[14:15]
	v_add_co_u32 v29, vcc_lo, s4, v29
	v_add_co_ci_u32_e64 v30, null, s5, v30, vcc_lo
	v_add_nc_u32_e32 v14, -8, v13
	v_add_co_u32 v33, vcc_lo, s4, v33
	global_load_dwordx4 v[29:32], v[29:30], off
	v_add_co_ci_u32_e64 v34, null, s5, v34, vcc_lo
	v_lshlrev_b64 v[37:38], 4, v[14:15]
	v_add_nc_u32_e32 v14, 2, v61
	global_load_dwordx4 v[33:36], v[33:34], off
	v_lshlrev_b64 v[39:40], 4, v[14:15]
	v_add_co_u32 v37, vcc_lo, s2, v37
	v_add_co_ci_u32_e64 v38, null, s3, v38, vcc_lo
	v_add_nc_u32_e32 v14, -7, v13
	v_add_co_u32 v41, vcc_lo, s4, v39
	v_add_co_ci_u32_e64 v42, null, s5, v40, vcc_lo
	global_load_dwordx4 v[37:40], v[37:38], off
	v_lshlrev_b64 v[45:46], 4, v[14:15]
	v_add_nc_u32_e32 v14, 3, v61
	global_load_dwordx4 v[41:44], v[41:42], off
	v_lshlrev_b64 v[47:48], 4, v[14:15]
	v_add_co_u32 v45, vcc_lo, s2, v45
	v_add_co_ci_u32_e64 v46, null, s3, v46, vcc_lo
	v_add_nc_u32_e32 v14, -6, v13
	v_add_co_u32 v49, vcc_lo, s4, v47
	v_add_co_ci_u32_e64 v50, null, s5, v48, vcc_lo
	global_load_dwordx4 v[45:48], v[45:46], off
	;; [unrolled: 10-line block ×3, first 2 shown]
	global_load_dwordx4 v[57:60], v[57:58], off
	v_lshlrev_b64 v[62:63], 4, v[14:15]
	v_add_nc_u32_e32 v14, 5, v61
	v_lshlrev_b64 v[64:65], 4, v[14:15]
	v_add_co_u32 v62, vcc_lo, s2, v62
	v_add_co_ci_u32_e64 v63, null, s3, v63, vcc_lo
	v_add_nc_u32_e32 v14, -4, v13
	v_add_co_u32 v64, vcc_lo, s4, v64
	v_add_co_ci_u32_e64 v65, null, s5, v65, vcc_lo
	v_lshlrev_b64 v[66:67], 4, v[14:15]
	v_add_nc_u32_e32 v14, 6, v61
	s_waitcnt vmcnt(7)
	v_fma_f64 v[18:19], v[21:22], v[29:30], v[18:19]
	v_fma_f64 v[16:17], v[23:24], v[29:30], v[16:17]
	v_fma_f64 v[29:30], -v[23:24], v[31:32], v[18:19]
	v_fma_f64 v[31:32], v[21:22], v[31:32], v[16:17]
	global_load_dwordx4 v[16:19], v[62:63], off
	global_load_dwordx4 v[21:24], v[64:65], off
	v_lshlrev_b64 v[62:63], 4, v[14:15]
	v_add_co_u32 v64, vcc_lo, s2, v66
	v_add_co_ci_u32_e64 v65, null, s3, v67, vcc_lo
	v_add_nc_u32_e32 v14, -3, v13
	v_add_co_u32 v62, vcc_lo, s4, v62
	v_add_co_ci_u32_e64 v63, null, s5, v63, vcc_lo
	v_lshlrev_b64 v[66:67], 4, v[14:15]
	v_add_nc_u32_e32 v14, 7, v61
	s_waitcnt vmcnt(8)
	v_fma_f64 v[29:30], v[25:26], v[33:34], v[29:30]
	v_fma_f64 v[31:32], v[27:28], v[33:34], v[31:32]
	v_lshlrev_b64 v[33:34], 4, v[14:15]
	v_add_nc_u32_e32 v14, -2, v13
	v_fma_f64 v[68:69], -v[27:28], v[35:36], v[29:30]
	v_fma_f64 v[70:71], v[25:26], v[35:36], v[31:32]
	global_load_dwordx4 v[25:28], v[64:65], off
	global_load_dwordx4 v[29:32], v[62:63], off
	v_add_co_u32 v35, vcc_lo, s2, v66
	v_add_co_ci_u32_e64 v36, null, s3, v67, vcc_lo
	v_add_co_u32 v62, vcc_lo, s4, v33
	v_add_co_ci_u32_e64 v63, null, s5, v34, vcc_lo
	global_load_dwordx4 v[33:36], v[35:36], off
	s_waitcnt vmcnt(9)
	v_fma_f64 v[64:65], v[37:38], v[41:42], v[68:69]
	v_fma_f64 v[41:42], v[39:40], v[41:42], v[70:71]
	v_fma_f64 v[64:65], -v[39:40], v[43:44], v[64:65]
	v_fma_f64 v[66:67], v[37:38], v[43:44], v[41:42]
	global_load_dwordx4 v[37:40], v[62:63], off
	v_lshlrev_b64 v[41:42], 4, v[14:15]
	v_add_nc_u32_e32 v14, 8, v61
	v_lshlrev_b64 v[43:44], 4, v[14:15]
	v_add_co_u32 v41, vcc_lo, s2, v41
	v_add_co_ci_u32_e64 v42, null, s3, v42, vcc_lo
	v_add_nc_u32_e32 v14, -1, v13
	v_add_co_u32 v62, vcc_lo, s4, v43
	v_add_co_ci_u32_e64 v63, null, s5, v44, vcc_lo
	global_load_dwordx4 v[41:44], v[41:42], off
	s_waitcnt vmcnt(9)
	v_fma_f64 v[64:65], v[45:46], v[49:50], v[64:65]
	v_fma_f64 v[49:50], v[47:48], v[49:50], v[66:67]
	v_fma_f64 v[64:65], -v[47:48], v[51:52], v[64:65]
	v_fma_f64 v[66:67], v[45:46], v[51:52], v[49:50]
	global_load_dwordx4 v[45:48], v[62:63], off
	v_lshlrev_b64 v[49:50], 4, v[14:15]
	v_add_nc_u32_e32 v14, 9, v61
	v_lshlrev_b64 v[51:52], 4, v[14:15]
	v_add_co_u32 v49, vcc_lo, s2, v49
	v_add_co_ci_u32_e64 v50, null, s3, v50, vcc_lo
	v_mov_b32_e32 v14, v15
	v_add_co_u32 v62, vcc_lo, s4, v51
	v_add_co_ci_u32_e64 v63, null, s5, v52, vcc_lo
	global_load_dwordx4 v[49:52], v[49:50], off
	s_waitcnt vmcnt(9)
	v_fma_f64 v[64:65], v[53:54], v[57:58], v[64:65]
	v_fma_f64 v[57:58], v[55:56], v[57:58], v[66:67]
	v_fma_f64 v[65:66], -v[55:56], v[59:60], v[64:65]
	v_fma_f64 v[67:68], v[53:54], v[59:60], v[57:58]
	global_load_dwordx4 v[53:56], v[62:63], off
	v_lshlrev_b64 v[57:58], 4, v[13:14]
	v_add_nc_u32_e32 v14, 10, v61
	v_add_nc_u32_e32 v13, 0x2c0, v13
	v_lshlrev_b64 v[59:60], 4, v[14:15]
	v_add_co_u32 v57, vcc_lo, s2, v57
	v_add_co_ci_u32_e64 v58, null, s3, v58, vcc_lo
	v_add_co_u32 v61, vcc_lo, s4, v59
	v_add_co_ci_u32_e64 v62, null, s5, v60, vcc_lo
	global_load_dwordx4 v[57:60], v[57:58], off
	global_load_dwordx4 v[61:64], v[61:62], off
	v_cmp_ge_i32_e32 vcc_lo, v11, v20
	s_or_b32 s10, vcc_lo, s10
	s_waitcnt vmcnt(10)
	v_fma_f64 v[65:66], v[16:17], v[21:22], v[65:66]
	v_fma_f64 v[21:22], v[18:19], v[21:22], v[67:68]
	v_fma_f64 v[18:19], -v[18:19], v[23:24], v[65:66]
	v_fma_f64 v[16:17], v[16:17], v[23:24], v[21:22]
	s_waitcnt vmcnt(8)
	v_fma_f64 v[18:19], v[25:26], v[29:30], v[18:19]
	v_fma_f64 v[16:17], v[27:28], v[29:30], v[16:17]
	v_fma_f64 v[18:19], -v[27:28], v[31:32], v[18:19]
	v_fma_f64 v[16:17], v[25:26], v[31:32], v[16:17]
	;; [unrolled: 5-line block ×6, first 2 shown]
	s_andn2_b32 exec_lo, exec_lo, s10
	s_cbranch_execnz .LBB277_6
; %bb.7:
	s_or_b32 exec_lo, exec_lo, s10
.LBB277_8:
	s_or_b32 exec_lo, exec_lo, s9
	v_mbcnt_lo_u32_b32 v20, -1, 0
	v_or_b32_e32 v11, 32, v20
	v_xor_b32_e32 v15, 16, v20
	v_cmp_gt_i32_e32 vcc_lo, 32, v11
	v_cndmask_b32_e32 v11, v20, v11, vcc_lo
	v_cmp_gt_i32_e32 vcc_lo, 32, v15
	v_lshlrev_b32_e32 v14, 2, v11
	v_cndmask_b32_e32 v15, v20, v15, vcc_lo
	ds_bpermute_b32 v11, v14, v18
	ds_bpermute_b32 v12, v14, v19
	;; [unrolled: 1-line block ×4, first 2 shown]
	s_waitcnt lgkmcnt(2)
	v_add_f64 v[11:12], v[18:19], v[11:12]
	v_lshlrev_b32_e32 v18, 2, v15
	s_waitcnt lgkmcnt(0)
	v_add_f64 v[13:14], v[16:17], v[13:14]
	ds_bpermute_b32 v15, v18, v11
	ds_bpermute_b32 v16, v18, v12
	ds_bpermute_b32 v17, v18, v13
	ds_bpermute_b32 v18, v18, v14
	s_waitcnt lgkmcnt(2)
	v_add_f64 v[11:12], v[11:12], v[15:16]
	v_xor_b32_e32 v15, 8, v20
	s_waitcnt lgkmcnt(0)
	v_add_f64 v[13:14], v[13:14], v[17:18]
	v_cmp_gt_i32_e32 vcc_lo, 32, v15
	v_cndmask_b32_e32 v15, v20, v15, vcc_lo
	v_lshlrev_b32_e32 v18, 2, v15
	ds_bpermute_b32 v15, v18, v11
	ds_bpermute_b32 v16, v18, v12
	ds_bpermute_b32 v17, v18, v13
	ds_bpermute_b32 v18, v18, v14
	s_waitcnt lgkmcnt(2)
	v_add_f64 v[11:12], v[11:12], v[15:16]
	v_xor_b32_e32 v15, 4, v20
	s_waitcnt lgkmcnt(0)
	v_add_f64 v[13:14], v[13:14], v[17:18]
	v_cmp_gt_i32_e32 vcc_lo, 32, v15
	v_cndmask_b32_e32 v15, v20, v15, vcc_lo
	v_lshlrev_b32_e32 v18, 2, v15
	;; [unrolled: 12-line block ×3, first 2 shown]
	ds_bpermute_b32 v15, v18, v11
	ds_bpermute_b32 v16, v18, v12
	;; [unrolled: 1-line block ×4, first 2 shown]
	s_waitcnt lgkmcnt(2)
	v_add_f64 v[11:12], v[11:12], v[15:16]
	v_xor_b32_e32 v15, 1, v20
	s_waitcnt lgkmcnt(0)
	v_add_f64 v[13:14], v[13:14], v[17:18]
	v_cmp_gt_i32_e32 vcc_lo, 32, v15
	v_cndmask_b32_e32 v15, v20, v15, vcc_lo
	v_cmp_eq_u32_e32 vcc_lo, 63, v0
	v_lshlrev_b32_e32 v18, 2, v15
	ds_bpermute_b32 v15, v18, v11
	ds_bpermute_b32 v16, v18, v12
	;; [unrolled: 1-line block ×4, first 2 shown]
	s_and_b32 exec_lo, exec_lo, vcc_lo
	s_cbranch_execz .LBB277_13
; %bb.9:
	s_waitcnt lgkmcnt(0)
	v_add_f64 v[13:14], v[13:14], v[17:18]
	v_add_f64 v[11:12], v[11:12], v[15:16]
	v_cmp_eq_f64_e32 vcc_lo, 0, v[1:2]
	v_cmp_eq_f64_e64 s0, 0, v[3:4]
	v_lshlrev_b64 v[9:10], 4, v[9:10]
	v_mul_f64 v[15:16], v[13:14], -v[7:8]
	v_mul_f64 v[13:14], v[5:6], v[13:14]
	s_and_b32 s0, vcc_lo, s0
	v_fma_f64 v[5:6], v[5:6], v[11:12], v[15:16]
	v_fma_f64 v[7:8], v[7:8], v[11:12], v[13:14]
	s_and_saveexec_b32 s1, s0
	s_xor_b32 s0, exec_lo, s1
	s_cbranch_execz .LBB277_11
; %bb.10:
	v_add_co_u32 v0, vcc_lo, s6, v9
	v_add_co_ci_u32_e64 v1, null, s7, v10, vcc_lo
                                        ; implicit-def: $vgpr9_vgpr10
	global_store_dwordx4 v[0:1], v[5:8], off
                                        ; implicit-def: $vgpr1_vgpr2
                                        ; implicit-def: $vgpr5_vgpr6
.LBB277_11:
	s_andn2_saveexec_b32 s0, s0
	s_cbranch_execz .LBB277_13
; %bb.12:
	v_add_co_u32 v13, vcc_lo, s6, v9
	v_add_co_ci_u32_e64 v14, null, s7, v10, vcc_lo
	global_load_dwordx4 v[9:12], v[13:14], off
	s_waitcnt vmcnt(0)
	v_fma_f64 v[5:6], v[1:2], v[9:10], v[5:6]
	v_fma_f64 v[7:8], v[3:4], v[9:10], v[7:8]
	v_fma_f64 v[3:4], -v[3:4], v[11:12], v[5:6]
	v_fma_f64 v[5:6], v[1:2], v[11:12], v[7:8]
	global_store_dwordx4 v[13:14], v[3:6], off
.LBB277_13:
	s_endpgm
	.section	.rodata,"a",@progbits
	.p2align	6, 0x0
	.amdhsa_kernel _ZN9rocsparseL19gebsrmvn_1xn_kernelILj128ELj11ELj64E21rocsparse_complex_numIdEEEvi20rocsparse_direction_NS_24const_host_device_scalarIT2_EEPKiS8_PKS5_SA_S6_PS5_21rocsparse_index_base_b
		.amdhsa_group_segment_fixed_size 0
		.amdhsa_private_segment_fixed_size 0
		.amdhsa_kernarg_size 88
		.amdhsa_user_sgpr_count 6
		.amdhsa_user_sgpr_private_segment_buffer 1
		.amdhsa_user_sgpr_dispatch_ptr 0
		.amdhsa_user_sgpr_queue_ptr 0
		.amdhsa_user_sgpr_kernarg_segment_ptr 1
		.amdhsa_user_sgpr_dispatch_id 0
		.amdhsa_user_sgpr_flat_scratch_init 0
		.amdhsa_user_sgpr_private_segment_size 0
		.amdhsa_wavefront_size32 1
		.amdhsa_uses_dynamic_stack 0
		.amdhsa_system_sgpr_private_segment_wavefront_offset 0
		.amdhsa_system_sgpr_workgroup_id_x 1
		.amdhsa_system_sgpr_workgroup_id_y 0
		.amdhsa_system_sgpr_workgroup_id_z 0
		.amdhsa_system_sgpr_workgroup_info 0
		.amdhsa_system_vgpr_workitem_id 0
		.amdhsa_next_free_vgpr 72
		.amdhsa_next_free_sgpr 13
		.amdhsa_reserve_vcc 1
		.amdhsa_reserve_flat_scratch 0
		.amdhsa_float_round_mode_32 0
		.amdhsa_float_round_mode_16_64 0
		.amdhsa_float_denorm_mode_32 3
		.amdhsa_float_denorm_mode_16_64 3
		.amdhsa_dx10_clamp 1
		.amdhsa_ieee_mode 1
		.amdhsa_fp16_overflow 0
		.amdhsa_workgroup_processor_mode 1
		.amdhsa_memory_ordered 1
		.amdhsa_forward_progress 1
		.amdhsa_shared_vgpr_count 0
		.amdhsa_exception_fp_ieee_invalid_op 0
		.amdhsa_exception_fp_denorm_src 0
		.amdhsa_exception_fp_ieee_div_zero 0
		.amdhsa_exception_fp_ieee_overflow 0
		.amdhsa_exception_fp_ieee_underflow 0
		.amdhsa_exception_fp_ieee_inexact 0
		.amdhsa_exception_int_div_zero 0
	.end_amdhsa_kernel
	.section	.text._ZN9rocsparseL19gebsrmvn_1xn_kernelILj128ELj11ELj64E21rocsparse_complex_numIdEEEvi20rocsparse_direction_NS_24const_host_device_scalarIT2_EEPKiS8_PKS5_SA_S6_PS5_21rocsparse_index_base_b,"axG",@progbits,_ZN9rocsparseL19gebsrmvn_1xn_kernelILj128ELj11ELj64E21rocsparse_complex_numIdEEEvi20rocsparse_direction_NS_24const_host_device_scalarIT2_EEPKiS8_PKS5_SA_S6_PS5_21rocsparse_index_base_b,comdat
.Lfunc_end277:
	.size	_ZN9rocsparseL19gebsrmvn_1xn_kernelILj128ELj11ELj64E21rocsparse_complex_numIdEEEvi20rocsparse_direction_NS_24const_host_device_scalarIT2_EEPKiS8_PKS5_SA_S6_PS5_21rocsparse_index_base_b, .Lfunc_end277-_ZN9rocsparseL19gebsrmvn_1xn_kernelILj128ELj11ELj64E21rocsparse_complex_numIdEEEvi20rocsparse_direction_NS_24const_host_device_scalarIT2_EEPKiS8_PKS5_SA_S6_PS5_21rocsparse_index_base_b
                                        ; -- End function
	.set _ZN9rocsparseL19gebsrmvn_1xn_kernelILj128ELj11ELj64E21rocsparse_complex_numIdEEEvi20rocsparse_direction_NS_24const_host_device_scalarIT2_EEPKiS8_PKS5_SA_S6_PS5_21rocsparse_index_base_b.num_vgpr, 72
	.set _ZN9rocsparseL19gebsrmvn_1xn_kernelILj128ELj11ELj64E21rocsparse_complex_numIdEEEvi20rocsparse_direction_NS_24const_host_device_scalarIT2_EEPKiS8_PKS5_SA_S6_PS5_21rocsparse_index_base_b.num_agpr, 0
	.set _ZN9rocsparseL19gebsrmvn_1xn_kernelILj128ELj11ELj64E21rocsparse_complex_numIdEEEvi20rocsparse_direction_NS_24const_host_device_scalarIT2_EEPKiS8_PKS5_SA_S6_PS5_21rocsparse_index_base_b.numbered_sgpr, 13
	.set _ZN9rocsparseL19gebsrmvn_1xn_kernelILj128ELj11ELj64E21rocsparse_complex_numIdEEEvi20rocsparse_direction_NS_24const_host_device_scalarIT2_EEPKiS8_PKS5_SA_S6_PS5_21rocsparse_index_base_b.num_named_barrier, 0
	.set _ZN9rocsparseL19gebsrmvn_1xn_kernelILj128ELj11ELj64E21rocsparse_complex_numIdEEEvi20rocsparse_direction_NS_24const_host_device_scalarIT2_EEPKiS8_PKS5_SA_S6_PS5_21rocsparse_index_base_b.private_seg_size, 0
	.set _ZN9rocsparseL19gebsrmvn_1xn_kernelILj128ELj11ELj64E21rocsparse_complex_numIdEEEvi20rocsparse_direction_NS_24const_host_device_scalarIT2_EEPKiS8_PKS5_SA_S6_PS5_21rocsparse_index_base_b.uses_vcc, 1
	.set _ZN9rocsparseL19gebsrmvn_1xn_kernelILj128ELj11ELj64E21rocsparse_complex_numIdEEEvi20rocsparse_direction_NS_24const_host_device_scalarIT2_EEPKiS8_PKS5_SA_S6_PS5_21rocsparse_index_base_b.uses_flat_scratch, 0
	.set _ZN9rocsparseL19gebsrmvn_1xn_kernelILj128ELj11ELj64E21rocsparse_complex_numIdEEEvi20rocsparse_direction_NS_24const_host_device_scalarIT2_EEPKiS8_PKS5_SA_S6_PS5_21rocsparse_index_base_b.has_dyn_sized_stack, 0
	.set _ZN9rocsparseL19gebsrmvn_1xn_kernelILj128ELj11ELj64E21rocsparse_complex_numIdEEEvi20rocsparse_direction_NS_24const_host_device_scalarIT2_EEPKiS8_PKS5_SA_S6_PS5_21rocsparse_index_base_b.has_recursion, 0
	.set _ZN9rocsparseL19gebsrmvn_1xn_kernelILj128ELj11ELj64E21rocsparse_complex_numIdEEEvi20rocsparse_direction_NS_24const_host_device_scalarIT2_EEPKiS8_PKS5_SA_S6_PS5_21rocsparse_index_base_b.has_indirect_call, 0
	.section	.AMDGPU.csdata,"",@progbits
; Kernel info:
; codeLenInByte = 2272
; TotalNumSgprs: 15
; NumVgprs: 72
; ScratchSize: 0
; MemoryBound: 0
; FloatMode: 240
; IeeeMode: 1
; LDSByteSize: 0 bytes/workgroup (compile time only)
; SGPRBlocks: 0
; VGPRBlocks: 8
; NumSGPRsForWavesPerEU: 15
; NumVGPRsForWavesPerEU: 72
; Occupancy: 12
; WaveLimiterHint : 1
; COMPUTE_PGM_RSRC2:SCRATCH_EN: 0
; COMPUTE_PGM_RSRC2:USER_SGPR: 6
; COMPUTE_PGM_RSRC2:TRAP_HANDLER: 0
; COMPUTE_PGM_RSRC2:TGID_X_EN: 1
; COMPUTE_PGM_RSRC2:TGID_Y_EN: 0
; COMPUTE_PGM_RSRC2:TGID_Z_EN: 0
; COMPUTE_PGM_RSRC2:TIDIG_COMP_CNT: 0
	.section	.text._ZN9rocsparseL19gebsrmvn_1xn_kernelILj128ELj12ELj4E21rocsparse_complex_numIdEEEvi20rocsparse_direction_NS_24const_host_device_scalarIT2_EEPKiS8_PKS5_SA_S6_PS5_21rocsparse_index_base_b,"axG",@progbits,_ZN9rocsparseL19gebsrmvn_1xn_kernelILj128ELj12ELj4E21rocsparse_complex_numIdEEEvi20rocsparse_direction_NS_24const_host_device_scalarIT2_EEPKiS8_PKS5_SA_S6_PS5_21rocsparse_index_base_b,comdat
	.globl	_ZN9rocsparseL19gebsrmvn_1xn_kernelILj128ELj12ELj4E21rocsparse_complex_numIdEEEvi20rocsparse_direction_NS_24const_host_device_scalarIT2_EEPKiS8_PKS5_SA_S6_PS5_21rocsparse_index_base_b ; -- Begin function _ZN9rocsparseL19gebsrmvn_1xn_kernelILj128ELj12ELj4E21rocsparse_complex_numIdEEEvi20rocsparse_direction_NS_24const_host_device_scalarIT2_EEPKiS8_PKS5_SA_S6_PS5_21rocsparse_index_base_b
	.p2align	8
	.type	_ZN9rocsparseL19gebsrmvn_1xn_kernelILj128ELj12ELj4E21rocsparse_complex_numIdEEEvi20rocsparse_direction_NS_24const_host_device_scalarIT2_EEPKiS8_PKS5_SA_S6_PS5_21rocsparse_index_base_b,@function
_ZN9rocsparseL19gebsrmvn_1xn_kernelILj128ELj12ELj4E21rocsparse_complex_numIdEEEvi20rocsparse_direction_NS_24const_host_device_scalarIT2_EEPKiS8_PKS5_SA_S6_PS5_21rocsparse_index_base_b: ; @_ZN9rocsparseL19gebsrmvn_1xn_kernelILj128ELj12ELj4E21rocsparse_complex_numIdEEEvi20rocsparse_direction_NS_24const_host_device_scalarIT2_EEPKiS8_PKS5_SA_S6_PS5_21rocsparse_index_base_b
; %bb.0:
	s_clause 0x1
	s_load_dwordx2 s[8:9], s[4:5], 0x50
	s_load_dwordx2 s[0:1], s[4:5], 0x8
	s_add_u32 s7, s4, 8
	s_addc_u32 s10, s5, 0
	s_add_u32 s11, s4, 56
	s_addc_u32 s12, s5, 0
	s_load_dwordx2 s[2:3], s[4:5], 0x38
	s_waitcnt lgkmcnt(0)
	s_bitcmp1_b32 s9, 0
	s_cselect_b32 s0, s7, s0
	s_cselect_b32 s1, s10, s1
	v_mov_b32_e32 v1, s0
	v_mov_b32_e32 v2, s1
	s_cselect_b32 s0, s11, s2
	s_cselect_b32 s1, s12, s3
	flat_load_dwordx4 v[5:8], v[1:2]
	v_mov_b32_e32 v1, s0
	v_mov_b32_e32 v2, s1
	flat_load_dwordx4 v[1:4], v[1:2]
	s_waitcnt vmcnt(1) lgkmcnt(1)
	v_cmp_eq_f64_e32 vcc_lo, 0, v[5:6]
	v_cmp_eq_f64_e64 s0, 0, v[7:8]
	s_and_b32 s2, vcc_lo, s0
	s_mov_b32 s0, -1
	s_and_saveexec_b32 s1, s2
	s_cbranch_execz .LBB278_2
; %bb.1:
	s_waitcnt vmcnt(0) lgkmcnt(0)
	v_cmp_neq_f64_e32 vcc_lo, 1.0, v[1:2]
	v_cmp_neq_f64_e64 s0, 0, v[3:4]
	s_or_b32 s0, vcc_lo, s0
	s_orn2_b32 s0, s0, exec_lo
.LBB278_2:
	s_or_b32 exec_lo, exec_lo, s1
	s_and_saveexec_b32 s1, s0
	s_cbranch_execz .LBB278_13
; %bb.3:
	s_load_dword s0, s[4:5], 0x0
	v_lshrrev_b32_e32 v9, 2, v0
	v_lshl_or_b32 v9, s6, 5, v9
	s_waitcnt lgkmcnt(0)
	v_cmp_gt_i32_e32 vcc_lo, s0, v9
	s_and_b32 exec_lo, exec_lo, vcc_lo
	s_cbranch_execz .LBB278_13
; %bb.4:
	s_clause 0x1
	s_load_dwordx2 s[0:1], s[4:5], 0x18
	s_load_dwordx2 s[6:7], s[4:5], 0x48
	v_ashrrev_i32_e32 v10, 31, v9
	v_and_b32_e32 v0, 3, v0
	v_mov_b32_e32 v16, 0
	v_mov_b32_e32 v18, 0
	;; [unrolled: 1-line block ×3, first 2 shown]
	v_lshlrev_b64 v[11:12], 2, v[9:10]
	v_subrev_nc_u32_e32 v13, s8, v0
	v_mov_b32_e32 v19, 0
	s_mov_b32 s9, exec_lo
	s_waitcnt lgkmcnt(0)
	v_add_co_u32 v11, vcc_lo, s0, v11
	v_add_co_ci_u32_e64 v12, null, s1, v12, vcc_lo
	global_load_dwordx2 v[11:12], v[11:12], off
	s_waitcnt vmcnt(0)
	v_subrev_nc_u32_e32 v20, s8, v12
	v_add_nc_u32_e32 v11, v11, v13
	v_cmpx_lt_i32_e64 v11, v20
	s_cbranch_execz .LBB278_8
; %bb.5:
	s_clause 0x1
	s_load_dwordx4 s[0:3], s[4:5], 0x20
	s_load_dwordx2 s[4:5], s[4:5], 0x30
	v_mad_u64_u32 v[13:14], null, v11, 12, 11
	v_mov_b32_e32 v16, 0
	v_mov_b32_e32 v18, 0
	;; [unrolled: 1-line block ×5, first 2 shown]
	s_mov_b32 s10, 0
.LBB278_6:                              ; =>This Inner Loop Header: Depth=1
	v_ashrrev_i32_e32 v12, 31, v11
	v_add_nc_u32_e32 v14, -11, v13
	v_mov_b32_e32 v62, v15
	v_lshlrev_b64 v[21:22], 2, v[11:12]
	v_add_nc_u32_e32 v11, 4, v11
	s_waitcnt lgkmcnt(0)
	v_add_co_u32 v21, vcc_lo, s0, v21
	v_add_co_ci_u32_e64 v22, null, s1, v22, vcc_lo
	global_load_dword v12, v[21:22], off
	v_lshlrev_b64 v[21:22], 4, v[14:15]
	v_add_nc_u32_e32 v14, -7, v13
	v_lshlrev_b64 v[23:24], 4, v[14:15]
	v_add_co_u32 v33, vcc_lo, s2, v21
	v_add_co_ci_u32_e64 v34, null, s3, v22, vcc_lo
	v_add_co_u32 v37, vcc_lo, s2, v23
	v_add_co_ci_u32_e64 v38, null, s3, v24, vcc_lo
	s_clause 0x4
	global_load_dwordx4 v[21:24], v[33:34], off offset:48
	global_load_dwordx4 v[25:28], v[33:34], off offset:32
	;; [unrolled: 1-line block ×3, first 2 shown]
	global_load_dwordx4 v[33:36], v[33:34], off
	global_load_dwordx4 v[37:40], v[37:38], off
	s_waitcnt vmcnt(5)
	v_subrev_nc_u32_e32 v12, s8, v12
	v_mul_lo_u32 v61, v12, 12
	v_lshlrev_b64 v[41:42], 4, v[61:62]
	v_add_nc_u32_e32 v14, 4, v61
	v_lshlrev_b64 v[57:58], 4, v[14:15]
	v_add_co_u32 v53, vcc_lo, s4, v41
	v_add_co_ci_u32_e64 v54, null, s5, v42, vcc_lo
	v_add_nc_u32_e32 v14, -6, v13
	v_add_co_u32 v64, vcc_lo, s4, v57
	s_clause 0x3
	global_load_dwordx4 v[41:44], v[53:54], off
	global_load_dwordx4 v[45:48], v[53:54], off offset:16
	global_load_dwordx4 v[49:52], v[53:54], off offset:32
	;; [unrolled: 1-line block ×3, first 2 shown]
	v_add_co_ci_u32_e64 v65, null, s5, v58, vcc_lo
	v_lshlrev_b64 v[62:63], 4, v[14:15]
	v_add_nc_u32_e32 v14, -5, v13
	global_load_dwordx4 v[57:60], v[64:65], off
	v_add_co_u32 v62, vcc_lo, s2, v62
	v_add_co_ci_u32_e64 v63, null, s3, v63, vcc_lo
	s_waitcnt vmcnt(4)
	v_fma_f64 v[18:19], v[33:34], v[41:42], v[18:19]
	v_fma_f64 v[16:17], v[35:36], v[41:42], v[16:17]
	v_fma_f64 v[41:42], -v[35:36], v[43:44], v[18:19]
	v_fma_f64 v[43:44], v[33:34], v[43:44], v[16:17]
	global_load_dwordx4 v[16:19], v[64:65], off offset:16
	global_load_dwordx4 v[33:36], v[62:63], off
	v_lshlrev_b64 v[62:63], 4, v[14:15]
	v_add_nc_u32_e32 v14, -4, v13
	v_add_co_u32 v62, vcc_lo, s2, v62
	v_add_co_ci_u32_e64 v63, null, s3, v63, vcc_lo
	s_waitcnt vmcnt(5)
	v_fma_f64 v[41:42], v[29:30], v[45:46], v[41:42]
	v_fma_f64 v[43:44], v[31:32], v[45:46], v[43:44]
	v_lshlrev_b64 v[45:46], 4, v[14:15]
	v_add_nc_u32_e32 v14, -3, v13
	v_fma_f64 v[66:67], -v[31:32], v[47:48], v[41:42]
	v_fma_f64 v[68:69], v[29:30], v[47:48], v[43:44]
	global_load_dwordx4 v[29:32], v[64:65], off offset:32
	global_load_dwordx4 v[41:44], v[62:63], off
	v_add_co_u32 v62, vcc_lo, s2, v45
	v_add_co_ci_u32_e64 v63, null, s3, v46, vcc_lo
	global_load_dwordx4 v[45:48], v[64:65], off offset:48
	s_waitcnt vmcnt(7)
	v_fma_f64 v[64:65], v[25:26], v[49:50], v[66:67]
	v_fma_f64 v[49:50], v[27:28], v[49:50], v[68:69]
	v_fma_f64 v[64:65], -v[27:28], v[51:52], v[64:65]
	v_fma_f64 v[66:67], v[25:26], v[51:52], v[49:50]
	global_load_dwordx4 v[25:28], v[62:63], off
	v_lshlrev_b64 v[49:50], 4, v[14:15]
	v_add_nc_u32_e32 v14, 8, v61
	v_lshlrev_b64 v[51:52], 4, v[14:15]
	v_add_co_u32 v49, vcc_lo, s2, v49
	v_add_co_ci_u32_e64 v50, null, s3, v50, vcc_lo
	v_add_nc_u32_e32 v14, -2, v13
	v_add_co_u32 v61, vcc_lo, s4, v51
	v_add_co_ci_u32_e64 v62, null, s5, v52, vcc_lo
	global_load_dwordx4 v[49:52], v[49:50], off
	s_waitcnt vmcnt(8)
	v_fma_f64 v[63:64], v[21:22], v[53:54], v[64:65]
	v_fma_f64 v[53:54], v[23:24], v[53:54], v[66:67]
	v_fma_f64 v[63:64], -v[23:24], v[55:56], v[63:64]
	v_fma_f64 v[65:66], v[21:22], v[55:56], v[53:54]
	global_load_dwordx4 v[21:24], v[61:62], off
	v_lshlrev_b64 v[53:54], 4, v[14:15]
	v_add_nc_u32_e32 v14, -1, v13
	v_add_co_u32 v67, vcc_lo, s2, v53
	v_add_co_ci_u32_e64 v68, null, s3, v54, vcc_lo
	global_load_dwordx4 v[53:56], v[61:62], off offset:16
	s_waitcnt vmcnt(9)
	v_fma_f64 v[63:64], v[37:38], v[57:58], v[63:64]
	v_fma_f64 v[57:58], v[39:40], v[57:58], v[65:66]
	v_fma_f64 v[63:64], -v[39:40], v[59:60], v[63:64]
	v_fma_f64 v[65:66], v[37:38], v[59:60], v[57:58]
	global_load_dwordx4 v[37:40], v[67:68], off
	v_lshlrev_b64 v[57:58], 4, v[14:15]
	v_mov_b32_e32 v14, v15
	v_add_co_u32 v67, vcc_lo, s2, v57
	v_add_co_ci_u32_e64 v68, null, s3, v58, vcc_lo
	global_load_dwordx4 v[57:60], v[61:62], off offset:32
	s_waitcnt vmcnt(9)
	v_fma_f64 v[63:64], v[33:34], v[16:17], v[63:64]
	v_fma_f64 v[16:17], v[35:36], v[16:17], v[65:66]
	v_fma_f64 v[65:66], -v[35:36], v[18:19], v[63:64]
	v_fma_f64 v[69:70], v[33:34], v[18:19], v[16:17]
	global_load_dwordx4 v[16:19], v[67:68], off
	v_lshlrev_b64 v[33:34], 4, v[13:14]
	v_add_nc_u32_e32 v13, 48, v13
	v_add_co_u32 v33, vcc_lo, s2, v33
	v_add_co_ci_u32_e64 v34, null, s3, v34, vcc_lo
	global_load_dwordx4 v[33:36], v[33:34], off
	global_load_dwordx4 v[61:64], v[61:62], off offset:48
	v_cmp_ge_i32_e32 vcc_lo, v11, v20
	s_or_b32 s10, vcc_lo, s10
	s_waitcnt vmcnt(10)
	v_fma_f64 v[65:66], v[41:42], v[29:30], v[65:66]
	v_fma_f64 v[29:30], v[43:44], v[29:30], v[69:70]
	v_fma_f64 v[43:44], -v[43:44], v[31:32], v[65:66]
	v_fma_f64 v[29:30], v[41:42], v[31:32], v[29:30]
	s_waitcnt vmcnt(8)
	v_fma_f64 v[31:32], v[25:26], v[45:46], v[43:44]
	v_fma_f64 v[29:30], v[27:28], v[45:46], v[29:30]
	v_fma_f64 v[27:28], -v[27:28], v[47:48], v[31:32]
	v_fma_f64 v[25:26], v[25:26], v[47:48], v[29:30]
	;; [unrolled: 5-line block ×6, first 2 shown]
	s_andn2_b32 exec_lo, exec_lo, s10
	s_cbranch_execnz .LBB278_6
; %bb.7:
	s_or_b32 exec_lo, exec_lo, s10
.LBB278_8:
	s_or_b32 exec_lo, exec_lo, s9
	v_mbcnt_lo_u32_b32 v15, -1, 0
	v_xor_b32_e32 v11, 2, v15
	v_cmp_gt_i32_e32 vcc_lo, 32, v11
	v_cndmask_b32_e32 v11, v15, v11, vcc_lo
	v_lshlrev_b32_e32 v14, 2, v11
	ds_bpermute_b32 v11, v14, v18
	ds_bpermute_b32 v12, v14, v19
	;; [unrolled: 1-line block ×4, first 2 shown]
	s_waitcnt lgkmcnt(2)
	v_add_f64 v[11:12], v[18:19], v[11:12]
	s_waitcnt lgkmcnt(0)
	v_add_f64 v[13:14], v[16:17], v[13:14]
	v_xor_b32_e32 v16, 1, v15
	v_cmp_gt_i32_e32 vcc_lo, 32, v16
	v_cndmask_b32_e32 v15, v15, v16, vcc_lo
	v_cmp_eq_u32_e32 vcc_lo, 3, v0
	v_lshlrev_b32_e32 v18, 2, v15
	ds_bpermute_b32 v15, v18, v11
	ds_bpermute_b32 v16, v18, v12
	;; [unrolled: 1-line block ×4, first 2 shown]
	s_and_b32 exec_lo, exec_lo, vcc_lo
	s_cbranch_execz .LBB278_13
; %bb.9:
	s_waitcnt lgkmcnt(0)
	v_add_f64 v[13:14], v[13:14], v[17:18]
	v_add_f64 v[11:12], v[11:12], v[15:16]
	v_cmp_eq_f64_e32 vcc_lo, 0, v[1:2]
	v_cmp_eq_f64_e64 s0, 0, v[3:4]
	v_lshlrev_b64 v[9:10], 4, v[9:10]
	v_mul_f64 v[15:16], v[13:14], -v[7:8]
	v_mul_f64 v[13:14], v[5:6], v[13:14]
	s_and_b32 s0, vcc_lo, s0
	v_fma_f64 v[5:6], v[5:6], v[11:12], v[15:16]
	v_fma_f64 v[7:8], v[7:8], v[11:12], v[13:14]
	s_and_saveexec_b32 s1, s0
	s_xor_b32 s0, exec_lo, s1
	s_cbranch_execz .LBB278_11
; %bb.10:
	v_add_co_u32 v0, vcc_lo, s6, v9
	v_add_co_ci_u32_e64 v1, null, s7, v10, vcc_lo
                                        ; implicit-def: $vgpr9_vgpr10
	global_store_dwordx4 v[0:1], v[5:8], off
                                        ; implicit-def: $vgpr1_vgpr2
                                        ; implicit-def: $vgpr5_vgpr6
.LBB278_11:
	s_andn2_saveexec_b32 s0, s0
	s_cbranch_execz .LBB278_13
; %bb.12:
	v_add_co_u32 v13, vcc_lo, s6, v9
	v_add_co_ci_u32_e64 v14, null, s7, v10, vcc_lo
	global_load_dwordx4 v[9:12], v[13:14], off
	s_waitcnt vmcnt(0)
	v_fma_f64 v[5:6], v[1:2], v[9:10], v[5:6]
	v_fma_f64 v[7:8], v[3:4], v[9:10], v[7:8]
	v_fma_f64 v[3:4], -v[3:4], v[11:12], v[5:6]
	v_fma_f64 v[5:6], v[1:2], v[11:12], v[7:8]
	global_store_dwordx4 v[13:14], v[3:6], off
.LBB278_13:
	s_endpgm
	.section	.rodata,"a",@progbits
	.p2align	6, 0x0
	.amdhsa_kernel _ZN9rocsparseL19gebsrmvn_1xn_kernelILj128ELj12ELj4E21rocsparse_complex_numIdEEEvi20rocsparse_direction_NS_24const_host_device_scalarIT2_EEPKiS8_PKS5_SA_S6_PS5_21rocsparse_index_base_b
		.amdhsa_group_segment_fixed_size 0
		.amdhsa_private_segment_fixed_size 0
		.amdhsa_kernarg_size 88
		.amdhsa_user_sgpr_count 6
		.amdhsa_user_sgpr_private_segment_buffer 1
		.amdhsa_user_sgpr_dispatch_ptr 0
		.amdhsa_user_sgpr_queue_ptr 0
		.amdhsa_user_sgpr_kernarg_segment_ptr 1
		.amdhsa_user_sgpr_dispatch_id 0
		.amdhsa_user_sgpr_flat_scratch_init 0
		.amdhsa_user_sgpr_private_segment_size 0
		.amdhsa_wavefront_size32 1
		.amdhsa_uses_dynamic_stack 0
		.amdhsa_system_sgpr_private_segment_wavefront_offset 0
		.amdhsa_system_sgpr_workgroup_id_x 1
		.amdhsa_system_sgpr_workgroup_id_y 0
		.amdhsa_system_sgpr_workgroup_id_z 0
		.amdhsa_system_sgpr_workgroup_info 0
		.amdhsa_system_vgpr_workitem_id 0
		.amdhsa_next_free_vgpr 71
		.amdhsa_next_free_sgpr 13
		.amdhsa_reserve_vcc 1
		.amdhsa_reserve_flat_scratch 0
		.amdhsa_float_round_mode_32 0
		.amdhsa_float_round_mode_16_64 0
		.amdhsa_float_denorm_mode_32 3
		.amdhsa_float_denorm_mode_16_64 3
		.amdhsa_dx10_clamp 1
		.amdhsa_ieee_mode 1
		.amdhsa_fp16_overflow 0
		.amdhsa_workgroup_processor_mode 1
		.amdhsa_memory_ordered 1
		.amdhsa_forward_progress 1
		.amdhsa_shared_vgpr_count 0
		.amdhsa_exception_fp_ieee_invalid_op 0
		.amdhsa_exception_fp_denorm_src 0
		.amdhsa_exception_fp_ieee_div_zero 0
		.amdhsa_exception_fp_ieee_overflow 0
		.amdhsa_exception_fp_ieee_underflow 0
		.amdhsa_exception_fp_ieee_inexact 0
		.amdhsa_exception_int_div_zero 0
	.end_amdhsa_kernel
	.section	.text._ZN9rocsparseL19gebsrmvn_1xn_kernelILj128ELj12ELj4E21rocsparse_complex_numIdEEEvi20rocsparse_direction_NS_24const_host_device_scalarIT2_EEPKiS8_PKS5_SA_S6_PS5_21rocsparse_index_base_b,"axG",@progbits,_ZN9rocsparseL19gebsrmvn_1xn_kernelILj128ELj12ELj4E21rocsparse_complex_numIdEEEvi20rocsparse_direction_NS_24const_host_device_scalarIT2_EEPKiS8_PKS5_SA_S6_PS5_21rocsparse_index_base_b,comdat
.Lfunc_end278:
	.size	_ZN9rocsparseL19gebsrmvn_1xn_kernelILj128ELj12ELj4E21rocsparse_complex_numIdEEEvi20rocsparse_direction_NS_24const_host_device_scalarIT2_EEPKiS8_PKS5_SA_S6_PS5_21rocsparse_index_base_b, .Lfunc_end278-_ZN9rocsparseL19gebsrmvn_1xn_kernelILj128ELj12ELj4E21rocsparse_complex_numIdEEEvi20rocsparse_direction_NS_24const_host_device_scalarIT2_EEPKiS8_PKS5_SA_S6_PS5_21rocsparse_index_base_b
                                        ; -- End function
	.set _ZN9rocsparseL19gebsrmvn_1xn_kernelILj128ELj12ELj4E21rocsparse_complex_numIdEEEvi20rocsparse_direction_NS_24const_host_device_scalarIT2_EEPKiS8_PKS5_SA_S6_PS5_21rocsparse_index_base_b.num_vgpr, 71
	.set _ZN9rocsparseL19gebsrmvn_1xn_kernelILj128ELj12ELj4E21rocsparse_complex_numIdEEEvi20rocsparse_direction_NS_24const_host_device_scalarIT2_EEPKiS8_PKS5_SA_S6_PS5_21rocsparse_index_base_b.num_agpr, 0
	.set _ZN9rocsparseL19gebsrmvn_1xn_kernelILj128ELj12ELj4E21rocsparse_complex_numIdEEEvi20rocsparse_direction_NS_24const_host_device_scalarIT2_EEPKiS8_PKS5_SA_S6_PS5_21rocsparse_index_base_b.numbered_sgpr, 13
	.set _ZN9rocsparseL19gebsrmvn_1xn_kernelILj128ELj12ELj4E21rocsparse_complex_numIdEEEvi20rocsparse_direction_NS_24const_host_device_scalarIT2_EEPKiS8_PKS5_SA_S6_PS5_21rocsparse_index_base_b.num_named_barrier, 0
	.set _ZN9rocsparseL19gebsrmvn_1xn_kernelILj128ELj12ELj4E21rocsparse_complex_numIdEEEvi20rocsparse_direction_NS_24const_host_device_scalarIT2_EEPKiS8_PKS5_SA_S6_PS5_21rocsparse_index_base_b.private_seg_size, 0
	.set _ZN9rocsparseL19gebsrmvn_1xn_kernelILj128ELj12ELj4E21rocsparse_complex_numIdEEEvi20rocsparse_direction_NS_24const_host_device_scalarIT2_EEPKiS8_PKS5_SA_S6_PS5_21rocsparse_index_base_b.uses_vcc, 1
	.set _ZN9rocsparseL19gebsrmvn_1xn_kernelILj128ELj12ELj4E21rocsparse_complex_numIdEEEvi20rocsparse_direction_NS_24const_host_device_scalarIT2_EEPKiS8_PKS5_SA_S6_PS5_21rocsparse_index_base_b.uses_flat_scratch, 0
	.set _ZN9rocsparseL19gebsrmvn_1xn_kernelILj128ELj12ELj4E21rocsparse_complex_numIdEEEvi20rocsparse_direction_NS_24const_host_device_scalarIT2_EEPKiS8_PKS5_SA_S6_PS5_21rocsparse_index_base_b.has_dyn_sized_stack, 0
	.set _ZN9rocsparseL19gebsrmvn_1xn_kernelILj128ELj12ELj4E21rocsparse_complex_numIdEEEvi20rocsparse_direction_NS_24const_host_device_scalarIT2_EEPKiS8_PKS5_SA_S6_PS5_21rocsparse_index_base_b.has_recursion, 0
	.set _ZN9rocsparseL19gebsrmvn_1xn_kernelILj128ELj12ELj4E21rocsparse_complex_numIdEEEvi20rocsparse_direction_NS_24const_host_device_scalarIT2_EEPKiS8_PKS5_SA_S6_PS5_21rocsparse_index_base_b.has_indirect_call, 0
	.section	.AMDGPU.csdata,"",@progbits
; Kernel info:
; codeLenInByte = 1756
; TotalNumSgprs: 15
; NumVgprs: 71
; ScratchSize: 0
; MemoryBound: 1
; FloatMode: 240
; IeeeMode: 1
; LDSByteSize: 0 bytes/workgroup (compile time only)
; SGPRBlocks: 0
; VGPRBlocks: 8
; NumSGPRsForWavesPerEU: 15
; NumVGPRsForWavesPerEU: 71
; Occupancy: 12
; WaveLimiterHint : 1
; COMPUTE_PGM_RSRC2:SCRATCH_EN: 0
; COMPUTE_PGM_RSRC2:USER_SGPR: 6
; COMPUTE_PGM_RSRC2:TRAP_HANDLER: 0
; COMPUTE_PGM_RSRC2:TGID_X_EN: 1
; COMPUTE_PGM_RSRC2:TGID_Y_EN: 0
; COMPUTE_PGM_RSRC2:TGID_Z_EN: 0
; COMPUTE_PGM_RSRC2:TIDIG_COMP_CNT: 0
	.section	.text._ZN9rocsparseL19gebsrmvn_1xn_kernelILj128ELj12ELj8E21rocsparse_complex_numIdEEEvi20rocsparse_direction_NS_24const_host_device_scalarIT2_EEPKiS8_PKS5_SA_S6_PS5_21rocsparse_index_base_b,"axG",@progbits,_ZN9rocsparseL19gebsrmvn_1xn_kernelILj128ELj12ELj8E21rocsparse_complex_numIdEEEvi20rocsparse_direction_NS_24const_host_device_scalarIT2_EEPKiS8_PKS5_SA_S6_PS5_21rocsparse_index_base_b,comdat
	.globl	_ZN9rocsparseL19gebsrmvn_1xn_kernelILj128ELj12ELj8E21rocsparse_complex_numIdEEEvi20rocsparse_direction_NS_24const_host_device_scalarIT2_EEPKiS8_PKS5_SA_S6_PS5_21rocsparse_index_base_b ; -- Begin function _ZN9rocsparseL19gebsrmvn_1xn_kernelILj128ELj12ELj8E21rocsparse_complex_numIdEEEvi20rocsparse_direction_NS_24const_host_device_scalarIT2_EEPKiS8_PKS5_SA_S6_PS5_21rocsparse_index_base_b
	.p2align	8
	.type	_ZN9rocsparseL19gebsrmvn_1xn_kernelILj128ELj12ELj8E21rocsparse_complex_numIdEEEvi20rocsparse_direction_NS_24const_host_device_scalarIT2_EEPKiS8_PKS5_SA_S6_PS5_21rocsparse_index_base_b,@function
_ZN9rocsparseL19gebsrmvn_1xn_kernelILj128ELj12ELj8E21rocsparse_complex_numIdEEEvi20rocsparse_direction_NS_24const_host_device_scalarIT2_EEPKiS8_PKS5_SA_S6_PS5_21rocsparse_index_base_b: ; @_ZN9rocsparseL19gebsrmvn_1xn_kernelILj128ELj12ELj8E21rocsparse_complex_numIdEEEvi20rocsparse_direction_NS_24const_host_device_scalarIT2_EEPKiS8_PKS5_SA_S6_PS5_21rocsparse_index_base_b
; %bb.0:
	s_clause 0x1
	s_load_dwordx2 s[8:9], s[4:5], 0x50
	s_load_dwordx2 s[0:1], s[4:5], 0x8
	s_add_u32 s7, s4, 8
	s_addc_u32 s10, s5, 0
	s_add_u32 s11, s4, 56
	s_addc_u32 s12, s5, 0
	s_load_dwordx2 s[2:3], s[4:5], 0x38
	s_waitcnt lgkmcnt(0)
	s_bitcmp1_b32 s9, 0
	s_cselect_b32 s0, s7, s0
	s_cselect_b32 s1, s10, s1
	v_mov_b32_e32 v1, s0
	v_mov_b32_e32 v2, s1
	s_cselect_b32 s0, s11, s2
	s_cselect_b32 s1, s12, s3
	flat_load_dwordx4 v[5:8], v[1:2]
	v_mov_b32_e32 v1, s0
	v_mov_b32_e32 v2, s1
	flat_load_dwordx4 v[1:4], v[1:2]
	s_waitcnt vmcnt(1) lgkmcnt(1)
	v_cmp_eq_f64_e32 vcc_lo, 0, v[5:6]
	v_cmp_eq_f64_e64 s0, 0, v[7:8]
	s_and_b32 s2, vcc_lo, s0
	s_mov_b32 s0, -1
	s_and_saveexec_b32 s1, s2
	s_cbranch_execz .LBB279_2
; %bb.1:
	s_waitcnt vmcnt(0) lgkmcnt(0)
	v_cmp_neq_f64_e32 vcc_lo, 1.0, v[1:2]
	v_cmp_neq_f64_e64 s0, 0, v[3:4]
	s_or_b32 s0, vcc_lo, s0
	s_orn2_b32 s0, s0, exec_lo
.LBB279_2:
	s_or_b32 exec_lo, exec_lo, s1
	s_and_saveexec_b32 s1, s0
	s_cbranch_execz .LBB279_13
; %bb.3:
	s_load_dword s0, s[4:5], 0x0
	v_lshrrev_b32_e32 v9, 3, v0
	v_lshl_or_b32 v9, s6, 4, v9
	s_waitcnt lgkmcnt(0)
	v_cmp_gt_i32_e32 vcc_lo, s0, v9
	s_and_b32 exec_lo, exec_lo, vcc_lo
	s_cbranch_execz .LBB279_13
; %bb.4:
	s_clause 0x1
	s_load_dwordx2 s[0:1], s[4:5], 0x18
	s_load_dwordx2 s[6:7], s[4:5], 0x48
	v_ashrrev_i32_e32 v10, 31, v9
	v_and_b32_e32 v0, 7, v0
	v_mov_b32_e32 v16, 0
	v_mov_b32_e32 v18, 0
	;; [unrolled: 1-line block ×3, first 2 shown]
	v_lshlrev_b64 v[11:12], 2, v[9:10]
	v_subrev_nc_u32_e32 v13, s8, v0
	v_mov_b32_e32 v19, 0
	s_mov_b32 s9, exec_lo
	s_waitcnt lgkmcnt(0)
	v_add_co_u32 v11, vcc_lo, s0, v11
	v_add_co_ci_u32_e64 v12, null, s1, v12, vcc_lo
	global_load_dwordx2 v[11:12], v[11:12], off
	s_waitcnt vmcnt(0)
	v_subrev_nc_u32_e32 v20, s8, v12
	v_add_nc_u32_e32 v11, v11, v13
	v_cmpx_lt_i32_e64 v11, v20
	s_cbranch_execz .LBB279_8
; %bb.5:
	s_clause 0x1
	s_load_dwordx4 s[0:3], s[4:5], 0x20
	s_load_dwordx2 s[4:5], s[4:5], 0x30
	v_mad_u64_u32 v[13:14], null, v11, 12, 11
	v_mov_b32_e32 v16, 0
	v_mov_b32_e32 v18, 0
	;; [unrolled: 1-line block ×5, first 2 shown]
	s_mov_b32 s10, 0
.LBB279_6:                              ; =>This Inner Loop Header: Depth=1
	v_ashrrev_i32_e32 v12, 31, v11
	v_add_nc_u32_e32 v14, -11, v13
	v_mov_b32_e32 v62, v15
	v_lshlrev_b64 v[21:22], 2, v[11:12]
	v_add_nc_u32_e32 v11, 8, v11
	s_waitcnt lgkmcnt(0)
	v_add_co_u32 v21, vcc_lo, s0, v21
	v_add_co_ci_u32_e64 v22, null, s1, v22, vcc_lo
	global_load_dword v12, v[21:22], off
	v_lshlrev_b64 v[21:22], 4, v[14:15]
	v_add_nc_u32_e32 v14, -7, v13
	v_lshlrev_b64 v[23:24], 4, v[14:15]
	v_add_co_u32 v33, vcc_lo, s2, v21
	v_add_co_ci_u32_e64 v34, null, s3, v22, vcc_lo
	v_add_co_u32 v37, vcc_lo, s2, v23
	v_add_co_ci_u32_e64 v38, null, s3, v24, vcc_lo
	s_clause 0x4
	global_load_dwordx4 v[21:24], v[33:34], off offset:48
	global_load_dwordx4 v[25:28], v[33:34], off offset:32
	;; [unrolled: 1-line block ×3, first 2 shown]
	global_load_dwordx4 v[33:36], v[33:34], off
	global_load_dwordx4 v[37:40], v[37:38], off
	s_waitcnt vmcnt(5)
	v_subrev_nc_u32_e32 v12, s8, v12
	v_mul_lo_u32 v61, v12, 12
	v_lshlrev_b64 v[41:42], 4, v[61:62]
	v_add_nc_u32_e32 v14, 4, v61
	v_lshlrev_b64 v[57:58], 4, v[14:15]
	v_add_co_u32 v53, vcc_lo, s4, v41
	v_add_co_ci_u32_e64 v54, null, s5, v42, vcc_lo
	v_add_nc_u32_e32 v14, -6, v13
	v_add_co_u32 v64, vcc_lo, s4, v57
	s_clause 0x3
	global_load_dwordx4 v[41:44], v[53:54], off
	global_load_dwordx4 v[45:48], v[53:54], off offset:16
	global_load_dwordx4 v[49:52], v[53:54], off offset:32
	global_load_dwordx4 v[53:56], v[53:54], off offset:48
	v_add_co_ci_u32_e64 v65, null, s5, v58, vcc_lo
	v_lshlrev_b64 v[62:63], 4, v[14:15]
	v_add_nc_u32_e32 v14, -5, v13
	global_load_dwordx4 v[57:60], v[64:65], off
	v_add_co_u32 v62, vcc_lo, s2, v62
	v_add_co_ci_u32_e64 v63, null, s3, v63, vcc_lo
	s_waitcnt vmcnt(4)
	v_fma_f64 v[18:19], v[33:34], v[41:42], v[18:19]
	v_fma_f64 v[16:17], v[35:36], v[41:42], v[16:17]
	v_fma_f64 v[41:42], -v[35:36], v[43:44], v[18:19]
	v_fma_f64 v[43:44], v[33:34], v[43:44], v[16:17]
	global_load_dwordx4 v[16:19], v[64:65], off offset:16
	global_load_dwordx4 v[33:36], v[62:63], off
	v_lshlrev_b64 v[62:63], 4, v[14:15]
	v_add_nc_u32_e32 v14, -4, v13
	v_add_co_u32 v62, vcc_lo, s2, v62
	v_add_co_ci_u32_e64 v63, null, s3, v63, vcc_lo
	s_waitcnt vmcnt(5)
	v_fma_f64 v[41:42], v[29:30], v[45:46], v[41:42]
	v_fma_f64 v[43:44], v[31:32], v[45:46], v[43:44]
	v_lshlrev_b64 v[45:46], 4, v[14:15]
	v_add_nc_u32_e32 v14, -3, v13
	v_fma_f64 v[66:67], -v[31:32], v[47:48], v[41:42]
	v_fma_f64 v[68:69], v[29:30], v[47:48], v[43:44]
	global_load_dwordx4 v[29:32], v[64:65], off offset:32
	global_load_dwordx4 v[41:44], v[62:63], off
	v_add_co_u32 v62, vcc_lo, s2, v45
	v_add_co_ci_u32_e64 v63, null, s3, v46, vcc_lo
	global_load_dwordx4 v[45:48], v[64:65], off offset:48
	s_waitcnt vmcnt(7)
	v_fma_f64 v[64:65], v[25:26], v[49:50], v[66:67]
	v_fma_f64 v[49:50], v[27:28], v[49:50], v[68:69]
	v_fma_f64 v[64:65], -v[27:28], v[51:52], v[64:65]
	v_fma_f64 v[66:67], v[25:26], v[51:52], v[49:50]
	global_load_dwordx4 v[25:28], v[62:63], off
	v_lshlrev_b64 v[49:50], 4, v[14:15]
	v_add_nc_u32_e32 v14, 8, v61
	v_lshlrev_b64 v[51:52], 4, v[14:15]
	v_add_co_u32 v49, vcc_lo, s2, v49
	v_add_co_ci_u32_e64 v50, null, s3, v50, vcc_lo
	v_add_nc_u32_e32 v14, -2, v13
	v_add_co_u32 v61, vcc_lo, s4, v51
	v_add_co_ci_u32_e64 v62, null, s5, v52, vcc_lo
	global_load_dwordx4 v[49:52], v[49:50], off
	s_waitcnt vmcnt(8)
	v_fma_f64 v[63:64], v[21:22], v[53:54], v[64:65]
	v_fma_f64 v[53:54], v[23:24], v[53:54], v[66:67]
	v_fma_f64 v[63:64], -v[23:24], v[55:56], v[63:64]
	v_fma_f64 v[65:66], v[21:22], v[55:56], v[53:54]
	global_load_dwordx4 v[21:24], v[61:62], off
	v_lshlrev_b64 v[53:54], 4, v[14:15]
	v_add_nc_u32_e32 v14, -1, v13
	v_add_co_u32 v67, vcc_lo, s2, v53
	v_add_co_ci_u32_e64 v68, null, s3, v54, vcc_lo
	global_load_dwordx4 v[53:56], v[61:62], off offset:16
	s_waitcnt vmcnt(9)
	v_fma_f64 v[63:64], v[37:38], v[57:58], v[63:64]
	v_fma_f64 v[57:58], v[39:40], v[57:58], v[65:66]
	v_fma_f64 v[63:64], -v[39:40], v[59:60], v[63:64]
	v_fma_f64 v[65:66], v[37:38], v[59:60], v[57:58]
	global_load_dwordx4 v[37:40], v[67:68], off
	v_lshlrev_b64 v[57:58], 4, v[14:15]
	v_mov_b32_e32 v14, v15
	v_add_co_u32 v67, vcc_lo, s2, v57
	v_add_co_ci_u32_e64 v68, null, s3, v58, vcc_lo
	global_load_dwordx4 v[57:60], v[61:62], off offset:32
	s_waitcnt vmcnt(9)
	v_fma_f64 v[63:64], v[33:34], v[16:17], v[63:64]
	v_fma_f64 v[16:17], v[35:36], v[16:17], v[65:66]
	v_fma_f64 v[65:66], -v[35:36], v[18:19], v[63:64]
	v_fma_f64 v[69:70], v[33:34], v[18:19], v[16:17]
	global_load_dwordx4 v[16:19], v[67:68], off
	v_lshlrev_b64 v[33:34], 4, v[13:14]
	v_add_nc_u32_e32 v13, 0x60, v13
	v_add_co_u32 v33, vcc_lo, s2, v33
	v_add_co_ci_u32_e64 v34, null, s3, v34, vcc_lo
	global_load_dwordx4 v[33:36], v[33:34], off
	global_load_dwordx4 v[61:64], v[61:62], off offset:48
	v_cmp_ge_i32_e32 vcc_lo, v11, v20
	s_or_b32 s10, vcc_lo, s10
	s_waitcnt vmcnt(10)
	v_fma_f64 v[65:66], v[41:42], v[29:30], v[65:66]
	v_fma_f64 v[29:30], v[43:44], v[29:30], v[69:70]
	v_fma_f64 v[43:44], -v[43:44], v[31:32], v[65:66]
	v_fma_f64 v[29:30], v[41:42], v[31:32], v[29:30]
	s_waitcnt vmcnt(8)
	v_fma_f64 v[31:32], v[25:26], v[45:46], v[43:44]
	v_fma_f64 v[29:30], v[27:28], v[45:46], v[29:30]
	v_fma_f64 v[27:28], -v[27:28], v[47:48], v[31:32]
	v_fma_f64 v[25:26], v[25:26], v[47:48], v[29:30]
	;; [unrolled: 5-line block ×6, first 2 shown]
	s_andn2_b32 exec_lo, exec_lo, s10
	s_cbranch_execnz .LBB279_6
; %bb.7:
	s_or_b32 exec_lo, exec_lo, s10
.LBB279_8:
	s_or_b32 exec_lo, exec_lo, s9
	v_mbcnt_lo_u32_b32 v20, -1, 0
	v_xor_b32_e32 v11, 4, v20
	v_xor_b32_e32 v15, 2, v20
	v_cmp_gt_i32_e32 vcc_lo, 32, v11
	v_cndmask_b32_e32 v11, v20, v11, vcc_lo
	v_cmp_gt_i32_e32 vcc_lo, 32, v15
	v_lshlrev_b32_e32 v14, 2, v11
	v_cndmask_b32_e32 v15, v20, v15, vcc_lo
	ds_bpermute_b32 v11, v14, v18
	ds_bpermute_b32 v12, v14, v19
	;; [unrolled: 1-line block ×4, first 2 shown]
	s_waitcnt lgkmcnt(2)
	v_add_f64 v[11:12], v[18:19], v[11:12]
	v_lshlrev_b32_e32 v18, 2, v15
	s_waitcnt lgkmcnt(0)
	v_add_f64 v[13:14], v[16:17], v[13:14]
	ds_bpermute_b32 v15, v18, v11
	ds_bpermute_b32 v16, v18, v12
	;; [unrolled: 1-line block ×4, first 2 shown]
	s_waitcnt lgkmcnt(2)
	v_add_f64 v[11:12], v[11:12], v[15:16]
	v_xor_b32_e32 v15, 1, v20
	s_waitcnt lgkmcnt(0)
	v_add_f64 v[13:14], v[13:14], v[17:18]
	v_cmp_gt_i32_e32 vcc_lo, 32, v15
	v_cndmask_b32_e32 v15, v20, v15, vcc_lo
	v_cmp_eq_u32_e32 vcc_lo, 7, v0
	v_lshlrev_b32_e32 v18, 2, v15
	ds_bpermute_b32 v15, v18, v11
	ds_bpermute_b32 v16, v18, v12
	;; [unrolled: 1-line block ×4, first 2 shown]
	s_and_b32 exec_lo, exec_lo, vcc_lo
	s_cbranch_execz .LBB279_13
; %bb.9:
	s_waitcnt lgkmcnt(0)
	v_add_f64 v[13:14], v[13:14], v[17:18]
	v_add_f64 v[11:12], v[11:12], v[15:16]
	v_cmp_eq_f64_e32 vcc_lo, 0, v[1:2]
	v_cmp_eq_f64_e64 s0, 0, v[3:4]
	v_lshlrev_b64 v[9:10], 4, v[9:10]
	v_mul_f64 v[15:16], v[13:14], -v[7:8]
	v_mul_f64 v[13:14], v[5:6], v[13:14]
	s_and_b32 s0, vcc_lo, s0
	v_fma_f64 v[5:6], v[5:6], v[11:12], v[15:16]
	v_fma_f64 v[7:8], v[7:8], v[11:12], v[13:14]
	s_and_saveexec_b32 s1, s0
	s_xor_b32 s0, exec_lo, s1
	s_cbranch_execz .LBB279_11
; %bb.10:
	v_add_co_u32 v0, vcc_lo, s6, v9
	v_add_co_ci_u32_e64 v1, null, s7, v10, vcc_lo
                                        ; implicit-def: $vgpr9_vgpr10
	global_store_dwordx4 v[0:1], v[5:8], off
                                        ; implicit-def: $vgpr1_vgpr2
                                        ; implicit-def: $vgpr5_vgpr6
.LBB279_11:
	s_andn2_saveexec_b32 s0, s0
	s_cbranch_execz .LBB279_13
; %bb.12:
	v_add_co_u32 v13, vcc_lo, s6, v9
	v_add_co_ci_u32_e64 v14, null, s7, v10, vcc_lo
	global_load_dwordx4 v[9:12], v[13:14], off
	s_waitcnt vmcnt(0)
	v_fma_f64 v[5:6], v[1:2], v[9:10], v[5:6]
	v_fma_f64 v[7:8], v[3:4], v[9:10], v[7:8]
	v_fma_f64 v[3:4], -v[3:4], v[11:12], v[5:6]
	v_fma_f64 v[5:6], v[1:2], v[11:12], v[7:8]
	global_store_dwordx4 v[13:14], v[3:6], off
.LBB279_13:
	s_endpgm
	.section	.rodata,"a",@progbits
	.p2align	6, 0x0
	.amdhsa_kernel _ZN9rocsparseL19gebsrmvn_1xn_kernelILj128ELj12ELj8E21rocsparse_complex_numIdEEEvi20rocsparse_direction_NS_24const_host_device_scalarIT2_EEPKiS8_PKS5_SA_S6_PS5_21rocsparse_index_base_b
		.amdhsa_group_segment_fixed_size 0
		.amdhsa_private_segment_fixed_size 0
		.amdhsa_kernarg_size 88
		.amdhsa_user_sgpr_count 6
		.amdhsa_user_sgpr_private_segment_buffer 1
		.amdhsa_user_sgpr_dispatch_ptr 0
		.amdhsa_user_sgpr_queue_ptr 0
		.amdhsa_user_sgpr_kernarg_segment_ptr 1
		.amdhsa_user_sgpr_dispatch_id 0
		.amdhsa_user_sgpr_flat_scratch_init 0
		.amdhsa_user_sgpr_private_segment_size 0
		.amdhsa_wavefront_size32 1
		.amdhsa_uses_dynamic_stack 0
		.amdhsa_system_sgpr_private_segment_wavefront_offset 0
		.amdhsa_system_sgpr_workgroup_id_x 1
		.amdhsa_system_sgpr_workgroup_id_y 0
		.amdhsa_system_sgpr_workgroup_id_z 0
		.amdhsa_system_sgpr_workgroup_info 0
		.amdhsa_system_vgpr_workitem_id 0
		.amdhsa_next_free_vgpr 71
		.amdhsa_next_free_sgpr 13
		.amdhsa_reserve_vcc 1
		.amdhsa_reserve_flat_scratch 0
		.amdhsa_float_round_mode_32 0
		.amdhsa_float_round_mode_16_64 0
		.amdhsa_float_denorm_mode_32 3
		.amdhsa_float_denorm_mode_16_64 3
		.amdhsa_dx10_clamp 1
		.amdhsa_ieee_mode 1
		.amdhsa_fp16_overflow 0
		.amdhsa_workgroup_processor_mode 1
		.amdhsa_memory_ordered 1
		.amdhsa_forward_progress 1
		.amdhsa_shared_vgpr_count 0
		.amdhsa_exception_fp_ieee_invalid_op 0
		.amdhsa_exception_fp_denorm_src 0
		.amdhsa_exception_fp_ieee_div_zero 0
		.amdhsa_exception_fp_ieee_overflow 0
		.amdhsa_exception_fp_ieee_underflow 0
		.amdhsa_exception_fp_ieee_inexact 0
		.amdhsa_exception_int_div_zero 0
	.end_amdhsa_kernel
	.section	.text._ZN9rocsparseL19gebsrmvn_1xn_kernelILj128ELj12ELj8E21rocsparse_complex_numIdEEEvi20rocsparse_direction_NS_24const_host_device_scalarIT2_EEPKiS8_PKS5_SA_S6_PS5_21rocsparse_index_base_b,"axG",@progbits,_ZN9rocsparseL19gebsrmvn_1xn_kernelILj128ELj12ELj8E21rocsparse_complex_numIdEEEvi20rocsparse_direction_NS_24const_host_device_scalarIT2_EEPKiS8_PKS5_SA_S6_PS5_21rocsparse_index_base_b,comdat
.Lfunc_end279:
	.size	_ZN9rocsparseL19gebsrmvn_1xn_kernelILj128ELj12ELj8E21rocsparse_complex_numIdEEEvi20rocsparse_direction_NS_24const_host_device_scalarIT2_EEPKiS8_PKS5_SA_S6_PS5_21rocsparse_index_base_b, .Lfunc_end279-_ZN9rocsparseL19gebsrmvn_1xn_kernelILj128ELj12ELj8E21rocsparse_complex_numIdEEEvi20rocsparse_direction_NS_24const_host_device_scalarIT2_EEPKiS8_PKS5_SA_S6_PS5_21rocsparse_index_base_b
                                        ; -- End function
	.set _ZN9rocsparseL19gebsrmvn_1xn_kernelILj128ELj12ELj8E21rocsparse_complex_numIdEEEvi20rocsparse_direction_NS_24const_host_device_scalarIT2_EEPKiS8_PKS5_SA_S6_PS5_21rocsparse_index_base_b.num_vgpr, 71
	.set _ZN9rocsparseL19gebsrmvn_1xn_kernelILj128ELj12ELj8E21rocsparse_complex_numIdEEEvi20rocsparse_direction_NS_24const_host_device_scalarIT2_EEPKiS8_PKS5_SA_S6_PS5_21rocsparse_index_base_b.num_agpr, 0
	.set _ZN9rocsparseL19gebsrmvn_1xn_kernelILj128ELj12ELj8E21rocsparse_complex_numIdEEEvi20rocsparse_direction_NS_24const_host_device_scalarIT2_EEPKiS8_PKS5_SA_S6_PS5_21rocsparse_index_base_b.numbered_sgpr, 13
	.set _ZN9rocsparseL19gebsrmvn_1xn_kernelILj128ELj12ELj8E21rocsparse_complex_numIdEEEvi20rocsparse_direction_NS_24const_host_device_scalarIT2_EEPKiS8_PKS5_SA_S6_PS5_21rocsparse_index_base_b.num_named_barrier, 0
	.set _ZN9rocsparseL19gebsrmvn_1xn_kernelILj128ELj12ELj8E21rocsparse_complex_numIdEEEvi20rocsparse_direction_NS_24const_host_device_scalarIT2_EEPKiS8_PKS5_SA_S6_PS5_21rocsparse_index_base_b.private_seg_size, 0
	.set _ZN9rocsparseL19gebsrmvn_1xn_kernelILj128ELj12ELj8E21rocsparse_complex_numIdEEEvi20rocsparse_direction_NS_24const_host_device_scalarIT2_EEPKiS8_PKS5_SA_S6_PS5_21rocsparse_index_base_b.uses_vcc, 1
	.set _ZN9rocsparseL19gebsrmvn_1xn_kernelILj128ELj12ELj8E21rocsparse_complex_numIdEEEvi20rocsparse_direction_NS_24const_host_device_scalarIT2_EEPKiS8_PKS5_SA_S6_PS5_21rocsparse_index_base_b.uses_flat_scratch, 0
	.set _ZN9rocsparseL19gebsrmvn_1xn_kernelILj128ELj12ELj8E21rocsparse_complex_numIdEEEvi20rocsparse_direction_NS_24const_host_device_scalarIT2_EEPKiS8_PKS5_SA_S6_PS5_21rocsparse_index_base_b.has_dyn_sized_stack, 0
	.set _ZN9rocsparseL19gebsrmvn_1xn_kernelILj128ELj12ELj8E21rocsparse_complex_numIdEEEvi20rocsparse_direction_NS_24const_host_device_scalarIT2_EEPKiS8_PKS5_SA_S6_PS5_21rocsparse_index_base_b.has_recursion, 0
	.set _ZN9rocsparseL19gebsrmvn_1xn_kernelILj128ELj12ELj8E21rocsparse_complex_numIdEEEvi20rocsparse_direction_NS_24const_host_device_scalarIT2_EEPKiS8_PKS5_SA_S6_PS5_21rocsparse_index_base_b.has_indirect_call, 0
	.section	.AMDGPU.csdata,"",@progbits
; Kernel info:
; codeLenInByte = 1832
; TotalNumSgprs: 15
; NumVgprs: 71
; ScratchSize: 0
; MemoryBound: 1
; FloatMode: 240
; IeeeMode: 1
; LDSByteSize: 0 bytes/workgroup (compile time only)
; SGPRBlocks: 0
; VGPRBlocks: 8
; NumSGPRsForWavesPerEU: 15
; NumVGPRsForWavesPerEU: 71
; Occupancy: 12
; WaveLimiterHint : 1
; COMPUTE_PGM_RSRC2:SCRATCH_EN: 0
; COMPUTE_PGM_RSRC2:USER_SGPR: 6
; COMPUTE_PGM_RSRC2:TRAP_HANDLER: 0
; COMPUTE_PGM_RSRC2:TGID_X_EN: 1
; COMPUTE_PGM_RSRC2:TGID_Y_EN: 0
; COMPUTE_PGM_RSRC2:TGID_Z_EN: 0
; COMPUTE_PGM_RSRC2:TIDIG_COMP_CNT: 0
	.section	.text._ZN9rocsparseL19gebsrmvn_1xn_kernelILj128ELj12ELj16E21rocsparse_complex_numIdEEEvi20rocsparse_direction_NS_24const_host_device_scalarIT2_EEPKiS8_PKS5_SA_S6_PS5_21rocsparse_index_base_b,"axG",@progbits,_ZN9rocsparseL19gebsrmvn_1xn_kernelILj128ELj12ELj16E21rocsparse_complex_numIdEEEvi20rocsparse_direction_NS_24const_host_device_scalarIT2_EEPKiS8_PKS5_SA_S6_PS5_21rocsparse_index_base_b,comdat
	.globl	_ZN9rocsparseL19gebsrmvn_1xn_kernelILj128ELj12ELj16E21rocsparse_complex_numIdEEEvi20rocsparse_direction_NS_24const_host_device_scalarIT2_EEPKiS8_PKS5_SA_S6_PS5_21rocsparse_index_base_b ; -- Begin function _ZN9rocsparseL19gebsrmvn_1xn_kernelILj128ELj12ELj16E21rocsparse_complex_numIdEEEvi20rocsparse_direction_NS_24const_host_device_scalarIT2_EEPKiS8_PKS5_SA_S6_PS5_21rocsparse_index_base_b
	.p2align	8
	.type	_ZN9rocsparseL19gebsrmvn_1xn_kernelILj128ELj12ELj16E21rocsparse_complex_numIdEEEvi20rocsparse_direction_NS_24const_host_device_scalarIT2_EEPKiS8_PKS5_SA_S6_PS5_21rocsparse_index_base_b,@function
_ZN9rocsparseL19gebsrmvn_1xn_kernelILj128ELj12ELj16E21rocsparse_complex_numIdEEEvi20rocsparse_direction_NS_24const_host_device_scalarIT2_EEPKiS8_PKS5_SA_S6_PS5_21rocsparse_index_base_b: ; @_ZN9rocsparseL19gebsrmvn_1xn_kernelILj128ELj12ELj16E21rocsparse_complex_numIdEEEvi20rocsparse_direction_NS_24const_host_device_scalarIT2_EEPKiS8_PKS5_SA_S6_PS5_21rocsparse_index_base_b
; %bb.0:
	s_clause 0x1
	s_load_dwordx2 s[8:9], s[4:5], 0x50
	s_load_dwordx2 s[0:1], s[4:5], 0x8
	s_add_u32 s7, s4, 8
	s_addc_u32 s10, s5, 0
	s_add_u32 s11, s4, 56
	s_addc_u32 s12, s5, 0
	s_load_dwordx2 s[2:3], s[4:5], 0x38
	s_waitcnt lgkmcnt(0)
	s_bitcmp1_b32 s9, 0
	s_cselect_b32 s0, s7, s0
	s_cselect_b32 s1, s10, s1
	v_mov_b32_e32 v1, s0
	v_mov_b32_e32 v2, s1
	s_cselect_b32 s0, s11, s2
	s_cselect_b32 s1, s12, s3
	flat_load_dwordx4 v[5:8], v[1:2]
	v_mov_b32_e32 v1, s0
	v_mov_b32_e32 v2, s1
	flat_load_dwordx4 v[1:4], v[1:2]
	s_waitcnt vmcnt(1) lgkmcnt(1)
	v_cmp_eq_f64_e32 vcc_lo, 0, v[5:6]
	v_cmp_eq_f64_e64 s0, 0, v[7:8]
	s_and_b32 s2, vcc_lo, s0
	s_mov_b32 s0, -1
	s_and_saveexec_b32 s1, s2
	s_cbranch_execz .LBB280_2
; %bb.1:
	s_waitcnt vmcnt(0) lgkmcnt(0)
	v_cmp_neq_f64_e32 vcc_lo, 1.0, v[1:2]
	v_cmp_neq_f64_e64 s0, 0, v[3:4]
	s_or_b32 s0, vcc_lo, s0
	s_orn2_b32 s0, s0, exec_lo
.LBB280_2:
	s_or_b32 exec_lo, exec_lo, s1
	s_and_saveexec_b32 s1, s0
	s_cbranch_execz .LBB280_13
; %bb.3:
	s_load_dword s0, s[4:5], 0x0
	v_lshrrev_b32_e32 v9, 4, v0
	v_lshl_or_b32 v9, s6, 3, v9
	s_waitcnt lgkmcnt(0)
	v_cmp_gt_i32_e32 vcc_lo, s0, v9
	s_and_b32 exec_lo, exec_lo, vcc_lo
	s_cbranch_execz .LBB280_13
; %bb.4:
	s_clause 0x1
	s_load_dwordx2 s[0:1], s[4:5], 0x18
	s_load_dwordx2 s[6:7], s[4:5], 0x48
	v_ashrrev_i32_e32 v10, 31, v9
	v_and_b32_e32 v0, 15, v0
	v_mov_b32_e32 v16, 0
	v_mov_b32_e32 v18, 0
	;; [unrolled: 1-line block ×3, first 2 shown]
	v_lshlrev_b64 v[11:12], 2, v[9:10]
	v_subrev_nc_u32_e32 v13, s8, v0
	v_mov_b32_e32 v19, 0
	s_mov_b32 s9, exec_lo
	s_waitcnt lgkmcnt(0)
	v_add_co_u32 v11, vcc_lo, s0, v11
	v_add_co_ci_u32_e64 v12, null, s1, v12, vcc_lo
	global_load_dwordx2 v[11:12], v[11:12], off
	s_waitcnt vmcnt(0)
	v_subrev_nc_u32_e32 v20, s8, v12
	v_add_nc_u32_e32 v11, v11, v13
	v_cmpx_lt_i32_e64 v11, v20
	s_cbranch_execz .LBB280_8
; %bb.5:
	s_clause 0x1
	s_load_dwordx4 s[0:3], s[4:5], 0x20
	s_load_dwordx2 s[4:5], s[4:5], 0x30
	v_mad_u64_u32 v[13:14], null, v11, 12, 11
	v_mov_b32_e32 v16, 0
	v_mov_b32_e32 v18, 0
	;; [unrolled: 1-line block ×5, first 2 shown]
	s_mov_b32 s10, 0
.LBB280_6:                              ; =>This Inner Loop Header: Depth=1
	v_ashrrev_i32_e32 v12, 31, v11
	v_add_nc_u32_e32 v14, -11, v13
	v_mov_b32_e32 v62, v15
	v_lshlrev_b64 v[21:22], 2, v[11:12]
	v_add_nc_u32_e32 v11, 16, v11
	s_waitcnt lgkmcnt(0)
	v_add_co_u32 v21, vcc_lo, s0, v21
	v_add_co_ci_u32_e64 v22, null, s1, v22, vcc_lo
	global_load_dword v12, v[21:22], off
	v_lshlrev_b64 v[21:22], 4, v[14:15]
	v_add_nc_u32_e32 v14, -7, v13
	v_lshlrev_b64 v[23:24], 4, v[14:15]
	v_add_co_u32 v33, vcc_lo, s2, v21
	v_add_co_ci_u32_e64 v34, null, s3, v22, vcc_lo
	v_add_co_u32 v37, vcc_lo, s2, v23
	v_add_co_ci_u32_e64 v38, null, s3, v24, vcc_lo
	s_clause 0x4
	global_load_dwordx4 v[21:24], v[33:34], off offset:48
	global_load_dwordx4 v[25:28], v[33:34], off offset:32
	;; [unrolled: 1-line block ×3, first 2 shown]
	global_load_dwordx4 v[33:36], v[33:34], off
	global_load_dwordx4 v[37:40], v[37:38], off
	s_waitcnt vmcnt(5)
	v_subrev_nc_u32_e32 v12, s8, v12
	v_mul_lo_u32 v61, v12, 12
	v_lshlrev_b64 v[41:42], 4, v[61:62]
	v_add_nc_u32_e32 v14, 4, v61
	v_lshlrev_b64 v[57:58], 4, v[14:15]
	v_add_co_u32 v53, vcc_lo, s4, v41
	v_add_co_ci_u32_e64 v54, null, s5, v42, vcc_lo
	v_add_nc_u32_e32 v14, -6, v13
	v_add_co_u32 v64, vcc_lo, s4, v57
	s_clause 0x3
	global_load_dwordx4 v[41:44], v[53:54], off
	global_load_dwordx4 v[45:48], v[53:54], off offset:16
	global_load_dwordx4 v[49:52], v[53:54], off offset:32
	;; [unrolled: 1-line block ×3, first 2 shown]
	v_add_co_ci_u32_e64 v65, null, s5, v58, vcc_lo
	v_lshlrev_b64 v[62:63], 4, v[14:15]
	v_add_nc_u32_e32 v14, -5, v13
	global_load_dwordx4 v[57:60], v[64:65], off
	v_add_co_u32 v62, vcc_lo, s2, v62
	v_add_co_ci_u32_e64 v63, null, s3, v63, vcc_lo
	s_waitcnt vmcnt(4)
	v_fma_f64 v[18:19], v[33:34], v[41:42], v[18:19]
	v_fma_f64 v[16:17], v[35:36], v[41:42], v[16:17]
	v_fma_f64 v[41:42], -v[35:36], v[43:44], v[18:19]
	v_fma_f64 v[43:44], v[33:34], v[43:44], v[16:17]
	global_load_dwordx4 v[16:19], v[64:65], off offset:16
	global_load_dwordx4 v[33:36], v[62:63], off
	v_lshlrev_b64 v[62:63], 4, v[14:15]
	v_add_nc_u32_e32 v14, -4, v13
	v_add_co_u32 v62, vcc_lo, s2, v62
	v_add_co_ci_u32_e64 v63, null, s3, v63, vcc_lo
	s_waitcnt vmcnt(5)
	v_fma_f64 v[41:42], v[29:30], v[45:46], v[41:42]
	v_fma_f64 v[43:44], v[31:32], v[45:46], v[43:44]
	v_lshlrev_b64 v[45:46], 4, v[14:15]
	v_add_nc_u32_e32 v14, -3, v13
	v_fma_f64 v[66:67], -v[31:32], v[47:48], v[41:42]
	v_fma_f64 v[68:69], v[29:30], v[47:48], v[43:44]
	global_load_dwordx4 v[29:32], v[64:65], off offset:32
	global_load_dwordx4 v[41:44], v[62:63], off
	v_add_co_u32 v62, vcc_lo, s2, v45
	v_add_co_ci_u32_e64 v63, null, s3, v46, vcc_lo
	global_load_dwordx4 v[45:48], v[64:65], off offset:48
	s_waitcnt vmcnt(7)
	v_fma_f64 v[64:65], v[25:26], v[49:50], v[66:67]
	v_fma_f64 v[49:50], v[27:28], v[49:50], v[68:69]
	v_fma_f64 v[64:65], -v[27:28], v[51:52], v[64:65]
	v_fma_f64 v[66:67], v[25:26], v[51:52], v[49:50]
	global_load_dwordx4 v[25:28], v[62:63], off
	v_lshlrev_b64 v[49:50], 4, v[14:15]
	v_add_nc_u32_e32 v14, 8, v61
	v_lshlrev_b64 v[51:52], 4, v[14:15]
	v_add_co_u32 v49, vcc_lo, s2, v49
	v_add_co_ci_u32_e64 v50, null, s3, v50, vcc_lo
	v_add_nc_u32_e32 v14, -2, v13
	v_add_co_u32 v61, vcc_lo, s4, v51
	v_add_co_ci_u32_e64 v62, null, s5, v52, vcc_lo
	global_load_dwordx4 v[49:52], v[49:50], off
	s_waitcnt vmcnt(8)
	v_fma_f64 v[63:64], v[21:22], v[53:54], v[64:65]
	v_fma_f64 v[53:54], v[23:24], v[53:54], v[66:67]
	v_fma_f64 v[63:64], -v[23:24], v[55:56], v[63:64]
	v_fma_f64 v[65:66], v[21:22], v[55:56], v[53:54]
	global_load_dwordx4 v[21:24], v[61:62], off
	v_lshlrev_b64 v[53:54], 4, v[14:15]
	v_add_nc_u32_e32 v14, -1, v13
	v_add_co_u32 v67, vcc_lo, s2, v53
	v_add_co_ci_u32_e64 v68, null, s3, v54, vcc_lo
	global_load_dwordx4 v[53:56], v[61:62], off offset:16
	s_waitcnt vmcnt(9)
	v_fma_f64 v[63:64], v[37:38], v[57:58], v[63:64]
	v_fma_f64 v[57:58], v[39:40], v[57:58], v[65:66]
	v_fma_f64 v[63:64], -v[39:40], v[59:60], v[63:64]
	v_fma_f64 v[65:66], v[37:38], v[59:60], v[57:58]
	global_load_dwordx4 v[37:40], v[67:68], off
	v_lshlrev_b64 v[57:58], 4, v[14:15]
	v_mov_b32_e32 v14, v15
	v_add_co_u32 v67, vcc_lo, s2, v57
	v_add_co_ci_u32_e64 v68, null, s3, v58, vcc_lo
	global_load_dwordx4 v[57:60], v[61:62], off offset:32
	s_waitcnt vmcnt(9)
	v_fma_f64 v[63:64], v[33:34], v[16:17], v[63:64]
	v_fma_f64 v[16:17], v[35:36], v[16:17], v[65:66]
	v_fma_f64 v[65:66], -v[35:36], v[18:19], v[63:64]
	v_fma_f64 v[69:70], v[33:34], v[18:19], v[16:17]
	global_load_dwordx4 v[16:19], v[67:68], off
	v_lshlrev_b64 v[33:34], 4, v[13:14]
	v_add_nc_u32_e32 v13, 0xc0, v13
	v_add_co_u32 v33, vcc_lo, s2, v33
	v_add_co_ci_u32_e64 v34, null, s3, v34, vcc_lo
	global_load_dwordx4 v[33:36], v[33:34], off
	global_load_dwordx4 v[61:64], v[61:62], off offset:48
	v_cmp_ge_i32_e32 vcc_lo, v11, v20
	s_or_b32 s10, vcc_lo, s10
	s_waitcnt vmcnt(10)
	v_fma_f64 v[65:66], v[41:42], v[29:30], v[65:66]
	v_fma_f64 v[29:30], v[43:44], v[29:30], v[69:70]
	v_fma_f64 v[43:44], -v[43:44], v[31:32], v[65:66]
	v_fma_f64 v[29:30], v[41:42], v[31:32], v[29:30]
	s_waitcnt vmcnt(8)
	v_fma_f64 v[31:32], v[25:26], v[45:46], v[43:44]
	v_fma_f64 v[29:30], v[27:28], v[45:46], v[29:30]
	v_fma_f64 v[27:28], -v[27:28], v[47:48], v[31:32]
	v_fma_f64 v[25:26], v[25:26], v[47:48], v[29:30]
	;; [unrolled: 5-line block ×6, first 2 shown]
	s_andn2_b32 exec_lo, exec_lo, s10
	s_cbranch_execnz .LBB280_6
; %bb.7:
	s_or_b32 exec_lo, exec_lo, s10
.LBB280_8:
	s_or_b32 exec_lo, exec_lo, s9
	v_mbcnt_lo_u32_b32 v20, -1, 0
	v_xor_b32_e32 v11, 8, v20
	v_xor_b32_e32 v15, 4, v20
	v_cmp_gt_i32_e32 vcc_lo, 32, v11
	v_cndmask_b32_e32 v11, v20, v11, vcc_lo
	v_cmp_gt_i32_e32 vcc_lo, 32, v15
	v_lshlrev_b32_e32 v14, 2, v11
	v_cndmask_b32_e32 v15, v20, v15, vcc_lo
	ds_bpermute_b32 v11, v14, v18
	ds_bpermute_b32 v12, v14, v19
	;; [unrolled: 1-line block ×4, first 2 shown]
	s_waitcnt lgkmcnt(2)
	v_add_f64 v[11:12], v[18:19], v[11:12]
	v_lshlrev_b32_e32 v18, 2, v15
	s_waitcnt lgkmcnt(0)
	v_add_f64 v[13:14], v[16:17], v[13:14]
	ds_bpermute_b32 v15, v18, v11
	ds_bpermute_b32 v16, v18, v12
	;; [unrolled: 1-line block ×4, first 2 shown]
	s_waitcnt lgkmcnt(2)
	v_add_f64 v[11:12], v[11:12], v[15:16]
	v_xor_b32_e32 v15, 2, v20
	s_waitcnt lgkmcnt(0)
	v_add_f64 v[13:14], v[13:14], v[17:18]
	v_cmp_gt_i32_e32 vcc_lo, 32, v15
	v_cndmask_b32_e32 v15, v20, v15, vcc_lo
	v_lshlrev_b32_e32 v18, 2, v15
	ds_bpermute_b32 v15, v18, v11
	ds_bpermute_b32 v16, v18, v12
	;; [unrolled: 1-line block ×4, first 2 shown]
	s_waitcnt lgkmcnt(2)
	v_add_f64 v[11:12], v[11:12], v[15:16]
	v_xor_b32_e32 v15, 1, v20
	s_waitcnt lgkmcnt(0)
	v_add_f64 v[13:14], v[13:14], v[17:18]
	v_cmp_gt_i32_e32 vcc_lo, 32, v15
	v_cndmask_b32_e32 v15, v20, v15, vcc_lo
	v_cmp_eq_u32_e32 vcc_lo, 15, v0
	v_lshlrev_b32_e32 v18, 2, v15
	ds_bpermute_b32 v15, v18, v11
	ds_bpermute_b32 v16, v18, v12
	;; [unrolled: 1-line block ×4, first 2 shown]
	s_and_b32 exec_lo, exec_lo, vcc_lo
	s_cbranch_execz .LBB280_13
; %bb.9:
	s_waitcnt lgkmcnt(0)
	v_add_f64 v[13:14], v[13:14], v[17:18]
	v_add_f64 v[11:12], v[11:12], v[15:16]
	v_cmp_eq_f64_e32 vcc_lo, 0, v[1:2]
	v_cmp_eq_f64_e64 s0, 0, v[3:4]
	v_lshlrev_b64 v[9:10], 4, v[9:10]
	v_mul_f64 v[15:16], v[13:14], -v[7:8]
	v_mul_f64 v[13:14], v[5:6], v[13:14]
	s_and_b32 s0, vcc_lo, s0
	v_fma_f64 v[5:6], v[5:6], v[11:12], v[15:16]
	v_fma_f64 v[7:8], v[7:8], v[11:12], v[13:14]
	s_and_saveexec_b32 s1, s0
	s_xor_b32 s0, exec_lo, s1
	s_cbranch_execz .LBB280_11
; %bb.10:
	v_add_co_u32 v0, vcc_lo, s6, v9
	v_add_co_ci_u32_e64 v1, null, s7, v10, vcc_lo
                                        ; implicit-def: $vgpr9_vgpr10
	global_store_dwordx4 v[0:1], v[5:8], off
                                        ; implicit-def: $vgpr1_vgpr2
                                        ; implicit-def: $vgpr5_vgpr6
.LBB280_11:
	s_andn2_saveexec_b32 s0, s0
	s_cbranch_execz .LBB280_13
; %bb.12:
	v_add_co_u32 v13, vcc_lo, s6, v9
	v_add_co_ci_u32_e64 v14, null, s7, v10, vcc_lo
	global_load_dwordx4 v[9:12], v[13:14], off
	s_waitcnt vmcnt(0)
	v_fma_f64 v[5:6], v[1:2], v[9:10], v[5:6]
	v_fma_f64 v[7:8], v[3:4], v[9:10], v[7:8]
	v_fma_f64 v[3:4], -v[3:4], v[11:12], v[5:6]
	v_fma_f64 v[5:6], v[1:2], v[11:12], v[7:8]
	global_store_dwordx4 v[13:14], v[3:6], off
.LBB280_13:
	s_endpgm
	.section	.rodata,"a",@progbits
	.p2align	6, 0x0
	.amdhsa_kernel _ZN9rocsparseL19gebsrmvn_1xn_kernelILj128ELj12ELj16E21rocsparse_complex_numIdEEEvi20rocsparse_direction_NS_24const_host_device_scalarIT2_EEPKiS8_PKS5_SA_S6_PS5_21rocsparse_index_base_b
		.amdhsa_group_segment_fixed_size 0
		.amdhsa_private_segment_fixed_size 0
		.amdhsa_kernarg_size 88
		.amdhsa_user_sgpr_count 6
		.amdhsa_user_sgpr_private_segment_buffer 1
		.amdhsa_user_sgpr_dispatch_ptr 0
		.amdhsa_user_sgpr_queue_ptr 0
		.amdhsa_user_sgpr_kernarg_segment_ptr 1
		.amdhsa_user_sgpr_dispatch_id 0
		.amdhsa_user_sgpr_flat_scratch_init 0
		.amdhsa_user_sgpr_private_segment_size 0
		.amdhsa_wavefront_size32 1
		.amdhsa_uses_dynamic_stack 0
		.amdhsa_system_sgpr_private_segment_wavefront_offset 0
		.amdhsa_system_sgpr_workgroup_id_x 1
		.amdhsa_system_sgpr_workgroup_id_y 0
		.amdhsa_system_sgpr_workgroup_id_z 0
		.amdhsa_system_sgpr_workgroup_info 0
		.amdhsa_system_vgpr_workitem_id 0
		.amdhsa_next_free_vgpr 71
		.amdhsa_next_free_sgpr 13
		.amdhsa_reserve_vcc 1
		.amdhsa_reserve_flat_scratch 0
		.amdhsa_float_round_mode_32 0
		.amdhsa_float_round_mode_16_64 0
		.amdhsa_float_denorm_mode_32 3
		.amdhsa_float_denorm_mode_16_64 3
		.amdhsa_dx10_clamp 1
		.amdhsa_ieee_mode 1
		.amdhsa_fp16_overflow 0
		.amdhsa_workgroup_processor_mode 1
		.amdhsa_memory_ordered 1
		.amdhsa_forward_progress 1
		.amdhsa_shared_vgpr_count 0
		.amdhsa_exception_fp_ieee_invalid_op 0
		.amdhsa_exception_fp_denorm_src 0
		.amdhsa_exception_fp_ieee_div_zero 0
		.amdhsa_exception_fp_ieee_overflow 0
		.amdhsa_exception_fp_ieee_underflow 0
		.amdhsa_exception_fp_ieee_inexact 0
		.amdhsa_exception_int_div_zero 0
	.end_amdhsa_kernel
	.section	.text._ZN9rocsparseL19gebsrmvn_1xn_kernelILj128ELj12ELj16E21rocsparse_complex_numIdEEEvi20rocsparse_direction_NS_24const_host_device_scalarIT2_EEPKiS8_PKS5_SA_S6_PS5_21rocsparse_index_base_b,"axG",@progbits,_ZN9rocsparseL19gebsrmvn_1xn_kernelILj128ELj12ELj16E21rocsparse_complex_numIdEEEvi20rocsparse_direction_NS_24const_host_device_scalarIT2_EEPKiS8_PKS5_SA_S6_PS5_21rocsparse_index_base_b,comdat
.Lfunc_end280:
	.size	_ZN9rocsparseL19gebsrmvn_1xn_kernelILj128ELj12ELj16E21rocsparse_complex_numIdEEEvi20rocsparse_direction_NS_24const_host_device_scalarIT2_EEPKiS8_PKS5_SA_S6_PS5_21rocsparse_index_base_b, .Lfunc_end280-_ZN9rocsparseL19gebsrmvn_1xn_kernelILj128ELj12ELj16E21rocsparse_complex_numIdEEEvi20rocsparse_direction_NS_24const_host_device_scalarIT2_EEPKiS8_PKS5_SA_S6_PS5_21rocsparse_index_base_b
                                        ; -- End function
	.set _ZN9rocsparseL19gebsrmvn_1xn_kernelILj128ELj12ELj16E21rocsparse_complex_numIdEEEvi20rocsparse_direction_NS_24const_host_device_scalarIT2_EEPKiS8_PKS5_SA_S6_PS5_21rocsparse_index_base_b.num_vgpr, 71
	.set _ZN9rocsparseL19gebsrmvn_1xn_kernelILj128ELj12ELj16E21rocsparse_complex_numIdEEEvi20rocsparse_direction_NS_24const_host_device_scalarIT2_EEPKiS8_PKS5_SA_S6_PS5_21rocsparse_index_base_b.num_agpr, 0
	.set _ZN9rocsparseL19gebsrmvn_1xn_kernelILj128ELj12ELj16E21rocsparse_complex_numIdEEEvi20rocsparse_direction_NS_24const_host_device_scalarIT2_EEPKiS8_PKS5_SA_S6_PS5_21rocsparse_index_base_b.numbered_sgpr, 13
	.set _ZN9rocsparseL19gebsrmvn_1xn_kernelILj128ELj12ELj16E21rocsparse_complex_numIdEEEvi20rocsparse_direction_NS_24const_host_device_scalarIT2_EEPKiS8_PKS5_SA_S6_PS5_21rocsparse_index_base_b.num_named_barrier, 0
	.set _ZN9rocsparseL19gebsrmvn_1xn_kernelILj128ELj12ELj16E21rocsparse_complex_numIdEEEvi20rocsparse_direction_NS_24const_host_device_scalarIT2_EEPKiS8_PKS5_SA_S6_PS5_21rocsparse_index_base_b.private_seg_size, 0
	.set _ZN9rocsparseL19gebsrmvn_1xn_kernelILj128ELj12ELj16E21rocsparse_complex_numIdEEEvi20rocsparse_direction_NS_24const_host_device_scalarIT2_EEPKiS8_PKS5_SA_S6_PS5_21rocsparse_index_base_b.uses_vcc, 1
	.set _ZN9rocsparseL19gebsrmvn_1xn_kernelILj128ELj12ELj16E21rocsparse_complex_numIdEEEvi20rocsparse_direction_NS_24const_host_device_scalarIT2_EEPKiS8_PKS5_SA_S6_PS5_21rocsparse_index_base_b.uses_flat_scratch, 0
	.set _ZN9rocsparseL19gebsrmvn_1xn_kernelILj128ELj12ELj16E21rocsparse_complex_numIdEEEvi20rocsparse_direction_NS_24const_host_device_scalarIT2_EEPKiS8_PKS5_SA_S6_PS5_21rocsparse_index_base_b.has_dyn_sized_stack, 0
	.set _ZN9rocsparseL19gebsrmvn_1xn_kernelILj128ELj12ELj16E21rocsparse_complex_numIdEEEvi20rocsparse_direction_NS_24const_host_device_scalarIT2_EEPKiS8_PKS5_SA_S6_PS5_21rocsparse_index_base_b.has_recursion, 0
	.set _ZN9rocsparseL19gebsrmvn_1xn_kernelILj128ELj12ELj16E21rocsparse_complex_numIdEEEvi20rocsparse_direction_NS_24const_host_device_scalarIT2_EEPKiS8_PKS5_SA_S6_PS5_21rocsparse_index_base_b.has_indirect_call, 0
	.section	.AMDGPU.csdata,"",@progbits
; Kernel info:
; codeLenInByte = 1904
; TotalNumSgprs: 15
; NumVgprs: 71
; ScratchSize: 0
; MemoryBound: 1
; FloatMode: 240
; IeeeMode: 1
; LDSByteSize: 0 bytes/workgroup (compile time only)
; SGPRBlocks: 0
; VGPRBlocks: 8
; NumSGPRsForWavesPerEU: 15
; NumVGPRsForWavesPerEU: 71
; Occupancy: 12
; WaveLimiterHint : 1
; COMPUTE_PGM_RSRC2:SCRATCH_EN: 0
; COMPUTE_PGM_RSRC2:USER_SGPR: 6
; COMPUTE_PGM_RSRC2:TRAP_HANDLER: 0
; COMPUTE_PGM_RSRC2:TGID_X_EN: 1
; COMPUTE_PGM_RSRC2:TGID_Y_EN: 0
; COMPUTE_PGM_RSRC2:TGID_Z_EN: 0
; COMPUTE_PGM_RSRC2:TIDIG_COMP_CNT: 0
	.section	.text._ZN9rocsparseL19gebsrmvn_1xn_kernelILj128ELj12ELj32E21rocsparse_complex_numIdEEEvi20rocsparse_direction_NS_24const_host_device_scalarIT2_EEPKiS8_PKS5_SA_S6_PS5_21rocsparse_index_base_b,"axG",@progbits,_ZN9rocsparseL19gebsrmvn_1xn_kernelILj128ELj12ELj32E21rocsparse_complex_numIdEEEvi20rocsparse_direction_NS_24const_host_device_scalarIT2_EEPKiS8_PKS5_SA_S6_PS5_21rocsparse_index_base_b,comdat
	.globl	_ZN9rocsparseL19gebsrmvn_1xn_kernelILj128ELj12ELj32E21rocsparse_complex_numIdEEEvi20rocsparse_direction_NS_24const_host_device_scalarIT2_EEPKiS8_PKS5_SA_S6_PS5_21rocsparse_index_base_b ; -- Begin function _ZN9rocsparseL19gebsrmvn_1xn_kernelILj128ELj12ELj32E21rocsparse_complex_numIdEEEvi20rocsparse_direction_NS_24const_host_device_scalarIT2_EEPKiS8_PKS5_SA_S6_PS5_21rocsparse_index_base_b
	.p2align	8
	.type	_ZN9rocsparseL19gebsrmvn_1xn_kernelILj128ELj12ELj32E21rocsparse_complex_numIdEEEvi20rocsparse_direction_NS_24const_host_device_scalarIT2_EEPKiS8_PKS5_SA_S6_PS5_21rocsparse_index_base_b,@function
_ZN9rocsparseL19gebsrmvn_1xn_kernelILj128ELj12ELj32E21rocsparse_complex_numIdEEEvi20rocsparse_direction_NS_24const_host_device_scalarIT2_EEPKiS8_PKS5_SA_S6_PS5_21rocsparse_index_base_b: ; @_ZN9rocsparseL19gebsrmvn_1xn_kernelILj128ELj12ELj32E21rocsparse_complex_numIdEEEvi20rocsparse_direction_NS_24const_host_device_scalarIT2_EEPKiS8_PKS5_SA_S6_PS5_21rocsparse_index_base_b
; %bb.0:
	s_clause 0x1
	s_load_dwordx2 s[8:9], s[4:5], 0x50
	s_load_dwordx2 s[0:1], s[4:5], 0x8
	s_add_u32 s7, s4, 8
	s_addc_u32 s10, s5, 0
	s_add_u32 s11, s4, 56
	s_addc_u32 s12, s5, 0
	s_load_dwordx2 s[2:3], s[4:5], 0x38
	s_waitcnt lgkmcnt(0)
	s_bitcmp1_b32 s9, 0
	s_cselect_b32 s0, s7, s0
	s_cselect_b32 s1, s10, s1
	v_mov_b32_e32 v1, s0
	v_mov_b32_e32 v2, s1
	s_cselect_b32 s0, s11, s2
	s_cselect_b32 s1, s12, s3
	flat_load_dwordx4 v[5:8], v[1:2]
	v_mov_b32_e32 v1, s0
	v_mov_b32_e32 v2, s1
	flat_load_dwordx4 v[1:4], v[1:2]
	s_waitcnt vmcnt(1) lgkmcnt(1)
	v_cmp_eq_f64_e32 vcc_lo, 0, v[5:6]
	v_cmp_eq_f64_e64 s0, 0, v[7:8]
	s_and_b32 s2, vcc_lo, s0
	s_mov_b32 s0, -1
	s_and_saveexec_b32 s1, s2
	s_cbranch_execz .LBB281_2
; %bb.1:
	s_waitcnt vmcnt(0) lgkmcnt(0)
	v_cmp_neq_f64_e32 vcc_lo, 1.0, v[1:2]
	v_cmp_neq_f64_e64 s0, 0, v[3:4]
	s_or_b32 s0, vcc_lo, s0
	s_orn2_b32 s0, s0, exec_lo
.LBB281_2:
	s_or_b32 exec_lo, exec_lo, s1
	s_and_saveexec_b32 s1, s0
	s_cbranch_execz .LBB281_13
; %bb.3:
	s_load_dword s0, s[4:5], 0x0
	v_lshrrev_b32_e32 v9, 5, v0
	v_lshl_or_b32 v9, s6, 2, v9
	s_waitcnt lgkmcnt(0)
	v_cmp_gt_i32_e32 vcc_lo, s0, v9
	s_and_b32 exec_lo, exec_lo, vcc_lo
	s_cbranch_execz .LBB281_13
; %bb.4:
	s_clause 0x1
	s_load_dwordx2 s[0:1], s[4:5], 0x18
	s_load_dwordx2 s[6:7], s[4:5], 0x48
	v_ashrrev_i32_e32 v10, 31, v9
	v_and_b32_e32 v0, 31, v0
	v_mov_b32_e32 v16, 0
	v_mov_b32_e32 v18, 0
	;; [unrolled: 1-line block ×3, first 2 shown]
	v_lshlrev_b64 v[11:12], 2, v[9:10]
	v_subrev_nc_u32_e32 v13, s8, v0
	v_mov_b32_e32 v19, 0
	s_mov_b32 s9, exec_lo
	s_waitcnt lgkmcnt(0)
	v_add_co_u32 v11, vcc_lo, s0, v11
	v_add_co_ci_u32_e64 v12, null, s1, v12, vcc_lo
	global_load_dwordx2 v[11:12], v[11:12], off
	s_waitcnt vmcnt(0)
	v_subrev_nc_u32_e32 v20, s8, v12
	v_add_nc_u32_e32 v11, v11, v13
	v_cmpx_lt_i32_e64 v11, v20
	s_cbranch_execz .LBB281_8
; %bb.5:
	s_clause 0x1
	s_load_dwordx4 s[0:3], s[4:5], 0x20
	s_load_dwordx2 s[4:5], s[4:5], 0x30
	v_mad_u64_u32 v[13:14], null, v11, 12, 11
	v_mov_b32_e32 v16, 0
	v_mov_b32_e32 v18, 0
	;; [unrolled: 1-line block ×5, first 2 shown]
	s_mov_b32 s10, 0
.LBB281_6:                              ; =>This Inner Loop Header: Depth=1
	v_ashrrev_i32_e32 v12, 31, v11
	v_add_nc_u32_e32 v14, -11, v13
	v_mov_b32_e32 v62, v15
	v_lshlrev_b64 v[21:22], 2, v[11:12]
	v_add_nc_u32_e32 v11, 32, v11
	s_waitcnt lgkmcnt(0)
	v_add_co_u32 v21, vcc_lo, s0, v21
	v_add_co_ci_u32_e64 v22, null, s1, v22, vcc_lo
	global_load_dword v12, v[21:22], off
	v_lshlrev_b64 v[21:22], 4, v[14:15]
	v_add_nc_u32_e32 v14, -7, v13
	v_lshlrev_b64 v[23:24], 4, v[14:15]
	v_add_co_u32 v33, vcc_lo, s2, v21
	v_add_co_ci_u32_e64 v34, null, s3, v22, vcc_lo
	v_add_co_u32 v37, vcc_lo, s2, v23
	v_add_co_ci_u32_e64 v38, null, s3, v24, vcc_lo
	s_clause 0x4
	global_load_dwordx4 v[21:24], v[33:34], off offset:48
	global_load_dwordx4 v[25:28], v[33:34], off offset:32
	;; [unrolled: 1-line block ×3, first 2 shown]
	global_load_dwordx4 v[33:36], v[33:34], off
	global_load_dwordx4 v[37:40], v[37:38], off
	s_waitcnt vmcnt(5)
	v_subrev_nc_u32_e32 v12, s8, v12
	v_mul_lo_u32 v61, v12, 12
	v_lshlrev_b64 v[41:42], 4, v[61:62]
	v_add_nc_u32_e32 v14, 4, v61
	v_lshlrev_b64 v[57:58], 4, v[14:15]
	v_add_co_u32 v53, vcc_lo, s4, v41
	v_add_co_ci_u32_e64 v54, null, s5, v42, vcc_lo
	v_add_nc_u32_e32 v14, -6, v13
	v_add_co_u32 v64, vcc_lo, s4, v57
	s_clause 0x3
	global_load_dwordx4 v[41:44], v[53:54], off
	global_load_dwordx4 v[45:48], v[53:54], off offset:16
	global_load_dwordx4 v[49:52], v[53:54], off offset:32
	;; [unrolled: 1-line block ×3, first 2 shown]
	v_add_co_ci_u32_e64 v65, null, s5, v58, vcc_lo
	v_lshlrev_b64 v[62:63], 4, v[14:15]
	v_add_nc_u32_e32 v14, -5, v13
	global_load_dwordx4 v[57:60], v[64:65], off
	v_add_co_u32 v62, vcc_lo, s2, v62
	v_add_co_ci_u32_e64 v63, null, s3, v63, vcc_lo
	s_waitcnt vmcnt(4)
	v_fma_f64 v[18:19], v[33:34], v[41:42], v[18:19]
	v_fma_f64 v[16:17], v[35:36], v[41:42], v[16:17]
	v_fma_f64 v[41:42], -v[35:36], v[43:44], v[18:19]
	v_fma_f64 v[43:44], v[33:34], v[43:44], v[16:17]
	global_load_dwordx4 v[16:19], v[64:65], off offset:16
	global_load_dwordx4 v[33:36], v[62:63], off
	v_lshlrev_b64 v[62:63], 4, v[14:15]
	v_add_nc_u32_e32 v14, -4, v13
	v_add_co_u32 v62, vcc_lo, s2, v62
	v_add_co_ci_u32_e64 v63, null, s3, v63, vcc_lo
	s_waitcnt vmcnt(5)
	v_fma_f64 v[41:42], v[29:30], v[45:46], v[41:42]
	v_fma_f64 v[43:44], v[31:32], v[45:46], v[43:44]
	v_lshlrev_b64 v[45:46], 4, v[14:15]
	v_add_nc_u32_e32 v14, -3, v13
	v_fma_f64 v[66:67], -v[31:32], v[47:48], v[41:42]
	v_fma_f64 v[68:69], v[29:30], v[47:48], v[43:44]
	global_load_dwordx4 v[29:32], v[64:65], off offset:32
	global_load_dwordx4 v[41:44], v[62:63], off
	v_add_co_u32 v62, vcc_lo, s2, v45
	v_add_co_ci_u32_e64 v63, null, s3, v46, vcc_lo
	global_load_dwordx4 v[45:48], v[64:65], off offset:48
	s_waitcnt vmcnt(7)
	v_fma_f64 v[64:65], v[25:26], v[49:50], v[66:67]
	v_fma_f64 v[49:50], v[27:28], v[49:50], v[68:69]
	v_fma_f64 v[64:65], -v[27:28], v[51:52], v[64:65]
	v_fma_f64 v[66:67], v[25:26], v[51:52], v[49:50]
	global_load_dwordx4 v[25:28], v[62:63], off
	v_lshlrev_b64 v[49:50], 4, v[14:15]
	v_add_nc_u32_e32 v14, 8, v61
	v_lshlrev_b64 v[51:52], 4, v[14:15]
	v_add_co_u32 v49, vcc_lo, s2, v49
	v_add_co_ci_u32_e64 v50, null, s3, v50, vcc_lo
	v_add_nc_u32_e32 v14, -2, v13
	v_add_co_u32 v61, vcc_lo, s4, v51
	v_add_co_ci_u32_e64 v62, null, s5, v52, vcc_lo
	global_load_dwordx4 v[49:52], v[49:50], off
	s_waitcnt vmcnt(8)
	v_fma_f64 v[63:64], v[21:22], v[53:54], v[64:65]
	v_fma_f64 v[53:54], v[23:24], v[53:54], v[66:67]
	v_fma_f64 v[63:64], -v[23:24], v[55:56], v[63:64]
	v_fma_f64 v[65:66], v[21:22], v[55:56], v[53:54]
	global_load_dwordx4 v[21:24], v[61:62], off
	v_lshlrev_b64 v[53:54], 4, v[14:15]
	v_add_nc_u32_e32 v14, -1, v13
	v_add_co_u32 v67, vcc_lo, s2, v53
	v_add_co_ci_u32_e64 v68, null, s3, v54, vcc_lo
	global_load_dwordx4 v[53:56], v[61:62], off offset:16
	s_waitcnt vmcnt(9)
	v_fma_f64 v[63:64], v[37:38], v[57:58], v[63:64]
	v_fma_f64 v[57:58], v[39:40], v[57:58], v[65:66]
	v_fma_f64 v[63:64], -v[39:40], v[59:60], v[63:64]
	v_fma_f64 v[65:66], v[37:38], v[59:60], v[57:58]
	global_load_dwordx4 v[37:40], v[67:68], off
	v_lshlrev_b64 v[57:58], 4, v[14:15]
	v_mov_b32_e32 v14, v15
	v_add_co_u32 v67, vcc_lo, s2, v57
	v_add_co_ci_u32_e64 v68, null, s3, v58, vcc_lo
	global_load_dwordx4 v[57:60], v[61:62], off offset:32
	s_waitcnt vmcnt(9)
	v_fma_f64 v[63:64], v[33:34], v[16:17], v[63:64]
	v_fma_f64 v[16:17], v[35:36], v[16:17], v[65:66]
	v_fma_f64 v[65:66], -v[35:36], v[18:19], v[63:64]
	v_fma_f64 v[69:70], v[33:34], v[18:19], v[16:17]
	global_load_dwordx4 v[16:19], v[67:68], off
	v_lshlrev_b64 v[33:34], 4, v[13:14]
	v_add_nc_u32_e32 v13, 0x180, v13
	v_add_co_u32 v33, vcc_lo, s2, v33
	v_add_co_ci_u32_e64 v34, null, s3, v34, vcc_lo
	global_load_dwordx4 v[33:36], v[33:34], off
	global_load_dwordx4 v[61:64], v[61:62], off offset:48
	v_cmp_ge_i32_e32 vcc_lo, v11, v20
	s_or_b32 s10, vcc_lo, s10
	s_waitcnt vmcnt(10)
	v_fma_f64 v[65:66], v[41:42], v[29:30], v[65:66]
	v_fma_f64 v[29:30], v[43:44], v[29:30], v[69:70]
	v_fma_f64 v[43:44], -v[43:44], v[31:32], v[65:66]
	v_fma_f64 v[29:30], v[41:42], v[31:32], v[29:30]
	s_waitcnt vmcnt(8)
	v_fma_f64 v[31:32], v[25:26], v[45:46], v[43:44]
	v_fma_f64 v[29:30], v[27:28], v[45:46], v[29:30]
	v_fma_f64 v[27:28], -v[27:28], v[47:48], v[31:32]
	v_fma_f64 v[25:26], v[25:26], v[47:48], v[29:30]
	s_waitcnt vmcnt(6)
	v_fma_f64 v[27:28], v[49:50], v[21:22], v[27:28]
	v_fma_f64 v[21:22], v[51:52], v[21:22], v[25:26]
	v_fma_f64 v[25:26], -v[51:52], v[23:24], v[27:28]
	v_fma_f64 v[21:22], v[49:50], v[23:24], v[21:22]
	s_waitcnt vmcnt(4)
	v_fma_f64 v[23:24], v[37:38], v[53:54], v[25:26]
	v_fma_f64 v[21:22], v[39:40], v[53:54], v[21:22]
	v_fma_f64 v[23:24], -v[39:40], v[55:56], v[23:24]
	v_fma_f64 v[21:22], v[37:38], v[55:56], v[21:22]
	s_waitcnt vmcnt(2)
	v_fma_f64 v[23:24], v[16:17], v[57:58], v[23:24]
	v_fma_f64 v[21:22], v[18:19], v[57:58], v[21:22]
	v_fma_f64 v[18:19], -v[18:19], v[59:60], v[23:24]
	v_fma_f64 v[16:17], v[16:17], v[59:60], v[21:22]
	s_waitcnt vmcnt(0)
	v_fma_f64 v[18:19], v[33:34], v[61:62], v[18:19]
	v_fma_f64 v[16:17], v[35:36], v[61:62], v[16:17]
	v_fma_f64 v[18:19], -v[35:36], v[63:64], v[18:19]
	v_fma_f64 v[16:17], v[33:34], v[63:64], v[16:17]
	s_andn2_b32 exec_lo, exec_lo, s10
	s_cbranch_execnz .LBB281_6
; %bb.7:
	s_or_b32 exec_lo, exec_lo, s10
.LBB281_8:
	s_or_b32 exec_lo, exec_lo, s9
	v_mbcnt_lo_u32_b32 v20, -1, 0
	v_xor_b32_e32 v11, 16, v20
	v_xor_b32_e32 v15, 8, v20
	v_cmp_gt_i32_e32 vcc_lo, 32, v11
	v_cndmask_b32_e32 v11, v20, v11, vcc_lo
	v_cmp_gt_i32_e32 vcc_lo, 32, v15
	v_lshlrev_b32_e32 v14, 2, v11
	v_cndmask_b32_e32 v15, v20, v15, vcc_lo
	ds_bpermute_b32 v11, v14, v18
	ds_bpermute_b32 v12, v14, v19
	ds_bpermute_b32 v13, v14, v16
	ds_bpermute_b32 v14, v14, v17
	s_waitcnt lgkmcnt(2)
	v_add_f64 v[11:12], v[18:19], v[11:12]
	v_lshlrev_b32_e32 v18, 2, v15
	s_waitcnt lgkmcnt(0)
	v_add_f64 v[13:14], v[16:17], v[13:14]
	ds_bpermute_b32 v15, v18, v11
	ds_bpermute_b32 v16, v18, v12
	;; [unrolled: 1-line block ×4, first 2 shown]
	s_waitcnt lgkmcnt(2)
	v_add_f64 v[11:12], v[11:12], v[15:16]
	v_xor_b32_e32 v15, 4, v20
	s_waitcnt lgkmcnt(0)
	v_add_f64 v[13:14], v[13:14], v[17:18]
	v_cmp_gt_i32_e32 vcc_lo, 32, v15
	v_cndmask_b32_e32 v15, v20, v15, vcc_lo
	v_lshlrev_b32_e32 v18, 2, v15
	ds_bpermute_b32 v15, v18, v11
	ds_bpermute_b32 v16, v18, v12
	;; [unrolled: 1-line block ×4, first 2 shown]
	s_waitcnt lgkmcnt(2)
	v_add_f64 v[11:12], v[11:12], v[15:16]
	v_xor_b32_e32 v15, 2, v20
	s_waitcnt lgkmcnt(0)
	v_add_f64 v[13:14], v[13:14], v[17:18]
	v_cmp_gt_i32_e32 vcc_lo, 32, v15
	v_cndmask_b32_e32 v15, v20, v15, vcc_lo
	v_lshlrev_b32_e32 v18, 2, v15
	ds_bpermute_b32 v15, v18, v11
	ds_bpermute_b32 v16, v18, v12
	;; [unrolled: 1-line block ×4, first 2 shown]
	s_waitcnt lgkmcnt(2)
	v_add_f64 v[11:12], v[11:12], v[15:16]
	v_xor_b32_e32 v15, 1, v20
	s_waitcnt lgkmcnt(0)
	v_add_f64 v[13:14], v[13:14], v[17:18]
	v_cmp_gt_i32_e32 vcc_lo, 32, v15
	v_cndmask_b32_e32 v15, v20, v15, vcc_lo
	v_cmp_eq_u32_e32 vcc_lo, 31, v0
	v_lshlrev_b32_e32 v18, 2, v15
	ds_bpermute_b32 v15, v18, v11
	ds_bpermute_b32 v16, v18, v12
	;; [unrolled: 1-line block ×4, first 2 shown]
	s_and_b32 exec_lo, exec_lo, vcc_lo
	s_cbranch_execz .LBB281_13
; %bb.9:
	s_waitcnt lgkmcnt(0)
	v_add_f64 v[13:14], v[13:14], v[17:18]
	v_add_f64 v[11:12], v[11:12], v[15:16]
	v_cmp_eq_f64_e32 vcc_lo, 0, v[1:2]
	v_cmp_eq_f64_e64 s0, 0, v[3:4]
	v_lshlrev_b64 v[9:10], 4, v[9:10]
	v_mul_f64 v[15:16], v[13:14], -v[7:8]
	v_mul_f64 v[13:14], v[5:6], v[13:14]
	s_and_b32 s0, vcc_lo, s0
	v_fma_f64 v[5:6], v[5:6], v[11:12], v[15:16]
	v_fma_f64 v[7:8], v[7:8], v[11:12], v[13:14]
	s_and_saveexec_b32 s1, s0
	s_xor_b32 s0, exec_lo, s1
	s_cbranch_execz .LBB281_11
; %bb.10:
	v_add_co_u32 v0, vcc_lo, s6, v9
	v_add_co_ci_u32_e64 v1, null, s7, v10, vcc_lo
                                        ; implicit-def: $vgpr9_vgpr10
	global_store_dwordx4 v[0:1], v[5:8], off
                                        ; implicit-def: $vgpr1_vgpr2
                                        ; implicit-def: $vgpr5_vgpr6
.LBB281_11:
	s_andn2_saveexec_b32 s0, s0
	s_cbranch_execz .LBB281_13
; %bb.12:
	v_add_co_u32 v13, vcc_lo, s6, v9
	v_add_co_ci_u32_e64 v14, null, s7, v10, vcc_lo
	global_load_dwordx4 v[9:12], v[13:14], off
	s_waitcnt vmcnt(0)
	v_fma_f64 v[5:6], v[1:2], v[9:10], v[5:6]
	v_fma_f64 v[7:8], v[3:4], v[9:10], v[7:8]
	v_fma_f64 v[3:4], -v[3:4], v[11:12], v[5:6]
	v_fma_f64 v[5:6], v[1:2], v[11:12], v[7:8]
	global_store_dwordx4 v[13:14], v[3:6], off
.LBB281_13:
	s_endpgm
	.section	.rodata,"a",@progbits
	.p2align	6, 0x0
	.amdhsa_kernel _ZN9rocsparseL19gebsrmvn_1xn_kernelILj128ELj12ELj32E21rocsparse_complex_numIdEEEvi20rocsparse_direction_NS_24const_host_device_scalarIT2_EEPKiS8_PKS5_SA_S6_PS5_21rocsparse_index_base_b
		.amdhsa_group_segment_fixed_size 0
		.amdhsa_private_segment_fixed_size 0
		.amdhsa_kernarg_size 88
		.amdhsa_user_sgpr_count 6
		.amdhsa_user_sgpr_private_segment_buffer 1
		.amdhsa_user_sgpr_dispatch_ptr 0
		.amdhsa_user_sgpr_queue_ptr 0
		.amdhsa_user_sgpr_kernarg_segment_ptr 1
		.amdhsa_user_sgpr_dispatch_id 0
		.amdhsa_user_sgpr_flat_scratch_init 0
		.amdhsa_user_sgpr_private_segment_size 0
		.amdhsa_wavefront_size32 1
		.amdhsa_uses_dynamic_stack 0
		.amdhsa_system_sgpr_private_segment_wavefront_offset 0
		.amdhsa_system_sgpr_workgroup_id_x 1
		.amdhsa_system_sgpr_workgroup_id_y 0
		.amdhsa_system_sgpr_workgroup_id_z 0
		.amdhsa_system_sgpr_workgroup_info 0
		.amdhsa_system_vgpr_workitem_id 0
		.amdhsa_next_free_vgpr 71
		.amdhsa_next_free_sgpr 13
		.amdhsa_reserve_vcc 1
		.amdhsa_reserve_flat_scratch 0
		.amdhsa_float_round_mode_32 0
		.amdhsa_float_round_mode_16_64 0
		.amdhsa_float_denorm_mode_32 3
		.amdhsa_float_denorm_mode_16_64 3
		.amdhsa_dx10_clamp 1
		.amdhsa_ieee_mode 1
		.amdhsa_fp16_overflow 0
		.amdhsa_workgroup_processor_mode 1
		.amdhsa_memory_ordered 1
		.amdhsa_forward_progress 1
		.amdhsa_shared_vgpr_count 0
		.amdhsa_exception_fp_ieee_invalid_op 0
		.amdhsa_exception_fp_denorm_src 0
		.amdhsa_exception_fp_ieee_div_zero 0
		.amdhsa_exception_fp_ieee_overflow 0
		.amdhsa_exception_fp_ieee_underflow 0
		.amdhsa_exception_fp_ieee_inexact 0
		.amdhsa_exception_int_div_zero 0
	.end_amdhsa_kernel
	.section	.text._ZN9rocsparseL19gebsrmvn_1xn_kernelILj128ELj12ELj32E21rocsparse_complex_numIdEEEvi20rocsparse_direction_NS_24const_host_device_scalarIT2_EEPKiS8_PKS5_SA_S6_PS5_21rocsparse_index_base_b,"axG",@progbits,_ZN9rocsparseL19gebsrmvn_1xn_kernelILj128ELj12ELj32E21rocsparse_complex_numIdEEEvi20rocsparse_direction_NS_24const_host_device_scalarIT2_EEPKiS8_PKS5_SA_S6_PS5_21rocsparse_index_base_b,comdat
.Lfunc_end281:
	.size	_ZN9rocsparseL19gebsrmvn_1xn_kernelILj128ELj12ELj32E21rocsparse_complex_numIdEEEvi20rocsparse_direction_NS_24const_host_device_scalarIT2_EEPKiS8_PKS5_SA_S6_PS5_21rocsparse_index_base_b, .Lfunc_end281-_ZN9rocsparseL19gebsrmvn_1xn_kernelILj128ELj12ELj32E21rocsparse_complex_numIdEEEvi20rocsparse_direction_NS_24const_host_device_scalarIT2_EEPKiS8_PKS5_SA_S6_PS5_21rocsparse_index_base_b
                                        ; -- End function
	.set _ZN9rocsparseL19gebsrmvn_1xn_kernelILj128ELj12ELj32E21rocsparse_complex_numIdEEEvi20rocsparse_direction_NS_24const_host_device_scalarIT2_EEPKiS8_PKS5_SA_S6_PS5_21rocsparse_index_base_b.num_vgpr, 71
	.set _ZN9rocsparseL19gebsrmvn_1xn_kernelILj128ELj12ELj32E21rocsparse_complex_numIdEEEvi20rocsparse_direction_NS_24const_host_device_scalarIT2_EEPKiS8_PKS5_SA_S6_PS5_21rocsparse_index_base_b.num_agpr, 0
	.set _ZN9rocsparseL19gebsrmvn_1xn_kernelILj128ELj12ELj32E21rocsparse_complex_numIdEEEvi20rocsparse_direction_NS_24const_host_device_scalarIT2_EEPKiS8_PKS5_SA_S6_PS5_21rocsparse_index_base_b.numbered_sgpr, 13
	.set _ZN9rocsparseL19gebsrmvn_1xn_kernelILj128ELj12ELj32E21rocsparse_complex_numIdEEEvi20rocsparse_direction_NS_24const_host_device_scalarIT2_EEPKiS8_PKS5_SA_S6_PS5_21rocsparse_index_base_b.num_named_barrier, 0
	.set _ZN9rocsparseL19gebsrmvn_1xn_kernelILj128ELj12ELj32E21rocsparse_complex_numIdEEEvi20rocsparse_direction_NS_24const_host_device_scalarIT2_EEPKiS8_PKS5_SA_S6_PS5_21rocsparse_index_base_b.private_seg_size, 0
	.set _ZN9rocsparseL19gebsrmvn_1xn_kernelILj128ELj12ELj32E21rocsparse_complex_numIdEEEvi20rocsparse_direction_NS_24const_host_device_scalarIT2_EEPKiS8_PKS5_SA_S6_PS5_21rocsparse_index_base_b.uses_vcc, 1
	.set _ZN9rocsparseL19gebsrmvn_1xn_kernelILj128ELj12ELj32E21rocsparse_complex_numIdEEEvi20rocsparse_direction_NS_24const_host_device_scalarIT2_EEPKiS8_PKS5_SA_S6_PS5_21rocsparse_index_base_b.uses_flat_scratch, 0
	.set _ZN9rocsparseL19gebsrmvn_1xn_kernelILj128ELj12ELj32E21rocsparse_complex_numIdEEEvi20rocsparse_direction_NS_24const_host_device_scalarIT2_EEPKiS8_PKS5_SA_S6_PS5_21rocsparse_index_base_b.has_dyn_sized_stack, 0
	.set _ZN9rocsparseL19gebsrmvn_1xn_kernelILj128ELj12ELj32E21rocsparse_complex_numIdEEEvi20rocsparse_direction_NS_24const_host_device_scalarIT2_EEPKiS8_PKS5_SA_S6_PS5_21rocsparse_index_base_b.has_recursion, 0
	.set _ZN9rocsparseL19gebsrmvn_1xn_kernelILj128ELj12ELj32E21rocsparse_complex_numIdEEEvi20rocsparse_direction_NS_24const_host_device_scalarIT2_EEPKiS8_PKS5_SA_S6_PS5_21rocsparse_index_base_b.has_indirect_call, 0
	.section	.AMDGPU.csdata,"",@progbits
; Kernel info:
; codeLenInByte = 1976
; TotalNumSgprs: 15
; NumVgprs: 71
; ScratchSize: 0
; MemoryBound: 1
; FloatMode: 240
; IeeeMode: 1
; LDSByteSize: 0 bytes/workgroup (compile time only)
; SGPRBlocks: 0
; VGPRBlocks: 8
; NumSGPRsForWavesPerEU: 15
; NumVGPRsForWavesPerEU: 71
; Occupancy: 12
; WaveLimiterHint : 1
; COMPUTE_PGM_RSRC2:SCRATCH_EN: 0
; COMPUTE_PGM_RSRC2:USER_SGPR: 6
; COMPUTE_PGM_RSRC2:TRAP_HANDLER: 0
; COMPUTE_PGM_RSRC2:TGID_X_EN: 1
; COMPUTE_PGM_RSRC2:TGID_Y_EN: 0
; COMPUTE_PGM_RSRC2:TGID_Z_EN: 0
; COMPUTE_PGM_RSRC2:TIDIG_COMP_CNT: 0
	.section	.text._ZN9rocsparseL19gebsrmvn_1xn_kernelILj128ELj12ELj64E21rocsparse_complex_numIdEEEvi20rocsparse_direction_NS_24const_host_device_scalarIT2_EEPKiS8_PKS5_SA_S6_PS5_21rocsparse_index_base_b,"axG",@progbits,_ZN9rocsparseL19gebsrmvn_1xn_kernelILj128ELj12ELj64E21rocsparse_complex_numIdEEEvi20rocsparse_direction_NS_24const_host_device_scalarIT2_EEPKiS8_PKS5_SA_S6_PS5_21rocsparse_index_base_b,comdat
	.globl	_ZN9rocsparseL19gebsrmvn_1xn_kernelILj128ELj12ELj64E21rocsparse_complex_numIdEEEvi20rocsparse_direction_NS_24const_host_device_scalarIT2_EEPKiS8_PKS5_SA_S6_PS5_21rocsparse_index_base_b ; -- Begin function _ZN9rocsparseL19gebsrmvn_1xn_kernelILj128ELj12ELj64E21rocsparse_complex_numIdEEEvi20rocsparse_direction_NS_24const_host_device_scalarIT2_EEPKiS8_PKS5_SA_S6_PS5_21rocsparse_index_base_b
	.p2align	8
	.type	_ZN9rocsparseL19gebsrmvn_1xn_kernelILj128ELj12ELj64E21rocsparse_complex_numIdEEEvi20rocsparse_direction_NS_24const_host_device_scalarIT2_EEPKiS8_PKS5_SA_S6_PS5_21rocsparse_index_base_b,@function
_ZN9rocsparseL19gebsrmvn_1xn_kernelILj128ELj12ELj64E21rocsparse_complex_numIdEEEvi20rocsparse_direction_NS_24const_host_device_scalarIT2_EEPKiS8_PKS5_SA_S6_PS5_21rocsparse_index_base_b: ; @_ZN9rocsparseL19gebsrmvn_1xn_kernelILj128ELj12ELj64E21rocsparse_complex_numIdEEEvi20rocsparse_direction_NS_24const_host_device_scalarIT2_EEPKiS8_PKS5_SA_S6_PS5_21rocsparse_index_base_b
; %bb.0:
	s_clause 0x1
	s_load_dwordx2 s[8:9], s[4:5], 0x50
	s_load_dwordx2 s[0:1], s[4:5], 0x8
	s_add_u32 s7, s4, 8
	s_addc_u32 s10, s5, 0
	s_add_u32 s11, s4, 56
	s_addc_u32 s12, s5, 0
	s_load_dwordx2 s[2:3], s[4:5], 0x38
	s_waitcnt lgkmcnt(0)
	s_bitcmp1_b32 s9, 0
	s_cselect_b32 s0, s7, s0
	s_cselect_b32 s1, s10, s1
	v_mov_b32_e32 v1, s0
	v_mov_b32_e32 v2, s1
	s_cselect_b32 s0, s11, s2
	s_cselect_b32 s1, s12, s3
	flat_load_dwordx4 v[5:8], v[1:2]
	v_mov_b32_e32 v1, s0
	v_mov_b32_e32 v2, s1
	flat_load_dwordx4 v[1:4], v[1:2]
	s_waitcnt vmcnt(1) lgkmcnt(1)
	v_cmp_eq_f64_e32 vcc_lo, 0, v[5:6]
	v_cmp_eq_f64_e64 s0, 0, v[7:8]
	s_and_b32 s2, vcc_lo, s0
	s_mov_b32 s0, -1
	s_and_saveexec_b32 s1, s2
	s_cbranch_execz .LBB282_2
; %bb.1:
	s_waitcnt vmcnt(0) lgkmcnt(0)
	v_cmp_neq_f64_e32 vcc_lo, 1.0, v[1:2]
	v_cmp_neq_f64_e64 s0, 0, v[3:4]
	s_or_b32 s0, vcc_lo, s0
	s_orn2_b32 s0, s0, exec_lo
.LBB282_2:
	s_or_b32 exec_lo, exec_lo, s1
	s_and_saveexec_b32 s1, s0
	s_cbranch_execz .LBB282_13
; %bb.3:
	s_load_dword s0, s[4:5], 0x0
	v_lshrrev_b32_e32 v9, 6, v0
	v_lshl_or_b32 v9, s6, 1, v9
	s_waitcnt lgkmcnt(0)
	v_cmp_gt_i32_e32 vcc_lo, s0, v9
	s_and_b32 exec_lo, exec_lo, vcc_lo
	s_cbranch_execz .LBB282_13
; %bb.4:
	s_clause 0x1
	s_load_dwordx2 s[0:1], s[4:5], 0x18
	s_load_dwordx2 s[6:7], s[4:5], 0x48
	v_ashrrev_i32_e32 v10, 31, v9
	v_and_b32_e32 v0, 63, v0
	v_mov_b32_e32 v16, 0
	v_mov_b32_e32 v18, 0
	;; [unrolled: 1-line block ×3, first 2 shown]
	v_lshlrev_b64 v[11:12], 2, v[9:10]
	v_subrev_nc_u32_e32 v13, s8, v0
	v_mov_b32_e32 v19, 0
	s_mov_b32 s9, exec_lo
	s_waitcnt lgkmcnt(0)
	v_add_co_u32 v11, vcc_lo, s0, v11
	v_add_co_ci_u32_e64 v12, null, s1, v12, vcc_lo
	global_load_dwordx2 v[11:12], v[11:12], off
	s_waitcnt vmcnt(0)
	v_subrev_nc_u32_e32 v20, s8, v12
	v_add_nc_u32_e32 v11, v11, v13
	v_cmpx_lt_i32_e64 v11, v20
	s_cbranch_execz .LBB282_8
; %bb.5:
	s_clause 0x1
	s_load_dwordx4 s[0:3], s[4:5], 0x20
	s_load_dwordx2 s[4:5], s[4:5], 0x30
	v_mad_u64_u32 v[13:14], null, v11, 12, 11
	v_mov_b32_e32 v16, 0
	v_mov_b32_e32 v18, 0
	;; [unrolled: 1-line block ×5, first 2 shown]
	s_mov_b32 s10, 0
.LBB282_6:                              ; =>This Inner Loop Header: Depth=1
	v_ashrrev_i32_e32 v12, 31, v11
	v_add_nc_u32_e32 v14, -11, v13
	v_mov_b32_e32 v62, v15
	v_lshlrev_b64 v[21:22], 2, v[11:12]
	v_add_nc_u32_e32 v11, 64, v11
	s_waitcnt lgkmcnt(0)
	v_add_co_u32 v21, vcc_lo, s0, v21
	v_add_co_ci_u32_e64 v22, null, s1, v22, vcc_lo
	global_load_dword v12, v[21:22], off
	v_lshlrev_b64 v[21:22], 4, v[14:15]
	v_add_nc_u32_e32 v14, -7, v13
	v_lshlrev_b64 v[23:24], 4, v[14:15]
	v_add_co_u32 v33, vcc_lo, s2, v21
	v_add_co_ci_u32_e64 v34, null, s3, v22, vcc_lo
	v_add_co_u32 v37, vcc_lo, s2, v23
	v_add_co_ci_u32_e64 v38, null, s3, v24, vcc_lo
	s_clause 0x4
	global_load_dwordx4 v[21:24], v[33:34], off offset:48
	global_load_dwordx4 v[25:28], v[33:34], off offset:32
	;; [unrolled: 1-line block ×3, first 2 shown]
	global_load_dwordx4 v[33:36], v[33:34], off
	global_load_dwordx4 v[37:40], v[37:38], off
	s_waitcnt vmcnt(5)
	v_subrev_nc_u32_e32 v12, s8, v12
	v_mul_lo_u32 v61, v12, 12
	v_lshlrev_b64 v[41:42], 4, v[61:62]
	v_add_nc_u32_e32 v14, 4, v61
	v_lshlrev_b64 v[57:58], 4, v[14:15]
	v_add_co_u32 v53, vcc_lo, s4, v41
	v_add_co_ci_u32_e64 v54, null, s5, v42, vcc_lo
	v_add_nc_u32_e32 v14, -6, v13
	v_add_co_u32 v64, vcc_lo, s4, v57
	s_clause 0x3
	global_load_dwordx4 v[41:44], v[53:54], off
	global_load_dwordx4 v[45:48], v[53:54], off offset:16
	global_load_dwordx4 v[49:52], v[53:54], off offset:32
	;; [unrolled: 1-line block ×3, first 2 shown]
	v_add_co_ci_u32_e64 v65, null, s5, v58, vcc_lo
	v_lshlrev_b64 v[62:63], 4, v[14:15]
	v_add_nc_u32_e32 v14, -5, v13
	global_load_dwordx4 v[57:60], v[64:65], off
	v_add_co_u32 v62, vcc_lo, s2, v62
	v_add_co_ci_u32_e64 v63, null, s3, v63, vcc_lo
	s_waitcnt vmcnt(4)
	v_fma_f64 v[18:19], v[33:34], v[41:42], v[18:19]
	v_fma_f64 v[16:17], v[35:36], v[41:42], v[16:17]
	v_fma_f64 v[41:42], -v[35:36], v[43:44], v[18:19]
	v_fma_f64 v[43:44], v[33:34], v[43:44], v[16:17]
	global_load_dwordx4 v[16:19], v[64:65], off offset:16
	global_load_dwordx4 v[33:36], v[62:63], off
	v_lshlrev_b64 v[62:63], 4, v[14:15]
	v_add_nc_u32_e32 v14, -4, v13
	v_add_co_u32 v62, vcc_lo, s2, v62
	v_add_co_ci_u32_e64 v63, null, s3, v63, vcc_lo
	s_waitcnt vmcnt(5)
	v_fma_f64 v[41:42], v[29:30], v[45:46], v[41:42]
	v_fma_f64 v[43:44], v[31:32], v[45:46], v[43:44]
	v_lshlrev_b64 v[45:46], 4, v[14:15]
	v_add_nc_u32_e32 v14, -3, v13
	v_fma_f64 v[66:67], -v[31:32], v[47:48], v[41:42]
	v_fma_f64 v[68:69], v[29:30], v[47:48], v[43:44]
	global_load_dwordx4 v[29:32], v[64:65], off offset:32
	global_load_dwordx4 v[41:44], v[62:63], off
	v_add_co_u32 v62, vcc_lo, s2, v45
	v_add_co_ci_u32_e64 v63, null, s3, v46, vcc_lo
	global_load_dwordx4 v[45:48], v[64:65], off offset:48
	s_waitcnt vmcnt(7)
	v_fma_f64 v[64:65], v[25:26], v[49:50], v[66:67]
	v_fma_f64 v[49:50], v[27:28], v[49:50], v[68:69]
	v_fma_f64 v[64:65], -v[27:28], v[51:52], v[64:65]
	v_fma_f64 v[66:67], v[25:26], v[51:52], v[49:50]
	global_load_dwordx4 v[25:28], v[62:63], off
	v_lshlrev_b64 v[49:50], 4, v[14:15]
	v_add_nc_u32_e32 v14, 8, v61
	v_lshlrev_b64 v[51:52], 4, v[14:15]
	v_add_co_u32 v49, vcc_lo, s2, v49
	v_add_co_ci_u32_e64 v50, null, s3, v50, vcc_lo
	v_add_nc_u32_e32 v14, -2, v13
	v_add_co_u32 v61, vcc_lo, s4, v51
	v_add_co_ci_u32_e64 v62, null, s5, v52, vcc_lo
	global_load_dwordx4 v[49:52], v[49:50], off
	s_waitcnt vmcnt(8)
	v_fma_f64 v[63:64], v[21:22], v[53:54], v[64:65]
	v_fma_f64 v[53:54], v[23:24], v[53:54], v[66:67]
	v_fma_f64 v[63:64], -v[23:24], v[55:56], v[63:64]
	v_fma_f64 v[65:66], v[21:22], v[55:56], v[53:54]
	global_load_dwordx4 v[21:24], v[61:62], off
	v_lshlrev_b64 v[53:54], 4, v[14:15]
	v_add_nc_u32_e32 v14, -1, v13
	v_add_co_u32 v67, vcc_lo, s2, v53
	v_add_co_ci_u32_e64 v68, null, s3, v54, vcc_lo
	global_load_dwordx4 v[53:56], v[61:62], off offset:16
	s_waitcnt vmcnt(9)
	v_fma_f64 v[63:64], v[37:38], v[57:58], v[63:64]
	v_fma_f64 v[57:58], v[39:40], v[57:58], v[65:66]
	v_fma_f64 v[63:64], -v[39:40], v[59:60], v[63:64]
	v_fma_f64 v[65:66], v[37:38], v[59:60], v[57:58]
	global_load_dwordx4 v[37:40], v[67:68], off
	v_lshlrev_b64 v[57:58], 4, v[14:15]
	v_mov_b32_e32 v14, v15
	v_add_co_u32 v67, vcc_lo, s2, v57
	v_add_co_ci_u32_e64 v68, null, s3, v58, vcc_lo
	global_load_dwordx4 v[57:60], v[61:62], off offset:32
	s_waitcnt vmcnt(9)
	v_fma_f64 v[63:64], v[33:34], v[16:17], v[63:64]
	v_fma_f64 v[16:17], v[35:36], v[16:17], v[65:66]
	v_fma_f64 v[65:66], -v[35:36], v[18:19], v[63:64]
	v_fma_f64 v[69:70], v[33:34], v[18:19], v[16:17]
	global_load_dwordx4 v[16:19], v[67:68], off
	v_lshlrev_b64 v[33:34], 4, v[13:14]
	v_add_nc_u32_e32 v13, 0x300, v13
	v_add_co_u32 v33, vcc_lo, s2, v33
	v_add_co_ci_u32_e64 v34, null, s3, v34, vcc_lo
	global_load_dwordx4 v[33:36], v[33:34], off
	global_load_dwordx4 v[61:64], v[61:62], off offset:48
	v_cmp_ge_i32_e32 vcc_lo, v11, v20
	s_or_b32 s10, vcc_lo, s10
	s_waitcnt vmcnt(10)
	v_fma_f64 v[65:66], v[41:42], v[29:30], v[65:66]
	v_fma_f64 v[29:30], v[43:44], v[29:30], v[69:70]
	v_fma_f64 v[43:44], -v[43:44], v[31:32], v[65:66]
	v_fma_f64 v[29:30], v[41:42], v[31:32], v[29:30]
	s_waitcnt vmcnt(8)
	v_fma_f64 v[31:32], v[25:26], v[45:46], v[43:44]
	v_fma_f64 v[29:30], v[27:28], v[45:46], v[29:30]
	v_fma_f64 v[27:28], -v[27:28], v[47:48], v[31:32]
	v_fma_f64 v[25:26], v[25:26], v[47:48], v[29:30]
	;; [unrolled: 5-line block ×6, first 2 shown]
	s_andn2_b32 exec_lo, exec_lo, s10
	s_cbranch_execnz .LBB282_6
; %bb.7:
	s_or_b32 exec_lo, exec_lo, s10
.LBB282_8:
	s_or_b32 exec_lo, exec_lo, s9
	v_mbcnt_lo_u32_b32 v20, -1, 0
	v_or_b32_e32 v11, 32, v20
	v_xor_b32_e32 v15, 16, v20
	v_cmp_gt_i32_e32 vcc_lo, 32, v11
	v_cndmask_b32_e32 v11, v20, v11, vcc_lo
	v_cmp_gt_i32_e32 vcc_lo, 32, v15
	v_lshlrev_b32_e32 v14, 2, v11
	v_cndmask_b32_e32 v15, v20, v15, vcc_lo
	ds_bpermute_b32 v11, v14, v18
	ds_bpermute_b32 v12, v14, v19
	;; [unrolled: 1-line block ×4, first 2 shown]
	s_waitcnt lgkmcnt(2)
	v_add_f64 v[11:12], v[18:19], v[11:12]
	v_lshlrev_b32_e32 v18, 2, v15
	s_waitcnt lgkmcnt(0)
	v_add_f64 v[13:14], v[16:17], v[13:14]
	ds_bpermute_b32 v15, v18, v11
	ds_bpermute_b32 v16, v18, v12
	ds_bpermute_b32 v17, v18, v13
	ds_bpermute_b32 v18, v18, v14
	s_waitcnt lgkmcnt(2)
	v_add_f64 v[11:12], v[11:12], v[15:16]
	v_xor_b32_e32 v15, 8, v20
	s_waitcnt lgkmcnt(0)
	v_add_f64 v[13:14], v[13:14], v[17:18]
	v_cmp_gt_i32_e32 vcc_lo, 32, v15
	v_cndmask_b32_e32 v15, v20, v15, vcc_lo
	v_lshlrev_b32_e32 v18, 2, v15
	ds_bpermute_b32 v15, v18, v11
	ds_bpermute_b32 v16, v18, v12
	ds_bpermute_b32 v17, v18, v13
	ds_bpermute_b32 v18, v18, v14
	s_waitcnt lgkmcnt(2)
	v_add_f64 v[11:12], v[11:12], v[15:16]
	v_xor_b32_e32 v15, 4, v20
	s_waitcnt lgkmcnt(0)
	v_add_f64 v[13:14], v[13:14], v[17:18]
	v_cmp_gt_i32_e32 vcc_lo, 32, v15
	v_cndmask_b32_e32 v15, v20, v15, vcc_lo
	v_lshlrev_b32_e32 v18, 2, v15
	;; [unrolled: 12-line block ×3, first 2 shown]
	ds_bpermute_b32 v15, v18, v11
	ds_bpermute_b32 v16, v18, v12
	;; [unrolled: 1-line block ×4, first 2 shown]
	s_waitcnt lgkmcnt(2)
	v_add_f64 v[11:12], v[11:12], v[15:16]
	v_xor_b32_e32 v15, 1, v20
	s_waitcnt lgkmcnt(0)
	v_add_f64 v[13:14], v[13:14], v[17:18]
	v_cmp_gt_i32_e32 vcc_lo, 32, v15
	v_cndmask_b32_e32 v15, v20, v15, vcc_lo
	v_cmp_eq_u32_e32 vcc_lo, 63, v0
	v_lshlrev_b32_e32 v18, 2, v15
	ds_bpermute_b32 v15, v18, v11
	ds_bpermute_b32 v16, v18, v12
	;; [unrolled: 1-line block ×4, first 2 shown]
	s_and_b32 exec_lo, exec_lo, vcc_lo
	s_cbranch_execz .LBB282_13
; %bb.9:
	s_waitcnt lgkmcnt(0)
	v_add_f64 v[13:14], v[13:14], v[17:18]
	v_add_f64 v[11:12], v[11:12], v[15:16]
	v_cmp_eq_f64_e32 vcc_lo, 0, v[1:2]
	v_cmp_eq_f64_e64 s0, 0, v[3:4]
	v_lshlrev_b64 v[9:10], 4, v[9:10]
	v_mul_f64 v[15:16], v[13:14], -v[7:8]
	v_mul_f64 v[13:14], v[5:6], v[13:14]
	s_and_b32 s0, vcc_lo, s0
	v_fma_f64 v[5:6], v[5:6], v[11:12], v[15:16]
	v_fma_f64 v[7:8], v[7:8], v[11:12], v[13:14]
	s_and_saveexec_b32 s1, s0
	s_xor_b32 s0, exec_lo, s1
	s_cbranch_execz .LBB282_11
; %bb.10:
	v_add_co_u32 v0, vcc_lo, s6, v9
	v_add_co_ci_u32_e64 v1, null, s7, v10, vcc_lo
                                        ; implicit-def: $vgpr9_vgpr10
	global_store_dwordx4 v[0:1], v[5:8], off
                                        ; implicit-def: $vgpr1_vgpr2
                                        ; implicit-def: $vgpr5_vgpr6
.LBB282_11:
	s_andn2_saveexec_b32 s0, s0
	s_cbranch_execz .LBB282_13
; %bb.12:
	v_add_co_u32 v13, vcc_lo, s6, v9
	v_add_co_ci_u32_e64 v14, null, s7, v10, vcc_lo
	global_load_dwordx4 v[9:12], v[13:14], off
	s_waitcnt vmcnt(0)
	v_fma_f64 v[5:6], v[1:2], v[9:10], v[5:6]
	v_fma_f64 v[7:8], v[3:4], v[9:10], v[7:8]
	v_fma_f64 v[3:4], -v[3:4], v[11:12], v[5:6]
	v_fma_f64 v[5:6], v[1:2], v[11:12], v[7:8]
	global_store_dwordx4 v[13:14], v[3:6], off
.LBB282_13:
	s_endpgm
	.section	.rodata,"a",@progbits
	.p2align	6, 0x0
	.amdhsa_kernel _ZN9rocsparseL19gebsrmvn_1xn_kernelILj128ELj12ELj64E21rocsparse_complex_numIdEEEvi20rocsparse_direction_NS_24const_host_device_scalarIT2_EEPKiS8_PKS5_SA_S6_PS5_21rocsparse_index_base_b
		.amdhsa_group_segment_fixed_size 0
		.amdhsa_private_segment_fixed_size 0
		.amdhsa_kernarg_size 88
		.amdhsa_user_sgpr_count 6
		.amdhsa_user_sgpr_private_segment_buffer 1
		.amdhsa_user_sgpr_dispatch_ptr 0
		.amdhsa_user_sgpr_queue_ptr 0
		.amdhsa_user_sgpr_kernarg_segment_ptr 1
		.amdhsa_user_sgpr_dispatch_id 0
		.amdhsa_user_sgpr_flat_scratch_init 0
		.amdhsa_user_sgpr_private_segment_size 0
		.amdhsa_wavefront_size32 1
		.amdhsa_uses_dynamic_stack 0
		.amdhsa_system_sgpr_private_segment_wavefront_offset 0
		.amdhsa_system_sgpr_workgroup_id_x 1
		.amdhsa_system_sgpr_workgroup_id_y 0
		.amdhsa_system_sgpr_workgroup_id_z 0
		.amdhsa_system_sgpr_workgroup_info 0
		.amdhsa_system_vgpr_workitem_id 0
		.amdhsa_next_free_vgpr 71
		.amdhsa_next_free_sgpr 13
		.amdhsa_reserve_vcc 1
		.amdhsa_reserve_flat_scratch 0
		.amdhsa_float_round_mode_32 0
		.amdhsa_float_round_mode_16_64 0
		.amdhsa_float_denorm_mode_32 3
		.amdhsa_float_denorm_mode_16_64 3
		.amdhsa_dx10_clamp 1
		.amdhsa_ieee_mode 1
		.amdhsa_fp16_overflow 0
		.amdhsa_workgroup_processor_mode 1
		.amdhsa_memory_ordered 1
		.amdhsa_forward_progress 1
		.amdhsa_shared_vgpr_count 0
		.amdhsa_exception_fp_ieee_invalid_op 0
		.amdhsa_exception_fp_denorm_src 0
		.amdhsa_exception_fp_ieee_div_zero 0
		.amdhsa_exception_fp_ieee_overflow 0
		.amdhsa_exception_fp_ieee_underflow 0
		.amdhsa_exception_fp_ieee_inexact 0
		.amdhsa_exception_int_div_zero 0
	.end_amdhsa_kernel
	.section	.text._ZN9rocsparseL19gebsrmvn_1xn_kernelILj128ELj12ELj64E21rocsparse_complex_numIdEEEvi20rocsparse_direction_NS_24const_host_device_scalarIT2_EEPKiS8_PKS5_SA_S6_PS5_21rocsparse_index_base_b,"axG",@progbits,_ZN9rocsparseL19gebsrmvn_1xn_kernelILj128ELj12ELj64E21rocsparse_complex_numIdEEEvi20rocsparse_direction_NS_24const_host_device_scalarIT2_EEPKiS8_PKS5_SA_S6_PS5_21rocsparse_index_base_b,comdat
.Lfunc_end282:
	.size	_ZN9rocsparseL19gebsrmvn_1xn_kernelILj128ELj12ELj64E21rocsparse_complex_numIdEEEvi20rocsparse_direction_NS_24const_host_device_scalarIT2_EEPKiS8_PKS5_SA_S6_PS5_21rocsparse_index_base_b, .Lfunc_end282-_ZN9rocsparseL19gebsrmvn_1xn_kernelILj128ELj12ELj64E21rocsparse_complex_numIdEEEvi20rocsparse_direction_NS_24const_host_device_scalarIT2_EEPKiS8_PKS5_SA_S6_PS5_21rocsparse_index_base_b
                                        ; -- End function
	.set _ZN9rocsparseL19gebsrmvn_1xn_kernelILj128ELj12ELj64E21rocsparse_complex_numIdEEEvi20rocsparse_direction_NS_24const_host_device_scalarIT2_EEPKiS8_PKS5_SA_S6_PS5_21rocsparse_index_base_b.num_vgpr, 71
	.set _ZN9rocsparseL19gebsrmvn_1xn_kernelILj128ELj12ELj64E21rocsparse_complex_numIdEEEvi20rocsparse_direction_NS_24const_host_device_scalarIT2_EEPKiS8_PKS5_SA_S6_PS5_21rocsparse_index_base_b.num_agpr, 0
	.set _ZN9rocsparseL19gebsrmvn_1xn_kernelILj128ELj12ELj64E21rocsparse_complex_numIdEEEvi20rocsparse_direction_NS_24const_host_device_scalarIT2_EEPKiS8_PKS5_SA_S6_PS5_21rocsparse_index_base_b.numbered_sgpr, 13
	.set _ZN9rocsparseL19gebsrmvn_1xn_kernelILj128ELj12ELj64E21rocsparse_complex_numIdEEEvi20rocsparse_direction_NS_24const_host_device_scalarIT2_EEPKiS8_PKS5_SA_S6_PS5_21rocsparse_index_base_b.num_named_barrier, 0
	.set _ZN9rocsparseL19gebsrmvn_1xn_kernelILj128ELj12ELj64E21rocsparse_complex_numIdEEEvi20rocsparse_direction_NS_24const_host_device_scalarIT2_EEPKiS8_PKS5_SA_S6_PS5_21rocsparse_index_base_b.private_seg_size, 0
	.set _ZN9rocsparseL19gebsrmvn_1xn_kernelILj128ELj12ELj64E21rocsparse_complex_numIdEEEvi20rocsparse_direction_NS_24const_host_device_scalarIT2_EEPKiS8_PKS5_SA_S6_PS5_21rocsparse_index_base_b.uses_vcc, 1
	.set _ZN9rocsparseL19gebsrmvn_1xn_kernelILj128ELj12ELj64E21rocsparse_complex_numIdEEEvi20rocsparse_direction_NS_24const_host_device_scalarIT2_EEPKiS8_PKS5_SA_S6_PS5_21rocsparse_index_base_b.uses_flat_scratch, 0
	.set _ZN9rocsparseL19gebsrmvn_1xn_kernelILj128ELj12ELj64E21rocsparse_complex_numIdEEEvi20rocsparse_direction_NS_24const_host_device_scalarIT2_EEPKiS8_PKS5_SA_S6_PS5_21rocsparse_index_base_b.has_dyn_sized_stack, 0
	.set _ZN9rocsparseL19gebsrmvn_1xn_kernelILj128ELj12ELj64E21rocsparse_complex_numIdEEEvi20rocsparse_direction_NS_24const_host_device_scalarIT2_EEPKiS8_PKS5_SA_S6_PS5_21rocsparse_index_base_b.has_recursion, 0
	.set _ZN9rocsparseL19gebsrmvn_1xn_kernelILj128ELj12ELj64E21rocsparse_complex_numIdEEEvi20rocsparse_direction_NS_24const_host_device_scalarIT2_EEPKiS8_PKS5_SA_S6_PS5_21rocsparse_index_base_b.has_indirect_call, 0
	.section	.AMDGPU.csdata,"",@progbits
; Kernel info:
; codeLenInByte = 2048
; TotalNumSgprs: 15
; NumVgprs: 71
; ScratchSize: 0
; MemoryBound: 1
; FloatMode: 240
; IeeeMode: 1
; LDSByteSize: 0 bytes/workgroup (compile time only)
; SGPRBlocks: 0
; VGPRBlocks: 8
; NumSGPRsForWavesPerEU: 15
; NumVGPRsForWavesPerEU: 71
; Occupancy: 12
; WaveLimiterHint : 1
; COMPUTE_PGM_RSRC2:SCRATCH_EN: 0
; COMPUTE_PGM_RSRC2:USER_SGPR: 6
; COMPUTE_PGM_RSRC2:TRAP_HANDLER: 0
; COMPUTE_PGM_RSRC2:TGID_X_EN: 1
; COMPUTE_PGM_RSRC2:TGID_Y_EN: 0
; COMPUTE_PGM_RSRC2:TGID_Z_EN: 0
; COMPUTE_PGM_RSRC2:TIDIG_COMP_CNT: 0
	.section	.text._ZN9rocsparseL19gebsrmvn_1xn_kernelILj128ELj13ELj4E21rocsparse_complex_numIdEEEvi20rocsparse_direction_NS_24const_host_device_scalarIT2_EEPKiS8_PKS5_SA_S6_PS5_21rocsparse_index_base_b,"axG",@progbits,_ZN9rocsparseL19gebsrmvn_1xn_kernelILj128ELj13ELj4E21rocsparse_complex_numIdEEEvi20rocsparse_direction_NS_24const_host_device_scalarIT2_EEPKiS8_PKS5_SA_S6_PS5_21rocsparse_index_base_b,comdat
	.globl	_ZN9rocsparseL19gebsrmvn_1xn_kernelILj128ELj13ELj4E21rocsparse_complex_numIdEEEvi20rocsparse_direction_NS_24const_host_device_scalarIT2_EEPKiS8_PKS5_SA_S6_PS5_21rocsparse_index_base_b ; -- Begin function _ZN9rocsparseL19gebsrmvn_1xn_kernelILj128ELj13ELj4E21rocsparse_complex_numIdEEEvi20rocsparse_direction_NS_24const_host_device_scalarIT2_EEPKiS8_PKS5_SA_S6_PS5_21rocsparse_index_base_b
	.p2align	8
	.type	_ZN9rocsparseL19gebsrmvn_1xn_kernelILj128ELj13ELj4E21rocsparse_complex_numIdEEEvi20rocsparse_direction_NS_24const_host_device_scalarIT2_EEPKiS8_PKS5_SA_S6_PS5_21rocsparse_index_base_b,@function
_ZN9rocsparseL19gebsrmvn_1xn_kernelILj128ELj13ELj4E21rocsparse_complex_numIdEEEvi20rocsparse_direction_NS_24const_host_device_scalarIT2_EEPKiS8_PKS5_SA_S6_PS5_21rocsparse_index_base_b: ; @_ZN9rocsparseL19gebsrmvn_1xn_kernelILj128ELj13ELj4E21rocsparse_complex_numIdEEEvi20rocsparse_direction_NS_24const_host_device_scalarIT2_EEPKiS8_PKS5_SA_S6_PS5_21rocsparse_index_base_b
; %bb.0:
	s_clause 0x1
	s_load_dwordx2 s[8:9], s[4:5], 0x50
	s_load_dwordx2 s[0:1], s[4:5], 0x8
	s_add_u32 s7, s4, 8
	s_addc_u32 s10, s5, 0
	s_add_u32 s11, s4, 56
	s_addc_u32 s12, s5, 0
	s_load_dwordx2 s[2:3], s[4:5], 0x38
	s_waitcnt lgkmcnt(0)
	s_bitcmp1_b32 s9, 0
	s_cselect_b32 s0, s7, s0
	s_cselect_b32 s1, s10, s1
	v_mov_b32_e32 v1, s0
	v_mov_b32_e32 v2, s1
	s_cselect_b32 s0, s11, s2
	s_cselect_b32 s1, s12, s3
	flat_load_dwordx4 v[5:8], v[1:2]
	v_mov_b32_e32 v1, s0
	v_mov_b32_e32 v2, s1
	flat_load_dwordx4 v[1:4], v[1:2]
	s_waitcnt vmcnt(1) lgkmcnt(1)
	v_cmp_eq_f64_e32 vcc_lo, 0, v[5:6]
	v_cmp_eq_f64_e64 s0, 0, v[7:8]
	s_and_b32 s2, vcc_lo, s0
	s_mov_b32 s0, -1
	s_and_saveexec_b32 s1, s2
	s_cbranch_execz .LBB283_2
; %bb.1:
	s_waitcnt vmcnt(0) lgkmcnt(0)
	v_cmp_neq_f64_e32 vcc_lo, 1.0, v[1:2]
	v_cmp_neq_f64_e64 s0, 0, v[3:4]
	s_or_b32 s0, vcc_lo, s0
	s_orn2_b32 s0, s0, exec_lo
.LBB283_2:
	s_or_b32 exec_lo, exec_lo, s1
	s_and_saveexec_b32 s1, s0
	s_cbranch_execz .LBB283_13
; %bb.3:
	s_load_dword s0, s[4:5], 0x0
	v_lshrrev_b32_e32 v9, 2, v0
	v_lshl_or_b32 v9, s6, 5, v9
	s_waitcnt lgkmcnt(0)
	v_cmp_gt_i32_e32 vcc_lo, s0, v9
	s_and_b32 exec_lo, exec_lo, vcc_lo
	s_cbranch_execz .LBB283_13
; %bb.4:
	s_clause 0x1
	s_load_dwordx2 s[0:1], s[4:5], 0x18
	s_load_dwordx2 s[6:7], s[4:5], 0x48
	v_ashrrev_i32_e32 v10, 31, v9
	v_and_b32_e32 v0, 3, v0
	v_mov_b32_e32 v18, 0
	v_mov_b32_e32 v20, 0
	;; [unrolled: 1-line block ×3, first 2 shown]
	v_lshlrev_b64 v[11:12], 2, v[9:10]
	v_subrev_nc_u32_e32 v13, s8, v0
	v_mov_b32_e32 v21, 0
	s_mov_b32 s9, exec_lo
	s_waitcnt lgkmcnt(0)
	v_add_co_u32 v11, vcc_lo, s0, v11
	v_add_co_ci_u32_e64 v12, null, s1, v12, vcc_lo
	global_load_dwordx2 v[11:12], v[11:12], off
	s_waitcnt vmcnt(0)
	v_subrev_nc_u32_e32 v22, s8, v12
	v_add_nc_u32_e32 v11, v11, v13
	v_cmpx_lt_i32_e64 v11, v22
	s_cbranch_execz .LBB283_8
; %bb.5:
	s_clause 0x1
	s_load_dwordx4 s[0:3], s[4:5], 0x20
	s_load_dwordx2 s[4:5], s[4:5], 0x30
	v_mad_u64_u32 v[13:14], null, v11, 13, 12
	v_mov_b32_e32 v18, 0
	v_mov_b32_e32 v20, 0
	;; [unrolled: 1-line block ×5, first 2 shown]
	s_mov_b32 s10, 0
.LBB283_6:                              ; =>This Inner Loop Header: Depth=1
	v_ashrrev_i32_e32 v12, 31, v11
	v_add_nc_u32_e32 v14, -12, v13
	v_lshlrev_b64 v[16:17], 2, v[11:12]
	v_lshlrev_b64 v[23:24], 4, v[14:15]
	v_add_nc_u32_e32 v14, -11, v13
	v_add_nc_u32_e32 v11, 4, v11
	s_waitcnt lgkmcnt(0)
	v_add_co_u32 v16, vcc_lo, s0, v16
	v_add_co_ci_u32_e64 v17, null, s1, v17, vcc_lo
	v_lshlrev_b64 v[25:26], 4, v[14:15]
	v_add_co_u32 v23, vcc_lo, s2, v23
	global_load_dword v12, v[16:17], off
	v_mov_b32_e32 v17, v15
	v_add_co_ci_u32_e64 v24, null, s3, v24, vcc_lo
	v_add_co_u32 v27, vcc_lo, s2, v25
	v_add_co_ci_u32_e64 v28, null, s3, v26, vcc_lo
	s_clause 0x1
	global_load_dwordx4 v[23:26], v[23:24], off
	global_load_dwordx4 v[27:30], v[27:28], off
	s_waitcnt vmcnt(2)
	v_subrev_nc_u32_e32 v12, s8, v12
	v_mul_lo_u32 v16, v12, 13
	v_lshlrev_b64 v[31:32], 4, v[16:17]
	v_add_nc_u32_e32 v14, 1, v16
	v_lshlrev_b64 v[35:36], 4, v[14:15]
	v_add_co_u32 v31, vcc_lo, s4, v31
	v_add_co_ci_u32_e64 v32, null, s5, v32, vcc_lo
	v_add_nc_u32_e32 v14, -10, v13
	v_add_co_u32 v35, vcc_lo, s4, v35
	global_load_dwordx4 v[31:34], v[31:32], off
	v_add_co_ci_u32_e64 v36, null, s5, v36, vcc_lo
	v_lshlrev_b64 v[39:40], 4, v[14:15]
	v_add_nc_u32_e32 v14, 2, v16
	global_load_dwordx4 v[35:38], v[35:36], off
	v_lshlrev_b64 v[41:42], 4, v[14:15]
	v_add_co_u32 v39, vcc_lo, s2, v39
	v_add_co_ci_u32_e64 v40, null, s3, v40, vcc_lo
	v_add_nc_u32_e32 v14, -9, v13
	v_add_co_u32 v43, vcc_lo, s4, v41
	v_add_co_ci_u32_e64 v44, null, s5, v42, vcc_lo
	global_load_dwordx4 v[39:42], v[39:40], off
	v_lshlrev_b64 v[47:48], 4, v[14:15]
	v_add_nc_u32_e32 v14, 3, v16
	global_load_dwordx4 v[43:46], v[43:44], off
	v_lshlrev_b64 v[49:50], 4, v[14:15]
	v_add_co_u32 v47, vcc_lo, s2, v47
	v_add_co_ci_u32_e64 v48, null, s3, v48, vcc_lo
	v_add_nc_u32_e32 v14, -8, v13
	v_add_co_u32 v51, vcc_lo, s4, v49
	v_add_co_ci_u32_e64 v52, null, s5, v50, vcc_lo
	global_load_dwordx4 v[47:50], v[47:48], off
	;; [unrolled: 10-line block ×3, first 2 shown]
	v_lshlrev_b64 v[63:64], 4, v[14:15]
	v_add_nc_u32_e32 v14, 5, v16
	global_load_dwordx4 v[59:62], v[59:60], off
	v_lshlrev_b64 v[65:66], 4, v[14:15]
	v_add_co_u32 v63, vcc_lo, s2, v63
	v_add_co_ci_u32_e64 v64, null, s3, v64, vcc_lo
	v_add_nc_u32_e32 v14, -6, v13
	v_add_co_u32 v65, vcc_lo, s4, v65
	v_add_co_ci_u32_e64 v66, null, s5, v66, vcc_lo
	v_lshlrev_b64 v[67:68], 4, v[14:15]
	v_add_nc_u32_e32 v14, 6, v16
	s_waitcnt vmcnt(7)
	v_fma_f64 v[20:21], v[23:24], v[31:32], v[20:21]
	v_fma_f64 v[17:18], v[25:26], v[31:32], v[18:19]
	v_fma_f64 v[31:32], -v[25:26], v[33:34], v[20:21]
	v_fma_f64 v[33:34], v[23:24], v[33:34], v[17:18]
	global_load_dwordx4 v[17:20], v[63:64], off
	global_load_dwordx4 v[23:26], v[65:66], off
	v_lshlrev_b64 v[63:64], 4, v[14:15]
	v_add_co_u32 v65, vcc_lo, s2, v67
	v_add_co_ci_u32_e64 v66, null, s3, v68, vcc_lo
	v_add_nc_u32_e32 v14, -5, v13
	v_add_co_u32 v63, vcc_lo, s4, v63
	v_add_co_ci_u32_e64 v64, null, s5, v64, vcc_lo
	v_lshlrev_b64 v[67:68], 4, v[14:15]
	v_add_nc_u32_e32 v14, 7, v16
	s_waitcnt vmcnt(8)
	v_fma_f64 v[31:32], v[27:28], v[35:36], v[31:32]
	v_fma_f64 v[33:34], v[29:30], v[35:36], v[33:34]
	v_fma_f64 v[35:36], -v[29:30], v[37:38], v[31:32]
	v_fma_f64 v[37:38], v[27:28], v[37:38], v[33:34]
	global_load_dwordx4 v[27:30], v[65:66], off
	;; [unrolled: 15-line block ×3, first 2 shown]
	global_load_dwordx4 v[39:42], v[63:64], off
	v_lshlrev_b64 v[63:64], 4, v[14:15]
	v_add_co_u32 v65, vcc_lo, s2, v67
	v_add_co_ci_u32_e64 v66, null, s3, v68, vcc_lo
	v_add_nc_u32_e32 v14, -3, v13
	v_add_co_u32 v63, vcc_lo, s4, v63
	v_add_co_ci_u32_e64 v64, null, s5, v64, vcc_lo
	v_lshlrev_b64 v[67:68], 4, v[14:15]
	v_add_nc_u32_e32 v14, 9, v16
	s_waitcnt vmcnt(8)
	v_fma_f64 v[43:44], v[47:48], v[51:52], v[43:44]
	v_fma_f64 v[45:46], v[49:50], v[51:52], v[45:46]
	v_lshlrev_b64 v[51:52], 4, v[14:15]
	v_add_nc_u32_e32 v14, -2, v13
	v_fma_f64 v[69:70], -v[49:50], v[53:54], v[43:44]
	v_fma_f64 v[71:72], v[47:48], v[53:54], v[45:46]
	global_load_dwordx4 v[43:46], v[65:66], off
	global_load_dwordx4 v[47:50], v[63:64], off
	v_add_co_u32 v53, vcc_lo, s2, v67
	v_add_co_ci_u32_e64 v54, null, s3, v68, vcc_lo
	v_add_co_u32 v63, vcc_lo, s4, v51
	v_add_co_ci_u32_e64 v64, null, s5, v52, vcc_lo
	global_load_dwordx4 v[51:54], v[53:54], off
	s_waitcnt vmcnt(9)
	v_fma_f64 v[65:66], v[55:56], v[59:60], v[69:70]
	v_fma_f64 v[59:60], v[57:58], v[59:60], v[71:72]
	v_fma_f64 v[65:66], -v[57:58], v[61:62], v[65:66]
	v_fma_f64 v[67:68], v[55:56], v[61:62], v[59:60]
	global_load_dwordx4 v[55:58], v[63:64], off
	v_lshlrev_b64 v[59:60], 4, v[14:15]
	v_add_nc_u32_e32 v14, 10, v16
	v_lshlrev_b64 v[61:62], 4, v[14:15]
	v_add_co_u32 v59, vcc_lo, s2, v59
	v_add_co_ci_u32_e64 v60, null, s3, v60, vcc_lo
	v_add_nc_u32_e32 v14, -1, v13
	v_add_co_u32 v63, vcc_lo, s4, v61
	v_add_co_ci_u32_e64 v64, null, s5, v62, vcc_lo
	global_load_dwordx4 v[59:62], v[59:60], off
	s_waitcnt vmcnt(9)
	v_fma_f64 v[65:66], v[17:18], v[23:24], v[65:66]
	v_fma_f64 v[23:24], v[19:20], v[23:24], v[67:68]
	v_fma_f64 v[65:66], -v[19:20], v[25:26], v[65:66]
	v_fma_f64 v[67:68], v[17:18], v[25:26], v[23:24]
	global_load_dwordx4 v[17:20], v[63:64], off
	v_lshlrev_b64 v[23:24], 4, v[14:15]
	v_add_nc_u32_e32 v14, 11, v16
	v_lshlrev_b64 v[25:26], 4, v[14:15]
	v_add_co_u32 v23, vcc_lo, s2, v23
	v_add_co_ci_u32_e64 v24, null, s3, v24, vcc_lo
	v_mov_b32_e32 v14, v15
	v_add_co_u32 v63, vcc_lo, s4, v25
	v_add_co_ci_u32_e64 v64, null, s5, v26, vcc_lo
	global_load_dwordx4 v[23:26], v[23:24], off
	s_waitcnt vmcnt(9)
	v_fma_f64 v[65:66], v[27:28], v[31:32], v[65:66]
	v_fma_f64 v[31:32], v[29:30], v[31:32], v[67:68]
	v_fma_f64 v[67:68], -v[29:30], v[33:34], v[65:66]
	v_fma_f64 v[69:70], v[27:28], v[33:34], v[31:32]
	global_load_dwordx4 v[27:30], v[63:64], off
	v_lshlrev_b64 v[31:32], 4, v[13:14]
	v_add_nc_u32_e32 v14, 12, v16
	v_add_nc_u32_e32 v13, 52, v13
	v_lshlrev_b64 v[33:34], 4, v[14:15]
	v_add_co_u32 v31, vcc_lo, s2, v31
	v_add_co_ci_u32_e64 v32, null, s3, v32, vcc_lo
	v_add_co_u32 v63, vcc_lo, s4, v33
	v_add_co_ci_u32_e64 v64, null, s5, v34, vcc_lo
	global_load_dwordx4 v[31:34], v[31:32], off
	global_load_dwordx4 v[63:66], v[63:64], off
	s_waitcnt vmcnt(10)
	v_fma_f64 v[67:68], v[35:36], v[39:40], v[67:68]
	v_fma_f64 v[39:40], v[37:38], v[39:40], v[69:70]
	v_cmp_ge_i32_e32 vcc_lo, v11, v22
	s_or_b32 s10, vcc_lo, s10
	v_fma_f64 v[37:38], -v[37:38], v[41:42], v[67:68]
	v_fma_f64 v[35:36], v[35:36], v[41:42], v[39:40]
	s_waitcnt vmcnt(8)
	v_fma_f64 v[37:38], v[43:44], v[47:48], v[37:38]
	v_fma_f64 v[35:36], v[45:46], v[47:48], v[35:36]
	v_fma_f64 v[37:38], -v[45:46], v[49:50], v[37:38]
	v_fma_f64 v[35:36], v[43:44], v[49:50], v[35:36]
	s_waitcnt vmcnt(6)
	v_fma_f64 v[37:38], v[51:52], v[55:56], v[37:38]
	v_fma_f64 v[35:36], v[53:54], v[55:56], v[35:36]
	;; [unrolled: 5-line block ×5, first 2 shown]
	v_fma_f64 v[20:21], -v[33:34], v[65:66], v[18:19]
	v_fma_f64 v[18:19], v[31:32], v[65:66], v[16:17]
	s_andn2_b32 exec_lo, exec_lo, s10
	s_cbranch_execnz .LBB283_6
; %bb.7:
	s_or_b32 exec_lo, exec_lo, s10
.LBB283_8:
	s_or_b32 exec_lo, exec_lo, s9
	v_mbcnt_lo_u32_b32 v15, -1, 0
	v_xor_b32_e32 v11, 2, v15
	v_xor_b32_e32 v16, 1, v15
	v_cmp_gt_i32_e32 vcc_lo, 32, v11
	v_cndmask_b32_e32 v11, v15, v11, vcc_lo
	v_cmp_gt_i32_e32 vcc_lo, 32, v16
	v_lshlrev_b32_e32 v14, 2, v11
	v_cndmask_b32_e32 v15, v15, v16, vcc_lo
	v_cmp_eq_u32_e32 vcc_lo, 3, v0
	ds_bpermute_b32 v11, v14, v20
	ds_bpermute_b32 v12, v14, v21
	;; [unrolled: 1-line block ×4, first 2 shown]
	s_waitcnt lgkmcnt(2)
	v_add_f64 v[11:12], v[20:21], v[11:12]
	s_waitcnt lgkmcnt(0)
	v_add_f64 v[13:14], v[18:19], v[13:14]
	v_lshlrev_b32_e32 v18, 2, v15
	ds_bpermute_b32 v15, v18, v11
	ds_bpermute_b32 v16, v18, v12
	;; [unrolled: 1-line block ×4, first 2 shown]
	s_and_b32 exec_lo, exec_lo, vcc_lo
	s_cbranch_execz .LBB283_13
; %bb.9:
	s_waitcnt lgkmcnt(0)
	v_add_f64 v[13:14], v[13:14], v[17:18]
	v_add_f64 v[11:12], v[11:12], v[15:16]
	v_cmp_eq_f64_e32 vcc_lo, 0, v[1:2]
	v_cmp_eq_f64_e64 s0, 0, v[3:4]
	v_lshlrev_b64 v[9:10], 4, v[9:10]
	v_mul_f64 v[15:16], v[13:14], -v[7:8]
	v_mul_f64 v[13:14], v[5:6], v[13:14]
	s_and_b32 s0, vcc_lo, s0
	v_fma_f64 v[5:6], v[5:6], v[11:12], v[15:16]
	v_fma_f64 v[7:8], v[7:8], v[11:12], v[13:14]
	s_and_saveexec_b32 s1, s0
	s_xor_b32 s0, exec_lo, s1
	s_cbranch_execz .LBB283_11
; %bb.10:
	v_add_co_u32 v0, vcc_lo, s6, v9
	v_add_co_ci_u32_e64 v1, null, s7, v10, vcc_lo
                                        ; implicit-def: $vgpr9_vgpr10
	global_store_dwordx4 v[0:1], v[5:8], off
                                        ; implicit-def: $vgpr1_vgpr2
                                        ; implicit-def: $vgpr5_vgpr6
.LBB283_11:
	s_andn2_saveexec_b32 s0, s0
	s_cbranch_execz .LBB283_13
; %bb.12:
	v_add_co_u32 v13, vcc_lo, s6, v9
	v_add_co_ci_u32_e64 v14, null, s7, v10, vcc_lo
	global_load_dwordx4 v[9:12], v[13:14], off
	s_waitcnt vmcnt(0)
	v_fma_f64 v[5:6], v[1:2], v[9:10], v[5:6]
	v_fma_f64 v[7:8], v[3:4], v[9:10], v[7:8]
	v_fma_f64 v[3:4], -v[3:4], v[11:12], v[5:6]
	v_fma_f64 v[5:6], v[1:2], v[11:12], v[7:8]
	global_store_dwordx4 v[13:14], v[3:6], off
.LBB283_13:
	s_endpgm
	.section	.rodata,"a",@progbits
	.p2align	6, 0x0
	.amdhsa_kernel _ZN9rocsparseL19gebsrmvn_1xn_kernelILj128ELj13ELj4E21rocsparse_complex_numIdEEEvi20rocsparse_direction_NS_24const_host_device_scalarIT2_EEPKiS8_PKS5_SA_S6_PS5_21rocsparse_index_base_b
		.amdhsa_group_segment_fixed_size 0
		.amdhsa_private_segment_fixed_size 0
		.amdhsa_kernarg_size 88
		.amdhsa_user_sgpr_count 6
		.amdhsa_user_sgpr_private_segment_buffer 1
		.amdhsa_user_sgpr_dispatch_ptr 0
		.amdhsa_user_sgpr_queue_ptr 0
		.amdhsa_user_sgpr_kernarg_segment_ptr 1
		.amdhsa_user_sgpr_dispatch_id 0
		.amdhsa_user_sgpr_flat_scratch_init 0
		.amdhsa_user_sgpr_private_segment_size 0
		.amdhsa_wavefront_size32 1
		.amdhsa_uses_dynamic_stack 0
		.amdhsa_system_sgpr_private_segment_wavefront_offset 0
		.amdhsa_system_sgpr_workgroup_id_x 1
		.amdhsa_system_sgpr_workgroup_id_y 0
		.amdhsa_system_sgpr_workgroup_id_z 0
		.amdhsa_system_sgpr_workgroup_info 0
		.amdhsa_system_vgpr_workitem_id 0
		.amdhsa_next_free_vgpr 73
		.amdhsa_next_free_sgpr 13
		.amdhsa_reserve_vcc 1
		.amdhsa_reserve_flat_scratch 0
		.amdhsa_float_round_mode_32 0
		.amdhsa_float_round_mode_16_64 0
		.amdhsa_float_denorm_mode_32 3
		.amdhsa_float_denorm_mode_16_64 3
		.amdhsa_dx10_clamp 1
		.amdhsa_ieee_mode 1
		.amdhsa_fp16_overflow 0
		.amdhsa_workgroup_processor_mode 1
		.amdhsa_memory_ordered 1
		.amdhsa_forward_progress 1
		.amdhsa_shared_vgpr_count 0
		.amdhsa_exception_fp_ieee_invalid_op 0
		.amdhsa_exception_fp_denorm_src 0
		.amdhsa_exception_fp_ieee_div_zero 0
		.amdhsa_exception_fp_ieee_overflow 0
		.amdhsa_exception_fp_ieee_underflow 0
		.amdhsa_exception_fp_ieee_inexact 0
		.amdhsa_exception_int_div_zero 0
	.end_amdhsa_kernel
	.section	.text._ZN9rocsparseL19gebsrmvn_1xn_kernelILj128ELj13ELj4E21rocsparse_complex_numIdEEEvi20rocsparse_direction_NS_24const_host_device_scalarIT2_EEPKiS8_PKS5_SA_S6_PS5_21rocsparse_index_base_b,"axG",@progbits,_ZN9rocsparseL19gebsrmvn_1xn_kernelILj128ELj13ELj4E21rocsparse_complex_numIdEEEvi20rocsparse_direction_NS_24const_host_device_scalarIT2_EEPKiS8_PKS5_SA_S6_PS5_21rocsparse_index_base_b,comdat
.Lfunc_end283:
	.size	_ZN9rocsparseL19gebsrmvn_1xn_kernelILj128ELj13ELj4E21rocsparse_complex_numIdEEEvi20rocsparse_direction_NS_24const_host_device_scalarIT2_EEPKiS8_PKS5_SA_S6_PS5_21rocsparse_index_base_b, .Lfunc_end283-_ZN9rocsparseL19gebsrmvn_1xn_kernelILj128ELj13ELj4E21rocsparse_complex_numIdEEEvi20rocsparse_direction_NS_24const_host_device_scalarIT2_EEPKiS8_PKS5_SA_S6_PS5_21rocsparse_index_base_b
                                        ; -- End function
	.set _ZN9rocsparseL19gebsrmvn_1xn_kernelILj128ELj13ELj4E21rocsparse_complex_numIdEEEvi20rocsparse_direction_NS_24const_host_device_scalarIT2_EEPKiS8_PKS5_SA_S6_PS5_21rocsparse_index_base_b.num_vgpr, 73
	.set _ZN9rocsparseL19gebsrmvn_1xn_kernelILj128ELj13ELj4E21rocsparse_complex_numIdEEEvi20rocsparse_direction_NS_24const_host_device_scalarIT2_EEPKiS8_PKS5_SA_S6_PS5_21rocsparse_index_base_b.num_agpr, 0
	.set _ZN9rocsparseL19gebsrmvn_1xn_kernelILj128ELj13ELj4E21rocsparse_complex_numIdEEEvi20rocsparse_direction_NS_24const_host_device_scalarIT2_EEPKiS8_PKS5_SA_S6_PS5_21rocsparse_index_base_b.numbered_sgpr, 13
	.set _ZN9rocsparseL19gebsrmvn_1xn_kernelILj128ELj13ELj4E21rocsparse_complex_numIdEEEvi20rocsparse_direction_NS_24const_host_device_scalarIT2_EEPKiS8_PKS5_SA_S6_PS5_21rocsparse_index_base_b.num_named_barrier, 0
	.set _ZN9rocsparseL19gebsrmvn_1xn_kernelILj128ELj13ELj4E21rocsparse_complex_numIdEEEvi20rocsparse_direction_NS_24const_host_device_scalarIT2_EEPKiS8_PKS5_SA_S6_PS5_21rocsparse_index_base_b.private_seg_size, 0
	.set _ZN9rocsparseL19gebsrmvn_1xn_kernelILj128ELj13ELj4E21rocsparse_complex_numIdEEEvi20rocsparse_direction_NS_24const_host_device_scalarIT2_EEPKiS8_PKS5_SA_S6_PS5_21rocsparse_index_base_b.uses_vcc, 1
	.set _ZN9rocsparseL19gebsrmvn_1xn_kernelILj128ELj13ELj4E21rocsparse_complex_numIdEEEvi20rocsparse_direction_NS_24const_host_device_scalarIT2_EEPKiS8_PKS5_SA_S6_PS5_21rocsparse_index_base_b.uses_flat_scratch, 0
	.set _ZN9rocsparseL19gebsrmvn_1xn_kernelILj128ELj13ELj4E21rocsparse_complex_numIdEEEvi20rocsparse_direction_NS_24const_host_device_scalarIT2_EEPKiS8_PKS5_SA_S6_PS5_21rocsparse_index_base_b.has_dyn_sized_stack, 0
	.set _ZN9rocsparseL19gebsrmvn_1xn_kernelILj128ELj13ELj4E21rocsparse_complex_numIdEEEvi20rocsparse_direction_NS_24const_host_device_scalarIT2_EEPKiS8_PKS5_SA_S6_PS5_21rocsparse_index_base_b.has_recursion, 0
	.set _ZN9rocsparseL19gebsrmvn_1xn_kernelILj128ELj13ELj4E21rocsparse_complex_numIdEEEvi20rocsparse_direction_NS_24const_host_device_scalarIT2_EEPKiS8_PKS5_SA_S6_PS5_21rocsparse_index_base_b.has_indirect_call, 0
	.section	.AMDGPU.csdata,"",@progbits
; Kernel info:
; codeLenInByte = 2196
; TotalNumSgprs: 15
; NumVgprs: 73
; ScratchSize: 0
; MemoryBound: 0
; FloatMode: 240
; IeeeMode: 1
; LDSByteSize: 0 bytes/workgroup (compile time only)
; SGPRBlocks: 0
; VGPRBlocks: 9
; NumSGPRsForWavesPerEU: 15
; NumVGPRsForWavesPerEU: 73
; Occupancy: 12
; WaveLimiterHint : 1
; COMPUTE_PGM_RSRC2:SCRATCH_EN: 0
; COMPUTE_PGM_RSRC2:USER_SGPR: 6
; COMPUTE_PGM_RSRC2:TRAP_HANDLER: 0
; COMPUTE_PGM_RSRC2:TGID_X_EN: 1
; COMPUTE_PGM_RSRC2:TGID_Y_EN: 0
; COMPUTE_PGM_RSRC2:TGID_Z_EN: 0
; COMPUTE_PGM_RSRC2:TIDIG_COMP_CNT: 0
	.section	.text._ZN9rocsparseL19gebsrmvn_1xn_kernelILj128ELj13ELj8E21rocsparse_complex_numIdEEEvi20rocsparse_direction_NS_24const_host_device_scalarIT2_EEPKiS8_PKS5_SA_S6_PS5_21rocsparse_index_base_b,"axG",@progbits,_ZN9rocsparseL19gebsrmvn_1xn_kernelILj128ELj13ELj8E21rocsparse_complex_numIdEEEvi20rocsparse_direction_NS_24const_host_device_scalarIT2_EEPKiS8_PKS5_SA_S6_PS5_21rocsparse_index_base_b,comdat
	.globl	_ZN9rocsparseL19gebsrmvn_1xn_kernelILj128ELj13ELj8E21rocsparse_complex_numIdEEEvi20rocsparse_direction_NS_24const_host_device_scalarIT2_EEPKiS8_PKS5_SA_S6_PS5_21rocsparse_index_base_b ; -- Begin function _ZN9rocsparseL19gebsrmvn_1xn_kernelILj128ELj13ELj8E21rocsparse_complex_numIdEEEvi20rocsparse_direction_NS_24const_host_device_scalarIT2_EEPKiS8_PKS5_SA_S6_PS5_21rocsparse_index_base_b
	.p2align	8
	.type	_ZN9rocsparseL19gebsrmvn_1xn_kernelILj128ELj13ELj8E21rocsparse_complex_numIdEEEvi20rocsparse_direction_NS_24const_host_device_scalarIT2_EEPKiS8_PKS5_SA_S6_PS5_21rocsparse_index_base_b,@function
_ZN9rocsparseL19gebsrmvn_1xn_kernelILj128ELj13ELj8E21rocsparse_complex_numIdEEEvi20rocsparse_direction_NS_24const_host_device_scalarIT2_EEPKiS8_PKS5_SA_S6_PS5_21rocsparse_index_base_b: ; @_ZN9rocsparseL19gebsrmvn_1xn_kernelILj128ELj13ELj8E21rocsparse_complex_numIdEEEvi20rocsparse_direction_NS_24const_host_device_scalarIT2_EEPKiS8_PKS5_SA_S6_PS5_21rocsparse_index_base_b
; %bb.0:
	s_clause 0x1
	s_load_dwordx2 s[8:9], s[4:5], 0x50
	s_load_dwordx2 s[0:1], s[4:5], 0x8
	s_add_u32 s7, s4, 8
	s_addc_u32 s10, s5, 0
	s_add_u32 s11, s4, 56
	s_addc_u32 s12, s5, 0
	s_load_dwordx2 s[2:3], s[4:5], 0x38
	s_waitcnt lgkmcnt(0)
	s_bitcmp1_b32 s9, 0
	s_cselect_b32 s0, s7, s0
	s_cselect_b32 s1, s10, s1
	v_mov_b32_e32 v1, s0
	v_mov_b32_e32 v2, s1
	s_cselect_b32 s0, s11, s2
	s_cselect_b32 s1, s12, s3
	flat_load_dwordx4 v[5:8], v[1:2]
	v_mov_b32_e32 v1, s0
	v_mov_b32_e32 v2, s1
	flat_load_dwordx4 v[1:4], v[1:2]
	s_waitcnt vmcnt(1) lgkmcnt(1)
	v_cmp_eq_f64_e32 vcc_lo, 0, v[5:6]
	v_cmp_eq_f64_e64 s0, 0, v[7:8]
	s_and_b32 s2, vcc_lo, s0
	s_mov_b32 s0, -1
	s_and_saveexec_b32 s1, s2
	s_cbranch_execz .LBB284_2
; %bb.1:
	s_waitcnt vmcnt(0) lgkmcnt(0)
	v_cmp_neq_f64_e32 vcc_lo, 1.0, v[1:2]
	v_cmp_neq_f64_e64 s0, 0, v[3:4]
	s_or_b32 s0, vcc_lo, s0
	s_orn2_b32 s0, s0, exec_lo
.LBB284_2:
	s_or_b32 exec_lo, exec_lo, s1
	s_and_saveexec_b32 s1, s0
	s_cbranch_execz .LBB284_13
; %bb.3:
	s_load_dword s0, s[4:5], 0x0
	v_lshrrev_b32_e32 v9, 3, v0
	v_lshl_or_b32 v9, s6, 4, v9
	s_waitcnt lgkmcnt(0)
	v_cmp_gt_i32_e32 vcc_lo, s0, v9
	s_and_b32 exec_lo, exec_lo, vcc_lo
	s_cbranch_execz .LBB284_13
; %bb.4:
	s_clause 0x1
	s_load_dwordx2 s[0:1], s[4:5], 0x18
	s_load_dwordx2 s[6:7], s[4:5], 0x48
	v_ashrrev_i32_e32 v10, 31, v9
	v_and_b32_e32 v0, 7, v0
	v_mov_b32_e32 v18, 0
	v_mov_b32_e32 v20, 0
	;; [unrolled: 1-line block ×3, first 2 shown]
	v_lshlrev_b64 v[11:12], 2, v[9:10]
	v_subrev_nc_u32_e32 v13, s8, v0
	v_mov_b32_e32 v21, 0
	s_mov_b32 s9, exec_lo
	s_waitcnt lgkmcnt(0)
	v_add_co_u32 v11, vcc_lo, s0, v11
	v_add_co_ci_u32_e64 v12, null, s1, v12, vcc_lo
	global_load_dwordx2 v[11:12], v[11:12], off
	s_waitcnt vmcnt(0)
	v_subrev_nc_u32_e32 v22, s8, v12
	v_add_nc_u32_e32 v11, v11, v13
	v_cmpx_lt_i32_e64 v11, v22
	s_cbranch_execz .LBB284_8
; %bb.5:
	s_clause 0x1
	s_load_dwordx4 s[0:3], s[4:5], 0x20
	s_load_dwordx2 s[4:5], s[4:5], 0x30
	v_mad_u64_u32 v[13:14], null, v11, 13, 12
	v_mov_b32_e32 v18, 0
	v_mov_b32_e32 v20, 0
	;; [unrolled: 1-line block ×5, first 2 shown]
	s_mov_b32 s10, 0
.LBB284_6:                              ; =>This Inner Loop Header: Depth=1
	v_ashrrev_i32_e32 v12, 31, v11
	v_add_nc_u32_e32 v14, -12, v13
	v_lshlrev_b64 v[16:17], 2, v[11:12]
	v_lshlrev_b64 v[23:24], 4, v[14:15]
	v_add_nc_u32_e32 v14, -11, v13
	v_add_nc_u32_e32 v11, 8, v11
	s_waitcnt lgkmcnt(0)
	v_add_co_u32 v16, vcc_lo, s0, v16
	v_add_co_ci_u32_e64 v17, null, s1, v17, vcc_lo
	v_lshlrev_b64 v[25:26], 4, v[14:15]
	v_add_co_u32 v23, vcc_lo, s2, v23
	global_load_dword v12, v[16:17], off
	v_mov_b32_e32 v17, v15
	v_add_co_ci_u32_e64 v24, null, s3, v24, vcc_lo
	v_add_co_u32 v27, vcc_lo, s2, v25
	v_add_co_ci_u32_e64 v28, null, s3, v26, vcc_lo
	s_clause 0x1
	global_load_dwordx4 v[23:26], v[23:24], off
	global_load_dwordx4 v[27:30], v[27:28], off
	s_waitcnt vmcnt(2)
	v_subrev_nc_u32_e32 v12, s8, v12
	v_mul_lo_u32 v16, v12, 13
	v_lshlrev_b64 v[31:32], 4, v[16:17]
	v_add_nc_u32_e32 v14, 1, v16
	v_lshlrev_b64 v[35:36], 4, v[14:15]
	v_add_co_u32 v31, vcc_lo, s4, v31
	v_add_co_ci_u32_e64 v32, null, s5, v32, vcc_lo
	v_add_nc_u32_e32 v14, -10, v13
	v_add_co_u32 v35, vcc_lo, s4, v35
	global_load_dwordx4 v[31:34], v[31:32], off
	v_add_co_ci_u32_e64 v36, null, s5, v36, vcc_lo
	v_lshlrev_b64 v[39:40], 4, v[14:15]
	v_add_nc_u32_e32 v14, 2, v16
	global_load_dwordx4 v[35:38], v[35:36], off
	v_lshlrev_b64 v[41:42], 4, v[14:15]
	v_add_co_u32 v39, vcc_lo, s2, v39
	v_add_co_ci_u32_e64 v40, null, s3, v40, vcc_lo
	v_add_nc_u32_e32 v14, -9, v13
	v_add_co_u32 v43, vcc_lo, s4, v41
	v_add_co_ci_u32_e64 v44, null, s5, v42, vcc_lo
	global_load_dwordx4 v[39:42], v[39:40], off
	v_lshlrev_b64 v[47:48], 4, v[14:15]
	v_add_nc_u32_e32 v14, 3, v16
	global_load_dwordx4 v[43:46], v[43:44], off
	v_lshlrev_b64 v[49:50], 4, v[14:15]
	v_add_co_u32 v47, vcc_lo, s2, v47
	v_add_co_ci_u32_e64 v48, null, s3, v48, vcc_lo
	v_add_nc_u32_e32 v14, -8, v13
	v_add_co_u32 v51, vcc_lo, s4, v49
	v_add_co_ci_u32_e64 v52, null, s5, v50, vcc_lo
	global_load_dwordx4 v[47:50], v[47:48], off
	;; [unrolled: 10-line block ×3, first 2 shown]
	v_lshlrev_b64 v[63:64], 4, v[14:15]
	v_add_nc_u32_e32 v14, 5, v16
	global_load_dwordx4 v[59:62], v[59:60], off
	v_lshlrev_b64 v[65:66], 4, v[14:15]
	v_add_co_u32 v63, vcc_lo, s2, v63
	v_add_co_ci_u32_e64 v64, null, s3, v64, vcc_lo
	v_add_nc_u32_e32 v14, -6, v13
	v_add_co_u32 v65, vcc_lo, s4, v65
	v_add_co_ci_u32_e64 v66, null, s5, v66, vcc_lo
	v_lshlrev_b64 v[67:68], 4, v[14:15]
	v_add_nc_u32_e32 v14, 6, v16
	s_waitcnt vmcnt(7)
	v_fma_f64 v[20:21], v[23:24], v[31:32], v[20:21]
	v_fma_f64 v[17:18], v[25:26], v[31:32], v[18:19]
	v_fma_f64 v[31:32], -v[25:26], v[33:34], v[20:21]
	v_fma_f64 v[33:34], v[23:24], v[33:34], v[17:18]
	global_load_dwordx4 v[17:20], v[63:64], off
	global_load_dwordx4 v[23:26], v[65:66], off
	v_lshlrev_b64 v[63:64], 4, v[14:15]
	v_add_co_u32 v65, vcc_lo, s2, v67
	v_add_co_ci_u32_e64 v66, null, s3, v68, vcc_lo
	v_add_nc_u32_e32 v14, -5, v13
	v_add_co_u32 v63, vcc_lo, s4, v63
	v_add_co_ci_u32_e64 v64, null, s5, v64, vcc_lo
	v_lshlrev_b64 v[67:68], 4, v[14:15]
	v_add_nc_u32_e32 v14, 7, v16
	s_waitcnt vmcnt(8)
	v_fma_f64 v[31:32], v[27:28], v[35:36], v[31:32]
	v_fma_f64 v[33:34], v[29:30], v[35:36], v[33:34]
	v_fma_f64 v[35:36], -v[29:30], v[37:38], v[31:32]
	v_fma_f64 v[37:38], v[27:28], v[37:38], v[33:34]
	global_load_dwordx4 v[27:30], v[65:66], off
	;; [unrolled: 15-line block ×3, first 2 shown]
	global_load_dwordx4 v[39:42], v[63:64], off
	v_lshlrev_b64 v[63:64], 4, v[14:15]
	v_add_co_u32 v65, vcc_lo, s2, v67
	v_add_co_ci_u32_e64 v66, null, s3, v68, vcc_lo
	v_add_nc_u32_e32 v14, -3, v13
	v_add_co_u32 v63, vcc_lo, s4, v63
	v_add_co_ci_u32_e64 v64, null, s5, v64, vcc_lo
	v_lshlrev_b64 v[67:68], 4, v[14:15]
	v_add_nc_u32_e32 v14, 9, v16
	s_waitcnt vmcnt(8)
	v_fma_f64 v[43:44], v[47:48], v[51:52], v[43:44]
	v_fma_f64 v[45:46], v[49:50], v[51:52], v[45:46]
	v_lshlrev_b64 v[51:52], 4, v[14:15]
	v_add_nc_u32_e32 v14, -2, v13
	v_fma_f64 v[69:70], -v[49:50], v[53:54], v[43:44]
	v_fma_f64 v[71:72], v[47:48], v[53:54], v[45:46]
	global_load_dwordx4 v[43:46], v[65:66], off
	global_load_dwordx4 v[47:50], v[63:64], off
	v_add_co_u32 v53, vcc_lo, s2, v67
	v_add_co_ci_u32_e64 v54, null, s3, v68, vcc_lo
	v_add_co_u32 v63, vcc_lo, s4, v51
	v_add_co_ci_u32_e64 v64, null, s5, v52, vcc_lo
	global_load_dwordx4 v[51:54], v[53:54], off
	s_waitcnt vmcnt(9)
	v_fma_f64 v[65:66], v[55:56], v[59:60], v[69:70]
	v_fma_f64 v[59:60], v[57:58], v[59:60], v[71:72]
	v_fma_f64 v[65:66], -v[57:58], v[61:62], v[65:66]
	v_fma_f64 v[67:68], v[55:56], v[61:62], v[59:60]
	global_load_dwordx4 v[55:58], v[63:64], off
	v_lshlrev_b64 v[59:60], 4, v[14:15]
	v_add_nc_u32_e32 v14, 10, v16
	v_lshlrev_b64 v[61:62], 4, v[14:15]
	v_add_co_u32 v59, vcc_lo, s2, v59
	v_add_co_ci_u32_e64 v60, null, s3, v60, vcc_lo
	v_add_nc_u32_e32 v14, -1, v13
	v_add_co_u32 v63, vcc_lo, s4, v61
	v_add_co_ci_u32_e64 v64, null, s5, v62, vcc_lo
	global_load_dwordx4 v[59:62], v[59:60], off
	s_waitcnt vmcnt(9)
	v_fma_f64 v[65:66], v[17:18], v[23:24], v[65:66]
	v_fma_f64 v[23:24], v[19:20], v[23:24], v[67:68]
	v_fma_f64 v[65:66], -v[19:20], v[25:26], v[65:66]
	v_fma_f64 v[67:68], v[17:18], v[25:26], v[23:24]
	global_load_dwordx4 v[17:20], v[63:64], off
	v_lshlrev_b64 v[23:24], 4, v[14:15]
	v_add_nc_u32_e32 v14, 11, v16
	v_lshlrev_b64 v[25:26], 4, v[14:15]
	v_add_co_u32 v23, vcc_lo, s2, v23
	v_add_co_ci_u32_e64 v24, null, s3, v24, vcc_lo
	v_mov_b32_e32 v14, v15
	v_add_co_u32 v63, vcc_lo, s4, v25
	v_add_co_ci_u32_e64 v64, null, s5, v26, vcc_lo
	global_load_dwordx4 v[23:26], v[23:24], off
	s_waitcnt vmcnt(9)
	v_fma_f64 v[65:66], v[27:28], v[31:32], v[65:66]
	v_fma_f64 v[31:32], v[29:30], v[31:32], v[67:68]
	v_fma_f64 v[67:68], -v[29:30], v[33:34], v[65:66]
	v_fma_f64 v[69:70], v[27:28], v[33:34], v[31:32]
	global_load_dwordx4 v[27:30], v[63:64], off
	v_lshlrev_b64 v[31:32], 4, v[13:14]
	v_add_nc_u32_e32 v14, 12, v16
	v_add_nc_u32_e32 v13, 0x68, v13
	v_lshlrev_b64 v[33:34], 4, v[14:15]
	v_add_co_u32 v31, vcc_lo, s2, v31
	v_add_co_ci_u32_e64 v32, null, s3, v32, vcc_lo
	v_add_co_u32 v63, vcc_lo, s4, v33
	v_add_co_ci_u32_e64 v64, null, s5, v34, vcc_lo
	global_load_dwordx4 v[31:34], v[31:32], off
	global_load_dwordx4 v[63:66], v[63:64], off
	s_waitcnt vmcnt(10)
	v_fma_f64 v[67:68], v[35:36], v[39:40], v[67:68]
	v_fma_f64 v[39:40], v[37:38], v[39:40], v[69:70]
	v_cmp_ge_i32_e32 vcc_lo, v11, v22
	s_or_b32 s10, vcc_lo, s10
	v_fma_f64 v[37:38], -v[37:38], v[41:42], v[67:68]
	v_fma_f64 v[35:36], v[35:36], v[41:42], v[39:40]
	s_waitcnt vmcnt(8)
	v_fma_f64 v[37:38], v[43:44], v[47:48], v[37:38]
	v_fma_f64 v[35:36], v[45:46], v[47:48], v[35:36]
	v_fma_f64 v[37:38], -v[45:46], v[49:50], v[37:38]
	v_fma_f64 v[35:36], v[43:44], v[49:50], v[35:36]
	s_waitcnt vmcnt(6)
	v_fma_f64 v[37:38], v[51:52], v[55:56], v[37:38]
	v_fma_f64 v[35:36], v[53:54], v[55:56], v[35:36]
	;; [unrolled: 5-line block ×5, first 2 shown]
	v_fma_f64 v[20:21], -v[33:34], v[65:66], v[18:19]
	v_fma_f64 v[18:19], v[31:32], v[65:66], v[16:17]
	s_andn2_b32 exec_lo, exec_lo, s10
	s_cbranch_execnz .LBB284_6
; %bb.7:
	s_or_b32 exec_lo, exec_lo, s10
.LBB284_8:
	s_or_b32 exec_lo, exec_lo, s9
	v_mbcnt_lo_u32_b32 v22, -1, 0
	v_xor_b32_e32 v11, 4, v22
	v_xor_b32_e32 v15, 2, v22
	v_cmp_gt_i32_e32 vcc_lo, 32, v11
	v_cndmask_b32_e32 v11, v22, v11, vcc_lo
	v_cmp_gt_i32_e32 vcc_lo, 32, v15
	v_lshlrev_b32_e32 v14, 2, v11
	v_cndmask_b32_e32 v15, v22, v15, vcc_lo
	ds_bpermute_b32 v11, v14, v20
	ds_bpermute_b32 v12, v14, v21
	;; [unrolled: 1-line block ×4, first 2 shown]
	s_waitcnt lgkmcnt(2)
	v_add_f64 v[11:12], v[20:21], v[11:12]
	s_waitcnt lgkmcnt(0)
	v_add_f64 v[13:14], v[18:19], v[13:14]
	v_lshlrev_b32_e32 v18, 2, v15
	ds_bpermute_b32 v15, v18, v11
	ds_bpermute_b32 v16, v18, v12
	;; [unrolled: 1-line block ×4, first 2 shown]
	s_waitcnt lgkmcnt(2)
	v_add_f64 v[11:12], v[11:12], v[15:16]
	v_xor_b32_e32 v15, 1, v22
	s_waitcnt lgkmcnt(0)
	v_add_f64 v[13:14], v[13:14], v[17:18]
	v_cmp_gt_i32_e32 vcc_lo, 32, v15
	v_cndmask_b32_e32 v15, v22, v15, vcc_lo
	v_cmp_eq_u32_e32 vcc_lo, 7, v0
	v_lshlrev_b32_e32 v18, 2, v15
	ds_bpermute_b32 v15, v18, v11
	ds_bpermute_b32 v16, v18, v12
	ds_bpermute_b32 v17, v18, v13
	ds_bpermute_b32 v18, v18, v14
	s_and_b32 exec_lo, exec_lo, vcc_lo
	s_cbranch_execz .LBB284_13
; %bb.9:
	s_waitcnt lgkmcnt(0)
	v_add_f64 v[13:14], v[13:14], v[17:18]
	v_add_f64 v[11:12], v[11:12], v[15:16]
	v_cmp_eq_f64_e32 vcc_lo, 0, v[1:2]
	v_cmp_eq_f64_e64 s0, 0, v[3:4]
	v_lshlrev_b64 v[9:10], 4, v[9:10]
	v_mul_f64 v[15:16], v[13:14], -v[7:8]
	v_mul_f64 v[13:14], v[5:6], v[13:14]
	s_and_b32 s0, vcc_lo, s0
	v_fma_f64 v[5:6], v[5:6], v[11:12], v[15:16]
	v_fma_f64 v[7:8], v[7:8], v[11:12], v[13:14]
	s_and_saveexec_b32 s1, s0
	s_xor_b32 s0, exec_lo, s1
	s_cbranch_execz .LBB284_11
; %bb.10:
	v_add_co_u32 v0, vcc_lo, s6, v9
	v_add_co_ci_u32_e64 v1, null, s7, v10, vcc_lo
                                        ; implicit-def: $vgpr9_vgpr10
	global_store_dwordx4 v[0:1], v[5:8], off
                                        ; implicit-def: $vgpr1_vgpr2
                                        ; implicit-def: $vgpr5_vgpr6
.LBB284_11:
	s_andn2_saveexec_b32 s0, s0
	s_cbranch_execz .LBB284_13
; %bb.12:
	v_add_co_u32 v13, vcc_lo, s6, v9
	v_add_co_ci_u32_e64 v14, null, s7, v10, vcc_lo
	global_load_dwordx4 v[9:12], v[13:14], off
	s_waitcnt vmcnt(0)
	v_fma_f64 v[5:6], v[1:2], v[9:10], v[5:6]
	v_fma_f64 v[7:8], v[3:4], v[9:10], v[7:8]
	v_fma_f64 v[3:4], -v[3:4], v[11:12], v[5:6]
	v_fma_f64 v[5:6], v[1:2], v[11:12], v[7:8]
	global_store_dwordx4 v[13:14], v[3:6], off
.LBB284_13:
	s_endpgm
	.section	.rodata,"a",@progbits
	.p2align	6, 0x0
	.amdhsa_kernel _ZN9rocsparseL19gebsrmvn_1xn_kernelILj128ELj13ELj8E21rocsparse_complex_numIdEEEvi20rocsparse_direction_NS_24const_host_device_scalarIT2_EEPKiS8_PKS5_SA_S6_PS5_21rocsparse_index_base_b
		.amdhsa_group_segment_fixed_size 0
		.amdhsa_private_segment_fixed_size 0
		.amdhsa_kernarg_size 88
		.amdhsa_user_sgpr_count 6
		.amdhsa_user_sgpr_private_segment_buffer 1
		.amdhsa_user_sgpr_dispatch_ptr 0
		.amdhsa_user_sgpr_queue_ptr 0
		.amdhsa_user_sgpr_kernarg_segment_ptr 1
		.amdhsa_user_sgpr_dispatch_id 0
		.amdhsa_user_sgpr_flat_scratch_init 0
		.amdhsa_user_sgpr_private_segment_size 0
		.amdhsa_wavefront_size32 1
		.amdhsa_uses_dynamic_stack 0
		.amdhsa_system_sgpr_private_segment_wavefront_offset 0
		.amdhsa_system_sgpr_workgroup_id_x 1
		.amdhsa_system_sgpr_workgroup_id_y 0
		.amdhsa_system_sgpr_workgroup_id_z 0
		.amdhsa_system_sgpr_workgroup_info 0
		.amdhsa_system_vgpr_workitem_id 0
		.amdhsa_next_free_vgpr 73
		.amdhsa_next_free_sgpr 13
		.amdhsa_reserve_vcc 1
		.amdhsa_reserve_flat_scratch 0
		.amdhsa_float_round_mode_32 0
		.amdhsa_float_round_mode_16_64 0
		.amdhsa_float_denorm_mode_32 3
		.amdhsa_float_denorm_mode_16_64 3
		.amdhsa_dx10_clamp 1
		.amdhsa_ieee_mode 1
		.amdhsa_fp16_overflow 0
		.amdhsa_workgroup_processor_mode 1
		.amdhsa_memory_ordered 1
		.amdhsa_forward_progress 1
		.amdhsa_shared_vgpr_count 0
		.amdhsa_exception_fp_ieee_invalid_op 0
		.amdhsa_exception_fp_denorm_src 0
		.amdhsa_exception_fp_ieee_div_zero 0
		.amdhsa_exception_fp_ieee_overflow 0
		.amdhsa_exception_fp_ieee_underflow 0
		.amdhsa_exception_fp_ieee_inexact 0
		.amdhsa_exception_int_div_zero 0
	.end_amdhsa_kernel
	.section	.text._ZN9rocsparseL19gebsrmvn_1xn_kernelILj128ELj13ELj8E21rocsparse_complex_numIdEEEvi20rocsparse_direction_NS_24const_host_device_scalarIT2_EEPKiS8_PKS5_SA_S6_PS5_21rocsparse_index_base_b,"axG",@progbits,_ZN9rocsparseL19gebsrmvn_1xn_kernelILj128ELj13ELj8E21rocsparse_complex_numIdEEEvi20rocsparse_direction_NS_24const_host_device_scalarIT2_EEPKiS8_PKS5_SA_S6_PS5_21rocsparse_index_base_b,comdat
.Lfunc_end284:
	.size	_ZN9rocsparseL19gebsrmvn_1xn_kernelILj128ELj13ELj8E21rocsparse_complex_numIdEEEvi20rocsparse_direction_NS_24const_host_device_scalarIT2_EEPKiS8_PKS5_SA_S6_PS5_21rocsparse_index_base_b, .Lfunc_end284-_ZN9rocsparseL19gebsrmvn_1xn_kernelILj128ELj13ELj8E21rocsparse_complex_numIdEEEvi20rocsparse_direction_NS_24const_host_device_scalarIT2_EEPKiS8_PKS5_SA_S6_PS5_21rocsparse_index_base_b
                                        ; -- End function
	.set _ZN9rocsparseL19gebsrmvn_1xn_kernelILj128ELj13ELj8E21rocsparse_complex_numIdEEEvi20rocsparse_direction_NS_24const_host_device_scalarIT2_EEPKiS8_PKS5_SA_S6_PS5_21rocsparse_index_base_b.num_vgpr, 73
	.set _ZN9rocsparseL19gebsrmvn_1xn_kernelILj128ELj13ELj8E21rocsparse_complex_numIdEEEvi20rocsparse_direction_NS_24const_host_device_scalarIT2_EEPKiS8_PKS5_SA_S6_PS5_21rocsparse_index_base_b.num_agpr, 0
	.set _ZN9rocsparseL19gebsrmvn_1xn_kernelILj128ELj13ELj8E21rocsparse_complex_numIdEEEvi20rocsparse_direction_NS_24const_host_device_scalarIT2_EEPKiS8_PKS5_SA_S6_PS5_21rocsparse_index_base_b.numbered_sgpr, 13
	.set _ZN9rocsparseL19gebsrmvn_1xn_kernelILj128ELj13ELj8E21rocsparse_complex_numIdEEEvi20rocsparse_direction_NS_24const_host_device_scalarIT2_EEPKiS8_PKS5_SA_S6_PS5_21rocsparse_index_base_b.num_named_barrier, 0
	.set _ZN9rocsparseL19gebsrmvn_1xn_kernelILj128ELj13ELj8E21rocsparse_complex_numIdEEEvi20rocsparse_direction_NS_24const_host_device_scalarIT2_EEPKiS8_PKS5_SA_S6_PS5_21rocsparse_index_base_b.private_seg_size, 0
	.set _ZN9rocsparseL19gebsrmvn_1xn_kernelILj128ELj13ELj8E21rocsparse_complex_numIdEEEvi20rocsparse_direction_NS_24const_host_device_scalarIT2_EEPKiS8_PKS5_SA_S6_PS5_21rocsparse_index_base_b.uses_vcc, 1
	.set _ZN9rocsparseL19gebsrmvn_1xn_kernelILj128ELj13ELj8E21rocsparse_complex_numIdEEEvi20rocsparse_direction_NS_24const_host_device_scalarIT2_EEPKiS8_PKS5_SA_S6_PS5_21rocsparse_index_base_b.uses_flat_scratch, 0
	.set _ZN9rocsparseL19gebsrmvn_1xn_kernelILj128ELj13ELj8E21rocsparse_complex_numIdEEEvi20rocsparse_direction_NS_24const_host_device_scalarIT2_EEPKiS8_PKS5_SA_S6_PS5_21rocsparse_index_base_b.has_dyn_sized_stack, 0
	.set _ZN9rocsparseL19gebsrmvn_1xn_kernelILj128ELj13ELj8E21rocsparse_complex_numIdEEEvi20rocsparse_direction_NS_24const_host_device_scalarIT2_EEPKiS8_PKS5_SA_S6_PS5_21rocsparse_index_base_b.has_recursion, 0
	.set _ZN9rocsparseL19gebsrmvn_1xn_kernelILj128ELj13ELj8E21rocsparse_complex_numIdEEEvi20rocsparse_direction_NS_24const_host_device_scalarIT2_EEPKiS8_PKS5_SA_S6_PS5_21rocsparse_index_base_b.has_indirect_call, 0
	.section	.AMDGPU.csdata,"",@progbits
; Kernel info:
; codeLenInByte = 2272
; TotalNumSgprs: 15
; NumVgprs: 73
; ScratchSize: 0
; MemoryBound: 0
; FloatMode: 240
; IeeeMode: 1
; LDSByteSize: 0 bytes/workgroup (compile time only)
; SGPRBlocks: 0
; VGPRBlocks: 9
; NumSGPRsForWavesPerEU: 15
; NumVGPRsForWavesPerEU: 73
; Occupancy: 12
; WaveLimiterHint : 1
; COMPUTE_PGM_RSRC2:SCRATCH_EN: 0
; COMPUTE_PGM_RSRC2:USER_SGPR: 6
; COMPUTE_PGM_RSRC2:TRAP_HANDLER: 0
; COMPUTE_PGM_RSRC2:TGID_X_EN: 1
; COMPUTE_PGM_RSRC2:TGID_Y_EN: 0
; COMPUTE_PGM_RSRC2:TGID_Z_EN: 0
; COMPUTE_PGM_RSRC2:TIDIG_COMP_CNT: 0
	.section	.text._ZN9rocsparseL19gebsrmvn_1xn_kernelILj128ELj13ELj16E21rocsparse_complex_numIdEEEvi20rocsparse_direction_NS_24const_host_device_scalarIT2_EEPKiS8_PKS5_SA_S6_PS5_21rocsparse_index_base_b,"axG",@progbits,_ZN9rocsparseL19gebsrmvn_1xn_kernelILj128ELj13ELj16E21rocsparse_complex_numIdEEEvi20rocsparse_direction_NS_24const_host_device_scalarIT2_EEPKiS8_PKS5_SA_S6_PS5_21rocsparse_index_base_b,comdat
	.globl	_ZN9rocsparseL19gebsrmvn_1xn_kernelILj128ELj13ELj16E21rocsparse_complex_numIdEEEvi20rocsparse_direction_NS_24const_host_device_scalarIT2_EEPKiS8_PKS5_SA_S6_PS5_21rocsparse_index_base_b ; -- Begin function _ZN9rocsparseL19gebsrmvn_1xn_kernelILj128ELj13ELj16E21rocsparse_complex_numIdEEEvi20rocsparse_direction_NS_24const_host_device_scalarIT2_EEPKiS8_PKS5_SA_S6_PS5_21rocsparse_index_base_b
	.p2align	8
	.type	_ZN9rocsparseL19gebsrmvn_1xn_kernelILj128ELj13ELj16E21rocsparse_complex_numIdEEEvi20rocsparse_direction_NS_24const_host_device_scalarIT2_EEPKiS8_PKS5_SA_S6_PS5_21rocsparse_index_base_b,@function
_ZN9rocsparseL19gebsrmvn_1xn_kernelILj128ELj13ELj16E21rocsparse_complex_numIdEEEvi20rocsparse_direction_NS_24const_host_device_scalarIT2_EEPKiS8_PKS5_SA_S6_PS5_21rocsparse_index_base_b: ; @_ZN9rocsparseL19gebsrmvn_1xn_kernelILj128ELj13ELj16E21rocsparse_complex_numIdEEEvi20rocsparse_direction_NS_24const_host_device_scalarIT2_EEPKiS8_PKS5_SA_S6_PS5_21rocsparse_index_base_b
; %bb.0:
	s_clause 0x1
	s_load_dwordx2 s[8:9], s[4:5], 0x50
	s_load_dwordx2 s[0:1], s[4:5], 0x8
	s_add_u32 s7, s4, 8
	s_addc_u32 s10, s5, 0
	s_add_u32 s11, s4, 56
	s_addc_u32 s12, s5, 0
	s_load_dwordx2 s[2:3], s[4:5], 0x38
	s_waitcnt lgkmcnt(0)
	s_bitcmp1_b32 s9, 0
	s_cselect_b32 s0, s7, s0
	s_cselect_b32 s1, s10, s1
	v_mov_b32_e32 v1, s0
	v_mov_b32_e32 v2, s1
	s_cselect_b32 s0, s11, s2
	s_cselect_b32 s1, s12, s3
	flat_load_dwordx4 v[5:8], v[1:2]
	v_mov_b32_e32 v1, s0
	v_mov_b32_e32 v2, s1
	flat_load_dwordx4 v[1:4], v[1:2]
	s_waitcnt vmcnt(1) lgkmcnt(1)
	v_cmp_eq_f64_e32 vcc_lo, 0, v[5:6]
	v_cmp_eq_f64_e64 s0, 0, v[7:8]
	s_and_b32 s2, vcc_lo, s0
	s_mov_b32 s0, -1
	s_and_saveexec_b32 s1, s2
	s_cbranch_execz .LBB285_2
; %bb.1:
	s_waitcnt vmcnt(0) lgkmcnt(0)
	v_cmp_neq_f64_e32 vcc_lo, 1.0, v[1:2]
	v_cmp_neq_f64_e64 s0, 0, v[3:4]
	s_or_b32 s0, vcc_lo, s0
	s_orn2_b32 s0, s0, exec_lo
.LBB285_2:
	s_or_b32 exec_lo, exec_lo, s1
	s_and_saveexec_b32 s1, s0
	s_cbranch_execz .LBB285_13
; %bb.3:
	s_load_dword s0, s[4:5], 0x0
	v_lshrrev_b32_e32 v9, 4, v0
	v_lshl_or_b32 v9, s6, 3, v9
	s_waitcnt lgkmcnt(0)
	v_cmp_gt_i32_e32 vcc_lo, s0, v9
	s_and_b32 exec_lo, exec_lo, vcc_lo
	s_cbranch_execz .LBB285_13
; %bb.4:
	s_clause 0x1
	s_load_dwordx2 s[0:1], s[4:5], 0x18
	s_load_dwordx2 s[6:7], s[4:5], 0x48
	v_ashrrev_i32_e32 v10, 31, v9
	v_and_b32_e32 v0, 15, v0
	v_mov_b32_e32 v18, 0
	v_mov_b32_e32 v20, 0
	v_mov_b32_e32 v19, 0
	v_lshlrev_b64 v[11:12], 2, v[9:10]
	v_subrev_nc_u32_e32 v13, s8, v0
	v_mov_b32_e32 v21, 0
	s_mov_b32 s9, exec_lo
	s_waitcnt lgkmcnt(0)
	v_add_co_u32 v11, vcc_lo, s0, v11
	v_add_co_ci_u32_e64 v12, null, s1, v12, vcc_lo
	global_load_dwordx2 v[11:12], v[11:12], off
	s_waitcnt vmcnt(0)
	v_subrev_nc_u32_e32 v22, s8, v12
	v_add_nc_u32_e32 v11, v11, v13
	v_cmpx_lt_i32_e64 v11, v22
	s_cbranch_execz .LBB285_8
; %bb.5:
	s_clause 0x1
	s_load_dwordx4 s[0:3], s[4:5], 0x20
	s_load_dwordx2 s[4:5], s[4:5], 0x30
	v_mad_u64_u32 v[13:14], null, v11, 13, 12
	v_mov_b32_e32 v18, 0
	v_mov_b32_e32 v20, 0
	;; [unrolled: 1-line block ×5, first 2 shown]
	s_mov_b32 s10, 0
.LBB285_6:                              ; =>This Inner Loop Header: Depth=1
	v_ashrrev_i32_e32 v12, 31, v11
	v_add_nc_u32_e32 v14, -12, v13
	v_lshlrev_b64 v[16:17], 2, v[11:12]
	v_lshlrev_b64 v[23:24], 4, v[14:15]
	v_add_nc_u32_e32 v14, -11, v13
	v_add_nc_u32_e32 v11, 16, v11
	s_waitcnt lgkmcnt(0)
	v_add_co_u32 v16, vcc_lo, s0, v16
	v_add_co_ci_u32_e64 v17, null, s1, v17, vcc_lo
	v_lshlrev_b64 v[25:26], 4, v[14:15]
	v_add_co_u32 v23, vcc_lo, s2, v23
	global_load_dword v12, v[16:17], off
	v_mov_b32_e32 v17, v15
	v_add_co_ci_u32_e64 v24, null, s3, v24, vcc_lo
	v_add_co_u32 v27, vcc_lo, s2, v25
	v_add_co_ci_u32_e64 v28, null, s3, v26, vcc_lo
	s_clause 0x1
	global_load_dwordx4 v[23:26], v[23:24], off
	global_load_dwordx4 v[27:30], v[27:28], off
	s_waitcnt vmcnt(2)
	v_subrev_nc_u32_e32 v12, s8, v12
	v_mul_lo_u32 v16, v12, 13
	v_lshlrev_b64 v[31:32], 4, v[16:17]
	v_add_nc_u32_e32 v14, 1, v16
	v_lshlrev_b64 v[35:36], 4, v[14:15]
	v_add_co_u32 v31, vcc_lo, s4, v31
	v_add_co_ci_u32_e64 v32, null, s5, v32, vcc_lo
	v_add_nc_u32_e32 v14, -10, v13
	v_add_co_u32 v35, vcc_lo, s4, v35
	global_load_dwordx4 v[31:34], v[31:32], off
	v_add_co_ci_u32_e64 v36, null, s5, v36, vcc_lo
	v_lshlrev_b64 v[39:40], 4, v[14:15]
	v_add_nc_u32_e32 v14, 2, v16
	global_load_dwordx4 v[35:38], v[35:36], off
	v_lshlrev_b64 v[41:42], 4, v[14:15]
	v_add_co_u32 v39, vcc_lo, s2, v39
	v_add_co_ci_u32_e64 v40, null, s3, v40, vcc_lo
	v_add_nc_u32_e32 v14, -9, v13
	v_add_co_u32 v43, vcc_lo, s4, v41
	v_add_co_ci_u32_e64 v44, null, s5, v42, vcc_lo
	global_load_dwordx4 v[39:42], v[39:40], off
	v_lshlrev_b64 v[47:48], 4, v[14:15]
	v_add_nc_u32_e32 v14, 3, v16
	global_load_dwordx4 v[43:46], v[43:44], off
	v_lshlrev_b64 v[49:50], 4, v[14:15]
	v_add_co_u32 v47, vcc_lo, s2, v47
	v_add_co_ci_u32_e64 v48, null, s3, v48, vcc_lo
	v_add_nc_u32_e32 v14, -8, v13
	v_add_co_u32 v51, vcc_lo, s4, v49
	v_add_co_ci_u32_e64 v52, null, s5, v50, vcc_lo
	global_load_dwordx4 v[47:50], v[47:48], off
	;; [unrolled: 10-line block ×3, first 2 shown]
	v_lshlrev_b64 v[63:64], 4, v[14:15]
	v_add_nc_u32_e32 v14, 5, v16
	global_load_dwordx4 v[59:62], v[59:60], off
	v_lshlrev_b64 v[65:66], 4, v[14:15]
	v_add_co_u32 v63, vcc_lo, s2, v63
	v_add_co_ci_u32_e64 v64, null, s3, v64, vcc_lo
	v_add_nc_u32_e32 v14, -6, v13
	v_add_co_u32 v65, vcc_lo, s4, v65
	v_add_co_ci_u32_e64 v66, null, s5, v66, vcc_lo
	v_lshlrev_b64 v[67:68], 4, v[14:15]
	v_add_nc_u32_e32 v14, 6, v16
	s_waitcnt vmcnt(7)
	v_fma_f64 v[20:21], v[23:24], v[31:32], v[20:21]
	v_fma_f64 v[17:18], v[25:26], v[31:32], v[18:19]
	v_fma_f64 v[31:32], -v[25:26], v[33:34], v[20:21]
	v_fma_f64 v[33:34], v[23:24], v[33:34], v[17:18]
	global_load_dwordx4 v[17:20], v[63:64], off
	global_load_dwordx4 v[23:26], v[65:66], off
	v_lshlrev_b64 v[63:64], 4, v[14:15]
	v_add_co_u32 v65, vcc_lo, s2, v67
	v_add_co_ci_u32_e64 v66, null, s3, v68, vcc_lo
	v_add_nc_u32_e32 v14, -5, v13
	v_add_co_u32 v63, vcc_lo, s4, v63
	v_add_co_ci_u32_e64 v64, null, s5, v64, vcc_lo
	v_lshlrev_b64 v[67:68], 4, v[14:15]
	v_add_nc_u32_e32 v14, 7, v16
	s_waitcnt vmcnt(8)
	v_fma_f64 v[31:32], v[27:28], v[35:36], v[31:32]
	v_fma_f64 v[33:34], v[29:30], v[35:36], v[33:34]
	v_fma_f64 v[35:36], -v[29:30], v[37:38], v[31:32]
	v_fma_f64 v[37:38], v[27:28], v[37:38], v[33:34]
	global_load_dwordx4 v[27:30], v[65:66], off
	;; [unrolled: 15-line block ×3, first 2 shown]
	global_load_dwordx4 v[39:42], v[63:64], off
	v_lshlrev_b64 v[63:64], 4, v[14:15]
	v_add_co_u32 v65, vcc_lo, s2, v67
	v_add_co_ci_u32_e64 v66, null, s3, v68, vcc_lo
	v_add_nc_u32_e32 v14, -3, v13
	v_add_co_u32 v63, vcc_lo, s4, v63
	v_add_co_ci_u32_e64 v64, null, s5, v64, vcc_lo
	v_lshlrev_b64 v[67:68], 4, v[14:15]
	v_add_nc_u32_e32 v14, 9, v16
	s_waitcnt vmcnt(8)
	v_fma_f64 v[43:44], v[47:48], v[51:52], v[43:44]
	v_fma_f64 v[45:46], v[49:50], v[51:52], v[45:46]
	v_lshlrev_b64 v[51:52], 4, v[14:15]
	v_add_nc_u32_e32 v14, -2, v13
	v_fma_f64 v[69:70], -v[49:50], v[53:54], v[43:44]
	v_fma_f64 v[71:72], v[47:48], v[53:54], v[45:46]
	global_load_dwordx4 v[43:46], v[65:66], off
	global_load_dwordx4 v[47:50], v[63:64], off
	v_add_co_u32 v53, vcc_lo, s2, v67
	v_add_co_ci_u32_e64 v54, null, s3, v68, vcc_lo
	v_add_co_u32 v63, vcc_lo, s4, v51
	v_add_co_ci_u32_e64 v64, null, s5, v52, vcc_lo
	global_load_dwordx4 v[51:54], v[53:54], off
	s_waitcnt vmcnt(9)
	v_fma_f64 v[65:66], v[55:56], v[59:60], v[69:70]
	v_fma_f64 v[59:60], v[57:58], v[59:60], v[71:72]
	v_fma_f64 v[65:66], -v[57:58], v[61:62], v[65:66]
	v_fma_f64 v[67:68], v[55:56], v[61:62], v[59:60]
	global_load_dwordx4 v[55:58], v[63:64], off
	v_lshlrev_b64 v[59:60], 4, v[14:15]
	v_add_nc_u32_e32 v14, 10, v16
	v_lshlrev_b64 v[61:62], 4, v[14:15]
	v_add_co_u32 v59, vcc_lo, s2, v59
	v_add_co_ci_u32_e64 v60, null, s3, v60, vcc_lo
	v_add_nc_u32_e32 v14, -1, v13
	v_add_co_u32 v63, vcc_lo, s4, v61
	v_add_co_ci_u32_e64 v64, null, s5, v62, vcc_lo
	global_load_dwordx4 v[59:62], v[59:60], off
	s_waitcnt vmcnt(9)
	v_fma_f64 v[65:66], v[17:18], v[23:24], v[65:66]
	v_fma_f64 v[23:24], v[19:20], v[23:24], v[67:68]
	v_fma_f64 v[65:66], -v[19:20], v[25:26], v[65:66]
	v_fma_f64 v[67:68], v[17:18], v[25:26], v[23:24]
	global_load_dwordx4 v[17:20], v[63:64], off
	v_lshlrev_b64 v[23:24], 4, v[14:15]
	v_add_nc_u32_e32 v14, 11, v16
	v_lshlrev_b64 v[25:26], 4, v[14:15]
	v_add_co_u32 v23, vcc_lo, s2, v23
	v_add_co_ci_u32_e64 v24, null, s3, v24, vcc_lo
	v_mov_b32_e32 v14, v15
	v_add_co_u32 v63, vcc_lo, s4, v25
	v_add_co_ci_u32_e64 v64, null, s5, v26, vcc_lo
	global_load_dwordx4 v[23:26], v[23:24], off
	s_waitcnt vmcnt(9)
	v_fma_f64 v[65:66], v[27:28], v[31:32], v[65:66]
	v_fma_f64 v[31:32], v[29:30], v[31:32], v[67:68]
	v_fma_f64 v[67:68], -v[29:30], v[33:34], v[65:66]
	v_fma_f64 v[69:70], v[27:28], v[33:34], v[31:32]
	global_load_dwordx4 v[27:30], v[63:64], off
	v_lshlrev_b64 v[31:32], 4, v[13:14]
	v_add_nc_u32_e32 v14, 12, v16
	v_add_nc_u32_e32 v13, 0xd0, v13
	v_lshlrev_b64 v[33:34], 4, v[14:15]
	v_add_co_u32 v31, vcc_lo, s2, v31
	v_add_co_ci_u32_e64 v32, null, s3, v32, vcc_lo
	v_add_co_u32 v63, vcc_lo, s4, v33
	v_add_co_ci_u32_e64 v64, null, s5, v34, vcc_lo
	global_load_dwordx4 v[31:34], v[31:32], off
	global_load_dwordx4 v[63:66], v[63:64], off
	s_waitcnt vmcnt(10)
	v_fma_f64 v[67:68], v[35:36], v[39:40], v[67:68]
	v_fma_f64 v[39:40], v[37:38], v[39:40], v[69:70]
	v_cmp_ge_i32_e32 vcc_lo, v11, v22
	s_or_b32 s10, vcc_lo, s10
	v_fma_f64 v[37:38], -v[37:38], v[41:42], v[67:68]
	v_fma_f64 v[35:36], v[35:36], v[41:42], v[39:40]
	s_waitcnt vmcnt(8)
	v_fma_f64 v[37:38], v[43:44], v[47:48], v[37:38]
	v_fma_f64 v[35:36], v[45:46], v[47:48], v[35:36]
	v_fma_f64 v[37:38], -v[45:46], v[49:50], v[37:38]
	v_fma_f64 v[35:36], v[43:44], v[49:50], v[35:36]
	s_waitcnt vmcnt(6)
	v_fma_f64 v[37:38], v[51:52], v[55:56], v[37:38]
	v_fma_f64 v[35:36], v[53:54], v[55:56], v[35:36]
	;; [unrolled: 5-line block ×5, first 2 shown]
	v_fma_f64 v[20:21], -v[33:34], v[65:66], v[18:19]
	v_fma_f64 v[18:19], v[31:32], v[65:66], v[16:17]
	s_andn2_b32 exec_lo, exec_lo, s10
	s_cbranch_execnz .LBB285_6
; %bb.7:
	s_or_b32 exec_lo, exec_lo, s10
.LBB285_8:
	s_or_b32 exec_lo, exec_lo, s9
	v_mbcnt_lo_u32_b32 v22, -1, 0
	v_xor_b32_e32 v11, 8, v22
	v_xor_b32_e32 v15, 4, v22
	v_cmp_gt_i32_e32 vcc_lo, 32, v11
	v_cndmask_b32_e32 v11, v22, v11, vcc_lo
	v_cmp_gt_i32_e32 vcc_lo, 32, v15
	v_lshlrev_b32_e32 v14, 2, v11
	v_cndmask_b32_e32 v15, v22, v15, vcc_lo
	ds_bpermute_b32 v11, v14, v20
	ds_bpermute_b32 v12, v14, v21
	;; [unrolled: 1-line block ×4, first 2 shown]
	s_waitcnt lgkmcnt(2)
	v_add_f64 v[11:12], v[20:21], v[11:12]
	s_waitcnt lgkmcnt(0)
	v_add_f64 v[13:14], v[18:19], v[13:14]
	v_lshlrev_b32_e32 v18, 2, v15
	ds_bpermute_b32 v15, v18, v11
	ds_bpermute_b32 v16, v18, v12
	;; [unrolled: 1-line block ×4, first 2 shown]
	s_waitcnt lgkmcnt(2)
	v_add_f64 v[11:12], v[11:12], v[15:16]
	v_xor_b32_e32 v15, 2, v22
	s_waitcnt lgkmcnt(0)
	v_add_f64 v[13:14], v[13:14], v[17:18]
	v_cmp_gt_i32_e32 vcc_lo, 32, v15
	v_cndmask_b32_e32 v15, v22, v15, vcc_lo
	v_lshlrev_b32_e32 v18, 2, v15
	ds_bpermute_b32 v15, v18, v11
	ds_bpermute_b32 v16, v18, v12
	;; [unrolled: 1-line block ×4, first 2 shown]
	s_waitcnt lgkmcnt(2)
	v_add_f64 v[11:12], v[11:12], v[15:16]
	v_xor_b32_e32 v15, 1, v22
	s_waitcnt lgkmcnt(0)
	v_add_f64 v[13:14], v[13:14], v[17:18]
	v_cmp_gt_i32_e32 vcc_lo, 32, v15
	v_cndmask_b32_e32 v15, v22, v15, vcc_lo
	v_cmp_eq_u32_e32 vcc_lo, 15, v0
	v_lshlrev_b32_e32 v18, 2, v15
	ds_bpermute_b32 v15, v18, v11
	ds_bpermute_b32 v16, v18, v12
	;; [unrolled: 1-line block ×4, first 2 shown]
	s_and_b32 exec_lo, exec_lo, vcc_lo
	s_cbranch_execz .LBB285_13
; %bb.9:
	s_waitcnt lgkmcnt(0)
	v_add_f64 v[13:14], v[13:14], v[17:18]
	v_add_f64 v[11:12], v[11:12], v[15:16]
	v_cmp_eq_f64_e32 vcc_lo, 0, v[1:2]
	v_cmp_eq_f64_e64 s0, 0, v[3:4]
	v_lshlrev_b64 v[9:10], 4, v[9:10]
	v_mul_f64 v[15:16], v[13:14], -v[7:8]
	v_mul_f64 v[13:14], v[5:6], v[13:14]
	s_and_b32 s0, vcc_lo, s0
	v_fma_f64 v[5:6], v[5:6], v[11:12], v[15:16]
	v_fma_f64 v[7:8], v[7:8], v[11:12], v[13:14]
	s_and_saveexec_b32 s1, s0
	s_xor_b32 s0, exec_lo, s1
	s_cbranch_execz .LBB285_11
; %bb.10:
	v_add_co_u32 v0, vcc_lo, s6, v9
	v_add_co_ci_u32_e64 v1, null, s7, v10, vcc_lo
                                        ; implicit-def: $vgpr9_vgpr10
	global_store_dwordx4 v[0:1], v[5:8], off
                                        ; implicit-def: $vgpr1_vgpr2
                                        ; implicit-def: $vgpr5_vgpr6
.LBB285_11:
	s_andn2_saveexec_b32 s0, s0
	s_cbranch_execz .LBB285_13
; %bb.12:
	v_add_co_u32 v13, vcc_lo, s6, v9
	v_add_co_ci_u32_e64 v14, null, s7, v10, vcc_lo
	global_load_dwordx4 v[9:12], v[13:14], off
	s_waitcnt vmcnt(0)
	v_fma_f64 v[5:6], v[1:2], v[9:10], v[5:6]
	v_fma_f64 v[7:8], v[3:4], v[9:10], v[7:8]
	v_fma_f64 v[3:4], -v[3:4], v[11:12], v[5:6]
	v_fma_f64 v[5:6], v[1:2], v[11:12], v[7:8]
	global_store_dwordx4 v[13:14], v[3:6], off
.LBB285_13:
	s_endpgm
	.section	.rodata,"a",@progbits
	.p2align	6, 0x0
	.amdhsa_kernel _ZN9rocsparseL19gebsrmvn_1xn_kernelILj128ELj13ELj16E21rocsparse_complex_numIdEEEvi20rocsparse_direction_NS_24const_host_device_scalarIT2_EEPKiS8_PKS5_SA_S6_PS5_21rocsparse_index_base_b
		.amdhsa_group_segment_fixed_size 0
		.amdhsa_private_segment_fixed_size 0
		.amdhsa_kernarg_size 88
		.amdhsa_user_sgpr_count 6
		.amdhsa_user_sgpr_private_segment_buffer 1
		.amdhsa_user_sgpr_dispatch_ptr 0
		.amdhsa_user_sgpr_queue_ptr 0
		.amdhsa_user_sgpr_kernarg_segment_ptr 1
		.amdhsa_user_sgpr_dispatch_id 0
		.amdhsa_user_sgpr_flat_scratch_init 0
		.amdhsa_user_sgpr_private_segment_size 0
		.amdhsa_wavefront_size32 1
		.amdhsa_uses_dynamic_stack 0
		.amdhsa_system_sgpr_private_segment_wavefront_offset 0
		.amdhsa_system_sgpr_workgroup_id_x 1
		.amdhsa_system_sgpr_workgroup_id_y 0
		.amdhsa_system_sgpr_workgroup_id_z 0
		.amdhsa_system_sgpr_workgroup_info 0
		.amdhsa_system_vgpr_workitem_id 0
		.amdhsa_next_free_vgpr 73
		.amdhsa_next_free_sgpr 13
		.amdhsa_reserve_vcc 1
		.amdhsa_reserve_flat_scratch 0
		.amdhsa_float_round_mode_32 0
		.amdhsa_float_round_mode_16_64 0
		.amdhsa_float_denorm_mode_32 3
		.amdhsa_float_denorm_mode_16_64 3
		.amdhsa_dx10_clamp 1
		.amdhsa_ieee_mode 1
		.amdhsa_fp16_overflow 0
		.amdhsa_workgroup_processor_mode 1
		.amdhsa_memory_ordered 1
		.amdhsa_forward_progress 1
		.amdhsa_shared_vgpr_count 0
		.amdhsa_exception_fp_ieee_invalid_op 0
		.amdhsa_exception_fp_denorm_src 0
		.amdhsa_exception_fp_ieee_div_zero 0
		.amdhsa_exception_fp_ieee_overflow 0
		.amdhsa_exception_fp_ieee_underflow 0
		.amdhsa_exception_fp_ieee_inexact 0
		.amdhsa_exception_int_div_zero 0
	.end_amdhsa_kernel
	.section	.text._ZN9rocsparseL19gebsrmvn_1xn_kernelILj128ELj13ELj16E21rocsparse_complex_numIdEEEvi20rocsparse_direction_NS_24const_host_device_scalarIT2_EEPKiS8_PKS5_SA_S6_PS5_21rocsparse_index_base_b,"axG",@progbits,_ZN9rocsparseL19gebsrmvn_1xn_kernelILj128ELj13ELj16E21rocsparse_complex_numIdEEEvi20rocsparse_direction_NS_24const_host_device_scalarIT2_EEPKiS8_PKS5_SA_S6_PS5_21rocsparse_index_base_b,comdat
.Lfunc_end285:
	.size	_ZN9rocsparseL19gebsrmvn_1xn_kernelILj128ELj13ELj16E21rocsparse_complex_numIdEEEvi20rocsparse_direction_NS_24const_host_device_scalarIT2_EEPKiS8_PKS5_SA_S6_PS5_21rocsparse_index_base_b, .Lfunc_end285-_ZN9rocsparseL19gebsrmvn_1xn_kernelILj128ELj13ELj16E21rocsparse_complex_numIdEEEvi20rocsparse_direction_NS_24const_host_device_scalarIT2_EEPKiS8_PKS5_SA_S6_PS5_21rocsparse_index_base_b
                                        ; -- End function
	.set _ZN9rocsparseL19gebsrmvn_1xn_kernelILj128ELj13ELj16E21rocsparse_complex_numIdEEEvi20rocsparse_direction_NS_24const_host_device_scalarIT2_EEPKiS8_PKS5_SA_S6_PS5_21rocsparse_index_base_b.num_vgpr, 73
	.set _ZN9rocsparseL19gebsrmvn_1xn_kernelILj128ELj13ELj16E21rocsparse_complex_numIdEEEvi20rocsparse_direction_NS_24const_host_device_scalarIT2_EEPKiS8_PKS5_SA_S6_PS5_21rocsparse_index_base_b.num_agpr, 0
	.set _ZN9rocsparseL19gebsrmvn_1xn_kernelILj128ELj13ELj16E21rocsparse_complex_numIdEEEvi20rocsparse_direction_NS_24const_host_device_scalarIT2_EEPKiS8_PKS5_SA_S6_PS5_21rocsparse_index_base_b.numbered_sgpr, 13
	.set _ZN9rocsparseL19gebsrmvn_1xn_kernelILj128ELj13ELj16E21rocsparse_complex_numIdEEEvi20rocsparse_direction_NS_24const_host_device_scalarIT2_EEPKiS8_PKS5_SA_S6_PS5_21rocsparse_index_base_b.num_named_barrier, 0
	.set _ZN9rocsparseL19gebsrmvn_1xn_kernelILj128ELj13ELj16E21rocsparse_complex_numIdEEEvi20rocsparse_direction_NS_24const_host_device_scalarIT2_EEPKiS8_PKS5_SA_S6_PS5_21rocsparse_index_base_b.private_seg_size, 0
	.set _ZN9rocsparseL19gebsrmvn_1xn_kernelILj128ELj13ELj16E21rocsparse_complex_numIdEEEvi20rocsparse_direction_NS_24const_host_device_scalarIT2_EEPKiS8_PKS5_SA_S6_PS5_21rocsparse_index_base_b.uses_vcc, 1
	.set _ZN9rocsparseL19gebsrmvn_1xn_kernelILj128ELj13ELj16E21rocsparse_complex_numIdEEEvi20rocsparse_direction_NS_24const_host_device_scalarIT2_EEPKiS8_PKS5_SA_S6_PS5_21rocsparse_index_base_b.uses_flat_scratch, 0
	.set _ZN9rocsparseL19gebsrmvn_1xn_kernelILj128ELj13ELj16E21rocsparse_complex_numIdEEEvi20rocsparse_direction_NS_24const_host_device_scalarIT2_EEPKiS8_PKS5_SA_S6_PS5_21rocsparse_index_base_b.has_dyn_sized_stack, 0
	.set _ZN9rocsparseL19gebsrmvn_1xn_kernelILj128ELj13ELj16E21rocsparse_complex_numIdEEEvi20rocsparse_direction_NS_24const_host_device_scalarIT2_EEPKiS8_PKS5_SA_S6_PS5_21rocsparse_index_base_b.has_recursion, 0
	.set _ZN9rocsparseL19gebsrmvn_1xn_kernelILj128ELj13ELj16E21rocsparse_complex_numIdEEEvi20rocsparse_direction_NS_24const_host_device_scalarIT2_EEPKiS8_PKS5_SA_S6_PS5_21rocsparse_index_base_b.has_indirect_call, 0
	.section	.AMDGPU.csdata,"",@progbits
; Kernel info:
; codeLenInByte = 2344
; TotalNumSgprs: 15
; NumVgprs: 73
; ScratchSize: 0
; MemoryBound: 0
; FloatMode: 240
; IeeeMode: 1
; LDSByteSize: 0 bytes/workgroup (compile time only)
; SGPRBlocks: 0
; VGPRBlocks: 9
; NumSGPRsForWavesPerEU: 15
; NumVGPRsForWavesPerEU: 73
; Occupancy: 12
; WaveLimiterHint : 1
; COMPUTE_PGM_RSRC2:SCRATCH_EN: 0
; COMPUTE_PGM_RSRC2:USER_SGPR: 6
; COMPUTE_PGM_RSRC2:TRAP_HANDLER: 0
; COMPUTE_PGM_RSRC2:TGID_X_EN: 1
; COMPUTE_PGM_RSRC2:TGID_Y_EN: 0
; COMPUTE_PGM_RSRC2:TGID_Z_EN: 0
; COMPUTE_PGM_RSRC2:TIDIG_COMP_CNT: 0
	.section	.text._ZN9rocsparseL19gebsrmvn_1xn_kernelILj128ELj13ELj32E21rocsparse_complex_numIdEEEvi20rocsparse_direction_NS_24const_host_device_scalarIT2_EEPKiS8_PKS5_SA_S6_PS5_21rocsparse_index_base_b,"axG",@progbits,_ZN9rocsparseL19gebsrmvn_1xn_kernelILj128ELj13ELj32E21rocsparse_complex_numIdEEEvi20rocsparse_direction_NS_24const_host_device_scalarIT2_EEPKiS8_PKS5_SA_S6_PS5_21rocsparse_index_base_b,comdat
	.globl	_ZN9rocsparseL19gebsrmvn_1xn_kernelILj128ELj13ELj32E21rocsparse_complex_numIdEEEvi20rocsparse_direction_NS_24const_host_device_scalarIT2_EEPKiS8_PKS5_SA_S6_PS5_21rocsparse_index_base_b ; -- Begin function _ZN9rocsparseL19gebsrmvn_1xn_kernelILj128ELj13ELj32E21rocsparse_complex_numIdEEEvi20rocsparse_direction_NS_24const_host_device_scalarIT2_EEPKiS8_PKS5_SA_S6_PS5_21rocsparse_index_base_b
	.p2align	8
	.type	_ZN9rocsparseL19gebsrmvn_1xn_kernelILj128ELj13ELj32E21rocsparse_complex_numIdEEEvi20rocsparse_direction_NS_24const_host_device_scalarIT2_EEPKiS8_PKS5_SA_S6_PS5_21rocsparse_index_base_b,@function
_ZN9rocsparseL19gebsrmvn_1xn_kernelILj128ELj13ELj32E21rocsparse_complex_numIdEEEvi20rocsparse_direction_NS_24const_host_device_scalarIT2_EEPKiS8_PKS5_SA_S6_PS5_21rocsparse_index_base_b: ; @_ZN9rocsparseL19gebsrmvn_1xn_kernelILj128ELj13ELj32E21rocsparse_complex_numIdEEEvi20rocsparse_direction_NS_24const_host_device_scalarIT2_EEPKiS8_PKS5_SA_S6_PS5_21rocsparse_index_base_b
; %bb.0:
	s_clause 0x1
	s_load_dwordx2 s[8:9], s[4:5], 0x50
	s_load_dwordx2 s[0:1], s[4:5], 0x8
	s_add_u32 s7, s4, 8
	s_addc_u32 s10, s5, 0
	s_add_u32 s11, s4, 56
	s_addc_u32 s12, s5, 0
	s_load_dwordx2 s[2:3], s[4:5], 0x38
	s_waitcnt lgkmcnt(0)
	s_bitcmp1_b32 s9, 0
	s_cselect_b32 s0, s7, s0
	s_cselect_b32 s1, s10, s1
	v_mov_b32_e32 v1, s0
	v_mov_b32_e32 v2, s1
	s_cselect_b32 s0, s11, s2
	s_cselect_b32 s1, s12, s3
	flat_load_dwordx4 v[5:8], v[1:2]
	v_mov_b32_e32 v1, s0
	v_mov_b32_e32 v2, s1
	flat_load_dwordx4 v[1:4], v[1:2]
	s_waitcnt vmcnt(1) lgkmcnt(1)
	v_cmp_eq_f64_e32 vcc_lo, 0, v[5:6]
	v_cmp_eq_f64_e64 s0, 0, v[7:8]
	s_and_b32 s2, vcc_lo, s0
	s_mov_b32 s0, -1
	s_and_saveexec_b32 s1, s2
	s_cbranch_execz .LBB286_2
; %bb.1:
	s_waitcnt vmcnt(0) lgkmcnt(0)
	v_cmp_neq_f64_e32 vcc_lo, 1.0, v[1:2]
	v_cmp_neq_f64_e64 s0, 0, v[3:4]
	s_or_b32 s0, vcc_lo, s0
	s_orn2_b32 s0, s0, exec_lo
.LBB286_2:
	s_or_b32 exec_lo, exec_lo, s1
	s_and_saveexec_b32 s1, s0
	s_cbranch_execz .LBB286_13
; %bb.3:
	s_load_dword s0, s[4:5], 0x0
	v_lshrrev_b32_e32 v9, 5, v0
	v_lshl_or_b32 v9, s6, 2, v9
	s_waitcnt lgkmcnt(0)
	v_cmp_gt_i32_e32 vcc_lo, s0, v9
	s_and_b32 exec_lo, exec_lo, vcc_lo
	s_cbranch_execz .LBB286_13
; %bb.4:
	s_clause 0x1
	s_load_dwordx2 s[0:1], s[4:5], 0x18
	s_load_dwordx2 s[6:7], s[4:5], 0x48
	v_ashrrev_i32_e32 v10, 31, v9
	v_and_b32_e32 v0, 31, v0
	v_mov_b32_e32 v18, 0
	v_mov_b32_e32 v20, 0
	;; [unrolled: 1-line block ×3, first 2 shown]
	v_lshlrev_b64 v[11:12], 2, v[9:10]
	v_subrev_nc_u32_e32 v13, s8, v0
	v_mov_b32_e32 v21, 0
	s_mov_b32 s9, exec_lo
	s_waitcnt lgkmcnt(0)
	v_add_co_u32 v11, vcc_lo, s0, v11
	v_add_co_ci_u32_e64 v12, null, s1, v12, vcc_lo
	global_load_dwordx2 v[11:12], v[11:12], off
	s_waitcnt vmcnt(0)
	v_subrev_nc_u32_e32 v22, s8, v12
	v_add_nc_u32_e32 v11, v11, v13
	v_cmpx_lt_i32_e64 v11, v22
	s_cbranch_execz .LBB286_8
; %bb.5:
	s_clause 0x1
	s_load_dwordx4 s[0:3], s[4:5], 0x20
	s_load_dwordx2 s[4:5], s[4:5], 0x30
	v_mad_u64_u32 v[13:14], null, v11, 13, 12
	v_mov_b32_e32 v18, 0
	v_mov_b32_e32 v20, 0
	;; [unrolled: 1-line block ×5, first 2 shown]
	s_mov_b32 s10, 0
.LBB286_6:                              ; =>This Inner Loop Header: Depth=1
	v_ashrrev_i32_e32 v12, 31, v11
	v_add_nc_u32_e32 v14, -12, v13
	v_lshlrev_b64 v[16:17], 2, v[11:12]
	v_lshlrev_b64 v[23:24], 4, v[14:15]
	v_add_nc_u32_e32 v14, -11, v13
	v_add_nc_u32_e32 v11, 32, v11
	s_waitcnt lgkmcnt(0)
	v_add_co_u32 v16, vcc_lo, s0, v16
	v_add_co_ci_u32_e64 v17, null, s1, v17, vcc_lo
	v_lshlrev_b64 v[25:26], 4, v[14:15]
	v_add_co_u32 v23, vcc_lo, s2, v23
	global_load_dword v12, v[16:17], off
	v_mov_b32_e32 v17, v15
	v_add_co_ci_u32_e64 v24, null, s3, v24, vcc_lo
	v_add_co_u32 v27, vcc_lo, s2, v25
	v_add_co_ci_u32_e64 v28, null, s3, v26, vcc_lo
	s_clause 0x1
	global_load_dwordx4 v[23:26], v[23:24], off
	global_load_dwordx4 v[27:30], v[27:28], off
	s_waitcnt vmcnt(2)
	v_subrev_nc_u32_e32 v12, s8, v12
	v_mul_lo_u32 v16, v12, 13
	v_lshlrev_b64 v[31:32], 4, v[16:17]
	v_add_nc_u32_e32 v14, 1, v16
	v_lshlrev_b64 v[35:36], 4, v[14:15]
	v_add_co_u32 v31, vcc_lo, s4, v31
	v_add_co_ci_u32_e64 v32, null, s5, v32, vcc_lo
	v_add_nc_u32_e32 v14, -10, v13
	v_add_co_u32 v35, vcc_lo, s4, v35
	global_load_dwordx4 v[31:34], v[31:32], off
	v_add_co_ci_u32_e64 v36, null, s5, v36, vcc_lo
	v_lshlrev_b64 v[39:40], 4, v[14:15]
	v_add_nc_u32_e32 v14, 2, v16
	global_load_dwordx4 v[35:38], v[35:36], off
	v_lshlrev_b64 v[41:42], 4, v[14:15]
	v_add_co_u32 v39, vcc_lo, s2, v39
	v_add_co_ci_u32_e64 v40, null, s3, v40, vcc_lo
	v_add_nc_u32_e32 v14, -9, v13
	v_add_co_u32 v43, vcc_lo, s4, v41
	v_add_co_ci_u32_e64 v44, null, s5, v42, vcc_lo
	global_load_dwordx4 v[39:42], v[39:40], off
	v_lshlrev_b64 v[47:48], 4, v[14:15]
	v_add_nc_u32_e32 v14, 3, v16
	global_load_dwordx4 v[43:46], v[43:44], off
	v_lshlrev_b64 v[49:50], 4, v[14:15]
	v_add_co_u32 v47, vcc_lo, s2, v47
	v_add_co_ci_u32_e64 v48, null, s3, v48, vcc_lo
	v_add_nc_u32_e32 v14, -8, v13
	v_add_co_u32 v51, vcc_lo, s4, v49
	v_add_co_ci_u32_e64 v52, null, s5, v50, vcc_lo
	global_load_dwordx4 v[47:50], v[47:48], off
	;; [unrolled: 10-line block ×3, first 2 shown]
	v_lshlrev_b64 v[63:64], 4, v[14:15]
	v_add_nc_u32_e32 v14, 5, v16
	global_load_dwordx4 v[59:62], v[59:60], off
	v_lshlrev_b64 v[65:66], 4, v[14:15]
	v_add_co_u32 v63, vcc_lo, s2, v63
	v_add_co_ci_u32_e64 v64, null, s3, v64, vcc_lo
	v_add_nc_u32_e32 v14, -6, v13
	v_add_co_u32 v65, vcc_lo, s4, v65
	v_add_co_ci_u32_e64 v66, null, s5, v66, vcc_lo
	v_lshlrev_b64 v[67:68], 4, v[14:15]
	v_add_nc_u32_e32 v14, 6, v16
	s_waitcnt vmcnt(7)
	v_fma_f64 v[20:21], v[23:24], v[31:32], v[20:21]
	v_fma_f64 v[17:18], v[25:26], v[31:32], v[18:19]
	v_fma_f64 v[31:32], -v[25:26], v[33:34], v[20:21]
	v_fma_f64 v[33:34], v[23:24], v[33:34], v[17:18]
	global_load_dwordx4 v[17:20], v[63:64], off
	global_load_dwordx4 v[23:26], v[65:66], off
	v_lshlrev_b64 v[63:64], 4, v[14:15]
	v_add_co_u32 v65, vcc_lo, s2, v67
	v_add_co_ci_u32_e64 v66, null, s3, v68, vcc_lo
	v_add_nc_u32_e32 v14, -5, v13
	v_add_co_u32 v63, vcc_lo, s4, v63
	v_add_co_ci_u32_e64 v64, null, s5, v64, vcc_lo
	v_lshlrev_b64 v[67:68], 4, v[14:15]
	v_add_nc_u32_e32 v14, 7, v16
	s_waitcnt vmcnt(8)
	v_fma_f64 v[31:32], v[27:28], v[35:36], v[31:32]
	v_fma_f64 v[33:34], v[29:30], v[35:36], v[33:34]
	v_fma_f64 v[35:36], -v[29:30], v[37:38], v[31:32]
	v_fma_f64 v[37:38], v[27:28], v[37:38], v[33:34]
	global_load_dwordx4 v[27:30], v[65:66], off
	;; [unrolled: 15-line block ×3, first 2 shown]
	global_load_dwordx4 v[39:42], v[63:64], off
	v_lshlrev_b64 v[63:64], 4, v[14:15]
	v_add_co_u32 v65, vcc_lo, s2, v67
	v_add_co_ci_u32_e64 v66, null, s3, v68, vcc_lo
	v_add_nc_u32_e32 v14, -3, v13
	v_add_co_u32 v63, vcc_lo, s4, v63
	v_add_co_ci_u32_e64 v64, null, s5, v64, vcc_lo
	v_lshlrev_b64 v[67:68], 4, v[14:15]
	v_add_nc_u32_e32 v14, 9, v16
	s_waitcnt vmcnt(8)
	v_fma_f64 v[43:44], v[47:48], v[51:52], v[43:44]
	v_fma_f64 v[45:46], v[49:50], v[51:52], v[45:46]
	v_lshlrev_b64 v[51:52], 4, v[14:15]
	v_add_nc_u32_e32 v14, -2, v13
	v_fma_f64 v[69:70], -v[49:50], v[53:54], v[43:44]
	v_fma_f64 v[71:72], v[47:48], v[53:54], v[45:46]
	global_load_dwordx4 v[43:46], v[65:66], off
	global_load_dwordx4 v[47:50], v[63:64], off
	v_add_co_u32 v53, vcc_lo, s2, v67
	v_add_co_ci_u32_e64 v54, null, s3, v68, vcc_lo
	v_add_co_u32 v63, vcc_lo, s4, v51
	v_add_co_ci_u32_e64 v64, null, s5, v52, vcc_lo
	global_load_dwordx4 v[51:54], v[53:54], off
	s_waitcnt vmcnt(9)
	v_fma_f64 v[65:66], v[55:56], v[59:60], v[69:70]
	v_fma_f64 v[59:60], v[57:58], v[59:60], v[71:72]
	v_fma_f64 v[65:66], -v[57:58], v[61:62], v[65:66]
	v_fma_f64 v[67:68], v[55:56], v[61:62], v[59:60]
	global_load_dwordx4 v[55:58], v[63:64], off
	v_lshlrev_b64 v[59:60], 4, v[14:15]
	v_add_nc_u32_e32 v14, 10, v16
	v_lshlrev_b64 v[61:62], 4, v[14:15]
	v_add_co_u32 v59, vcc_lo, s2, v59
	v_add_co_ci_u32_e64 v60, null, s3, v60, vcc_lo
	v_add_nc_u32_e32 v14, -1, v13
	v_add_co_u32 v63, vcc_lo, s4, v61
	v_add_co_ci_u32_e64 v64, null, s5, v62, vcc_lo
	global_load_dwordx4 v[59:62], v[59:60], off
	s_waitcnt vmcnt(9)
	v_fma_f64 v[65:66], v[17:18], v[23:24], v[65:66]
	v_fma_f64 v[23:24], v[19:20], v[23:24], v[67:68]
	v_fma_f64 v[65:66], -v[19:20], v[25:26], v[65:66]
	v_fma_f64 v[67:68], v[17:18], v[25:26], v[23:24]
	global_load_dwordx4 v[17:20], v[63:64], off
	v_lshlrev_b64 v[23:24], 4, v[14:15]
	v_add_nc_u32_e32 v14, 11, v16
	v_lshlrev_b64 v[25:26], 4, v[14:15]
	v_add_co_u32 v23, vcc_lo, s2, v23
	v_add_co_ci_u32_e64 v24, null, s3, v24, vcc_lo
	v_mov_b32_e32 v14, v15
	v_add_co_u32 v63, vcc_lo, s4, v25
	v_add_co_ci_u32_e64 v64, null, s5, v26, vcc_lo
	global_load_dwordx4 v[23:26], v[23:24], off
	s_waitcnt vmcnt(9)
	v_fma_f64 v[65:66], v[27:28], v[31:32], v[65:66]
	v_fma_f64 v[31:32], v[29:30], v[31:32], v[67:68]
	v_fma_f64 v[67:68], -v[29:30], v[33:34], v[65:66]
	v_fma_f64 v[69:70], v[27:28], v[33:34], v[31:32]
	global_load_dwordx4 v[27:30], v[63:64], off
	v_lshlrev_b64 v[31:32], 4, v[13:14]
	v_add_nc_u32_e32 v14, 12, v16
	v_add_nc_u32_e32 v13, 0x1a0, v13
	v_lshlrev_b64 v[33:34], 4, v[14:15]
	v_add_co_u32 v31, vcc_lo, s2, v31
	v_add_co_ci_u32_e64 v32, null, s3, v32, vcc_lo
	v_add_co_u32 v63, vcc_lo, s4, v33
	v_add_co_ci_u32_e64 v64, null, s5, v34, vcc_lo
	global_load_dwordx4 v[31:34], v[31:32], off
	global_load_dwordx4 v[63:66], v[63:64], off
	s_waitcnt vmcnt(10)
	v_fma_f64 v[67:68], v[35:36], v[39:40], v[67:68]
	v_fma_f64 v[39:40], v[37:38], v[39:40], v[69:70]
	v_cmp_ge_i32_e32 vcc_lo, v11, v22
	s_or_b32 s10, vcc_lo, s10
	v_fma_f64 v[37:38], -v[37:38], v[41:42], v[67:68]
	v_fma_f64 v[35:36], v[35:36], v[41:42], v[39:40]
	s_waitcnt vmcnt(8)
	v_fma_f64 v[37:38], v[43:44], v[47:48], v[37:38]
	v_fma_f64 v[35:36], v[45:46], v[47:48], v[35:36]
	v_fma_f64 v[37:38], -v[45:46], v[49:50], v[37:38]
	v_fma_f64 v[35:36], v[43:44], v[49:50], v[35:36]
	s_waitcnt vmcnt(6)
	v_fma_f64 v[37:38], v[51:52], v[55:56], v[37:38]
	v_fma_f64 v[35:36], v[53:54], v[55:56], v[35:36]
	;; [unrolled: 5-line block ×5, first 2 shown]
	v_fma_f64 v[20:21], -v[33:34], v[65:66], v[18:19]
	v_fma_f64 v[18:19], v[31:32], v[65:66], v[16:17]
	s_andn2_b32 exec_lo, exec_lo, s10
	s_cbranch_execnz .LBB286_6
; %bb.7:
	s_or_b32 exec_lo, exec_lo, s10
.LBB286_8:
	s_or_b32 exec_lo, exec_lo, s9
	v_mbcnt_lo_u32_b32 v22, -1, 0
	v_xor_b32_e32 v11, 16, v22
	v_xor_b32_e32 v15, 8, v22
	v_cmp_gt_i32_e32 vcc_lo, 32, v11
	v_cndmask_b32_e32 v11, v22, v11, vcc_lo
	v_cmp_gt_i32_e32 vcc_lo, 32, v15
	v_lshlrev_b32_e32 v14, 2, v11
	v_cndmask_b32_e32 v15, v22, v15, vcc_lo
	ds_bpermute_b32 v11, v14, v20
	ds_bpermute_b32 v12, v14, v21
	;; [unrolled: 1-line block ×4, first 2 shown]
	s_waitcnt lgkmcnt(2)
	v_add_f64 v[11:12], v[20:21], v[11:12]
	s_waitcnt lgkmcnt(0)
	v_add_f64 v[13:14], v[18:19], v[13:14]
	v_lshlrev_b32_e32 v18, 2, v15
	ds_bpermute_b32 v15, v18, v11
	ds_bpermute_b32 v16, v18, v12
	ds_bpermute_b32 v17, v18, v13
	ds_bpermute_b32 v18, v18, v14
	s_waitcnt lgkmcnt(2)
	v_add_f64 v[11:12], v[11:12], v[15:16]
	v_xor_b32_e32 v15, 4, v22
	s_waitcnt lgkmcnt(0)
	v_add_f64 v[13:14], v[13:14], v[17:18]
	v_cmp_gt_i32_e32 vcc_lo, 32, v15
	v_cndmask_b32_e32 v15, v22, v15, vcc_lo
	v_lshlrev_b32_e32 v18, 2, v15
	ds_bpermute_b32 v15, v18, v11
	ds_bpermute_b32 v16, v18, v12
	ds_bpermute_b32 v17, v18, v13
	ds_bpermute_b32 v18, v18, v14
	s_waitcnt lgkmcnt(2)
	v_add_f64 v[11:12], v[11:12], v[15:16]
	v_xor_b32_e32 v15, 2, v22
	s_waitcnt lgkmcnt(0)
	v_add_f64 v[13:14], v[13:14], v[17:18]
	v_cmp_gt_i32_e32 vcc_lo, 32, v15
	v_cndmask_b32_e32 v15, v22, v15, vcc_lo
	;; [unrolled: 12-line block ×3, first 2 shown]
	v_cmp_eq_u32_e32 vcc_lo, 31, v0
	v_lshlrev_b32_e32 v18, 2, v15
	ds_bpermute_b32 v15, v18, v11
	ds_bpermute_b32 v16, v18, v12
	;; [unrolled: 1-line block ×4, first 2 shown]
	s_and_b32 exec_lo, exec_lo, vcc_lo
	s_cbranch_execz .LBB286_13
; %bb.9:
	s_waitcnt lgkmcnt(0)
	v_add_f64 v[13:14], v[13:14], v[17:18]
	v_add_f64 v[11:12], v[11:12], v[15:16]
	v_cmp_eq_f64_e32 vcc_lo, 0, v[1:2]
	v_cmp_eq_f64_e64 s0, 0, v[3:4]
	v_lshlrev_b64 v[9:10], 4, v[9:10]
	v_mul_f64 v[15:16], v[13:14], -v[7:8]
	v_mul_f64 v[13:14], v[5:6], v[13:14]
	s_and_b32 s0, vcc_lo, s0
	v_fma_f64 v[5:6], v[5:6], v[11:12], v[15:16]
	v_fma_f64 v[7:8], v[7:8], v[11:12], v[13:14]
	s_and_saveexec_b32 s1, s0
	s_xor_b32 s0, exec_lo, s1
	s_cbranch_execz .LBB286_11
; %bb.10:
	v_add_co_u32 v0, vcc_lo, s6, v9
	v_add_co_ci_u32_e64 v1, null, s7, v10, vcc_lo
                                        ; implicit-def: $vgpr9_vgpr10
	global_store_dwordx4 v[0:1], v[5:8], off
                                        ; implicit-def: $vgpr1_vgpr2
                                        ; implicit-def: $vgpr5_vgpr6
.LBB286_11:
	s_andn2_saveexec_b32 s0, s0
	s_cbranch_execz .LBB286_13
; %bb.12:
	v_add_co_u32 v13, vcc_lo, s6, v9
	v_add_co_ci_u32_e64 v14, null, s7, v10, vcc_lo
	global_load_dwordx4 v[9:12], v[13:14], off
	s_waitcnt vmcnt(0)
	v_fma_f64 v[5:6], v[1:2], v[9:10], v[5:6]
	v_fma_f64 v[7:8], v[3:4], v[9:10], v[7:8]
	v_fma_f64 v[3:4], -v[3:4], v[11:12], v[5:6]
	v_fma_f64 v[5:6], v[1:2], v[11:12], v[7:8]
	global_store_dwordx4 v[13:14], v[3:6], off
.LBB286_13:
	s_endpgm
	.section	.rodata,"a",@progbits
	.p2align	6, 0x0
	.amdhsa_kernel _ZN9rocsparseL19gebsrmvn_1xn_kernelILj128ELj13ELj32E21rocsparse_complex_numIdEEEvi20rocsparse_direction_NS_24const_host_device_scalarIT2_EEPKiS8_PKS5_SA_S6_PS5_21rocsparse_index_base_b
		.amdhsa_group_segment_fixed_size 0
		.amdhsa_private_segment_fixed_size 0
		.amdhsa_kernarg_size 88
		.amdhsa_user_sgpr_count 6
		.amdhsa_user_sgpr_private_segment_buffer 1
		.amdhsa_user_sgpr_dispatch_ptr 0
		.amdhsa_user_sgpr_queue_ptr 0
		.amdhsa_user_sgpr_kernarg_segment_ptr 1
		.amdhsa_user_sgpr_dispatch_id 0
		.amdhsa_user_sgpr_flat_scratch_init 0
		.amdhsa_user_sgpr_private_segment_size 0
		.amdhsa_wavefront_size32 1
		.amdhsa_uses_dynamic_stack 0
		.amdhsa_system_sgpr_private_segment_wavefront_offset 0
		.amdhsa_system_sgpr_workgroup_id_x 1
		.amdhsa_system_sgpr_workgroup_id_y 0
		.amdhsa_system_sgpr_workgroup_id_z 0
		.amdhsa_system_sgpr_workgroup_info 0
		.amdhsa_system_vgpr_workitem_id 0
		.amdhsa_next_free_vgpr 73
		.amdhsa_next_free_sgpr 13
		.amdhsa_reserve_vcc 1
		.amdhsa_reserve_flat_scratch 0
		.amdhsa_float_round_mode_32 0
		.amdhsa_float_round_mode_16_64 0
		.amdhsa_float_denorm_mode_32 3
		.amdhsa_float_denorm_mode_16_64 3
		.amdhsa_dx10_clamp 1
		.amdhsa_ieee_mode 1
		.amdhsa_fp16_overflow 0
		.amdhsa_workgroup_processor_mode 1
		.amdhsa_memory_ordered 1
		.amdhsa_forward_progress 1
		.amdhsa_shared_vgpr_count 0
		.amdhsa_exception_fp_ieee_invalid_op 0
		.amdhsa_exception_fp_denorm_src 0
		.amdhsa_exception_fp_ieee_div_zero 0
		.amdhsa_exception_fp_ieee_overflow 0
		.amdhsa_exception_fp_ieee_underflow 0
		.amdhsa_exception_fp_ieee_inexact 0
		.amdhsa_exception_int_div_zero 0
	.end_amdhsa_kernel
	.section	.text._ZN9rocsparseL19gebsrmvn_1xn_kernelILj128ELj13ELj32E21rocsparse_complex_numIdEEEvi20rocsparse_direction_NS_24const_host_device_scalarIT2_EEPKiS8_PKS5_SA_S6_PS5_21rocsparse_index_base_b,"axG",@progbits,_ZN9rocsparseL19gebsrmvn_1xn_kernelILj128ELj13ELj32E21rocsparse_complex_numIdEEEvi20rocsparse_direction_NS_24const_host_device_scalarIT2_EEPKiS8_PKS5_SA_S6_PS5_21rocsparse_index_base_b,comdat
.Lfunc_end286:
	.size	_ZN9rocsparseL19gebsrmvn_1xn_kernelILj128ELj13ELj32E21rocsparse_complex_numIdEEEvi20rocsparse_direction_NS_24const_host_device_scalarIT2_EEPKiS8_PKS5_SA_S6_PS5_21rocsparse_index_base_b, .Lfunc_end286-_ZN9rocsparseL19gebsrmvn_1xn_kernelILj128ELj13ELj32E21rocsparse_complex_numIdEEEvi20rocsparse_direction_NS_24const_host_device_scalarIT2_EEPKiS8_PKS5_SA_S6_PS5_21rocsparse_index_base_b
                                        ; -- End function
	.set _ZN9rocsparseL19gebsrmvn_1xn_kernelILj128ELj13ELj32E21rocsparse_complex_numIdEEEvi20rocsparse_direction_NS_24const_host_device_scalarIT2_EEPKiS8_PKS5_SA_S6_PS5_21rocsparse_index_base_b.num_vgpr, 73
	.set _ZN9rocsparseL19gebsrmvn_1xn_kernelILj128ELj13ELj32E21rocsparse_complex_numIdEEEvi20rocsparse_direction_NS_24const_host_device_scalarIT2_EEPKiS8_PKS5_SA_S6_PS5_21rocsparse_index_base_b.num_agpr, 0
	.set _ZN9rocsparseL19gebsrmvn_1xn_kernelILj128ELj13ELj32E21rocsparse_complex_numIdEEEvi20rocsparse_direction_NS_24const_host_device_scalarIT2_EEPKiS8_PKS5_SA_S6_PS5_21rocsparse_index_base_b.numbered_sgpr, 13
	.set _ZN9rocsparseL19gebsrmvn_1xn_kernelILj128ELj13ELj32E21rocsparse_complex_numIdEEEvi20rocsparse_direction_NS_24const_host_device_scalarIT2_EEPKiS8_PKS5_SA_S6_PS5_21rocsparse_index_base_b.num_named_barrier, 0
	.set _ZN9rocsparseL19gebsrmvn_1xn_kernelILj128ELj13ELj32E21rocsparse_complex_numIdEEEvi20rocsparse_direction_NS_24const_host_device_scalarIT2_EEPKiS8_PKS5_SA_S6_PS5_21rocsparse_index_base_b.private_seg_size, 0
	.set _ZN9rocsparseL19gebsrmvn_1xn_kernelILj128ELj13ELj32E21rocsparse_complex_numIdEEEvi20rocsparse_direction_NS_24const_host_device_scalarIT2_EEPKiS8_PKS5_SA_S6_PS5_21rocsparse_index_base_b.uses_vcc, 1
	.set _ZN9rocsparseL19gebsrmvn_1xn_kernelILj128ELj13ELj32E21rocsparse_complex_numIdEEEvi20rocsparse_direction_NS_24const_host_device_scalarIT2_EEPKiS8_PKS5_SA_S6_PS5_21rocsparse_index_base_b.uses_flat_scratch, 0
	.set _ZN9rocsparseL19gebsrmvn_1xn_kernelILj128ELj13ELj32E21rocsparse_complex_numIdEEEvi20rocsparse_direction_NS_24const_host_device_scalarIT2_EEPKiS8_PKS5_SA_S6_PS5_21rocsparse_index_base_b.has_dyn_sized_stack, 0
	.set _ZN9rocsparseL19gebsrmvn_1xn_kernelILj128ELj13ELj32E21rocsparse_complex_numIdEEEvi20rocsparse_direction_NS_24const_host_device_scalarIT2_EEPKiS8_PKS5_SA_S6_PS5_21rocsparse_index_base_b.has_recursion, 0
	.set _ZN9rocsparseL19gebsrmvn_1xn_kernelILj128ELj13ELj32E21rocsparse_complex_numIdEEEvi20rocsparse_direction_NS_24const_host_device_scalarIT2_EEPKiS8_PKS5_SA_S6_PS5_21rocsparse_index_base_b.has_indirect_call, 0
	.section	.AMDGPU.csdata,"",@progbits
; Kernel info:
; codeLenInByte = 2416
; TotalNumSgprs: 15
; NumVgprs: 73
; ScratchSize: 0
; MemoryBound: 0
; FloatMode: 240
; IeeeMode: 1
; LDSByteSize: 0 bytes/workgroup (compile time only)
; SGPRBlocks: 0
; VGPRBlocks: 9
; NumSGPRsForWavesPerEU: 15
; NumVGPRsForWavesPerEU: 73
; Occupancy: 12
; WaveLimiterHint : 1
; COMPUTE_PGM_RSRC2:SCRATCH_EN: 0
; COMPUTE_PGM_RSRC2:USER_SGPR: 6
; COMPUTE_PGM_RSRC2:TRAP_HANDLER: 0
; COMPUTE_PGM_RSRC2:TGID_X_EN: 1
; COMPUTE_PGM_RSRC2:TGID_Y_EN: 0
; COMPUTE_PGM_RSRC2:TGID_Z_EN: 0
; COMPUTE_PGM_RSRC2:TIDIG_COMP_CNT: 0
	.section	.text._ZN9rocsparseL19gebsrmvn_1xn_kernelILj128ELj13ELj64E21rocsparse_complex_numIdEEEvi20rocsparse_direction_NS_24const_host_device_scalarIT2_EEPKiS8_PKS5_SA_S6_PS5_21rocsparse_index_base_b,"axG",@progbits,_ZN9rocsparseL19gebsrmvn_1xn_kernelILj128ELj13ELj64E21rocsparse_complex_numIdEEEvi20rocsparse_direction_NS_24const_host_device_scalarIT2_EEPKiS8_PKS5_SA_S6_PS5_21rocsparse_index_base_b,comdat
	.globl	_ZN9rocsparseL19gebsrmvn_1xn_kernelILj128ELj13ELj64E21rocsparse_complex_numIdEEEvi20rocsparse_direction_NS_24const_host_device_scalarIT2_EEPKiS8_PKS5_SA_S6_PS5_21rocsparse_index_base_b ; -- Begin function _ZN9rocsparseL19gebsrmvn_1xn_kernelILj128ELj13ELj64E21rocsparse_complex_numIdEEEvi20rocsparse_direction_NS_24const_host_device_scalarIT2_EEPKiS8_PKS5_SA_S6_PS5_21rocsparse_index_base_b
	.p2align	8
	.type	_ZN9rocsparseL19gebsrmvn_1xn_kernelILj128ELj13ELj64E21rocsparse_complex_numIdEEEvi20rocsparse_direction_NS_24const_host_device_scalarIT2_EEPKiS8_PKS5_SA_S6_PS5_21rocsparse_index_base_b,@function
_ZN9rocsparseL19gebsrmvn_1xn_kernelILj128ELj13ELj64E21rocsparse_complex_numIdEEEvi20rocsparse_direction_NS_24const_host_device_scalarIT2_EEPKiS8_PKS5_SA_S6_PS5_21rocsparse_index_base_b: ; @_ZN9rocsparseL19gebsrmvn_1xn_kernelILj128ELj13ELj64E21rocsparse_complex_numIdEEEvi20rocsparse_direction_NS_24const_host_device_scalarIT2_EEPKiS8_PKS5_SA_S6_PS5_21rocsparse_index_base_b
; %bb.0:
	s_clause 0x1
	s_load_dwordx2 s[8:9], s[4:5], 0x50
	s_load_dwordx2 s[0:1], s[4:5], 0x8
	s_add_u32 s7, s4, 8
	s_addc_u32 s10, s5, 0
	s_add_u32 s11, s4, 56
	s_addc_u32 s12, s5, 0
	s_load_dwordx2 s[2:3], s[4:5], 0x38
	s_waitcnt lgkmcnt(0)
	s_bitcmp1_b32 s9, 0
	s_cselect_b32 s0, s7, s0
	s_cselect_b32 s1, s10, s1
	v_mov_b32_e32 v1, s0
	v_mov_b32_e32 v2, s1
	s_cselect_b32 s0, s11, s2
	s_cselect_b32 s1, s12, s3
	flat_load_dwordx4 v[5:8], v[1:2]
	v_mov_b32_e32 v1, s0
	v_mov_b32_e32 v2, s1
	flat_load_dwordx4 v[1:4], v[1:2]
	s_waitcnt vmcnt(1) lgkmcnt(1)
	v_cmp_eq_f64_e32 vcc_lo, 0, v[5:6]
	v_cmp_eq_f64_e64 s0, 0, v[7:8]
	s_and_b32 s2, vcc_lo, s0
	s_mov_b32 s0, -1
	s_and_saveexec_b32 s1, s2
	s_cbranch_execz .LBB287_2
; %bb.1:
	s_waitcnt vmcnt(0) lgkmcnt(0)
	v_cmp_neq_f64_e32 vcc_lo, 1.0, v[1:2]
	v_cmp_neq_f64_e64 s0, 0, v[3:4]
	s_or_b32 s0, vcc_lo, s0
	s_orn2_b32 s0, s0, exec_lo
.LBB287_2:
	s_or_b32 exec_lo, exec_lo, s1
	s_and_saveexec_b32 s1, s0
	s_cbranch_execz .LBB287_13
; %bb.3:
	s_load_dword s0, s[4:5], 0x0
	v_lshrrev_b32_e32 v9, 6, v0
	v_lshl_or_b32 v9, s6, 1, v9
	s_waitcnt lgkmcnt(0)
	v_cmp_gt_i32_e32 vcc_lo, s0, v9
	s_and_b32 exec_lo, exec_lo, vcc_lo
	s_cbranch_execz .LBB287_13
; %bb.4:
	s_clause 0x1
	s_load_dwordx2 s[0:1], s[4:5], 0x18
	s_load_dwordx2 s[6:7], s[4:5], 0x48
	v_ashrrev_i32_e32 v10, 31, v9
	v_and_b32_e32 v0, 63, v0
	v_mov_b32_e32 v18, 0
	v_mov_b32_e32 v20, 0
	;; [unrolled: 1-line block ×3, first 2 shown]
	v_lshlrev_b64 v[11:12], 2, v[9:10]
	v_subrev_nc_u32_e32 v13, s8, v0
	v_mov_b32_e32 v21, 0
	s_mov_b32 s9, exec_lo
	s_waitcnt lgkmcnt(0)
	v_add_co_u32 v11, vcc_lo, s0, v11
	v_add_co_ci_u32_e64 v12, null, s1, v12, vcc_lo
	global_load_dwordx2 v[11:12], v[11:12], off
	s_waitcnt vmcnt(0)
	v_subrev_nc_u32_e32 v22, s8, v12
	v_add_nc_u32_e32 v11, v11, v13
	v_cmpx_lt_i32_e64 v11, v22
	s_cbranch_execz .LBB287_8
; %bb.5:
	s_clause 0x1
	s_load_dwordx4 s[0:3], s[4:5], 0x20
	s_load_dwordx2 s[4:5], s[4:5], 0x30
	v_mad_u64_u32 v[13:14], null, v11, 13, 12
	v_mov_b32_e32 v18, 0
	v_mov_b32_e32 v20, 0
	;; [unrolled: 1-line block ×5, first 2 shown]
	s_mov_b32 s10, 0
.LBB287_6:                              ; =>This Inner Loop Header: Depth=1
	v_ashrrev_i32_e32 v12, 31, v11
	v_add_nc_u32_e32 v14, -12, v13
	v_lshlrev_b64 v[16:17], 2, v[11:12]
	v_lshlrev_b64 v[23:24], 4, v[14:15]
	v_add_nc_u32_e32 v14, -11, v13
	v_add_nc_u32_e32 v11, 64, v11
	s_waitcnt lgkmcnt(0)
	v_add_co_u32 v16, vcc_lo, s0, v16
	v_add_co_ci_u32_e64 v17, null, s1, v17, vcc_lo
	v_lshlrev_b64 v[25:26], 4, v[14:15]
	v_add_co_u32 v23, vcc_lo, s2, v23
	global_load_dword v12, v[16:17], off
	v_mov_b32_e32 v17, v15
	v_add_co_ci_u32_e64 v24, null, s3, v24, vcc_lo
	v_add_co_u32 v27, vcc_lo, s2, v25
	v_add_co_ci_u32_e64 v28, null, s3, v26, vcc_lo
	s_clause 0x1
	global_load_dwordx4 v[23:26], v[23:24], off
	global_load_dwordx4 v[27:30], v[27:28], off
	s_waitcnt vmcnt(2)
	v_subrev_nc_u32_e32 v12, s8, v12
	v_mul_lo_u32 v16, v12, 13
	v_lshlrev_b64 v[31:32], 4, v[16:17]
	v_add_nc_u32_e32 v14, 1, v16
	v_lshlrev_b64 v[35:36], 4, v[14:15]
	v_add_co_u32 v31, vcc_lo, s4, v31
	v_add_co_ci_u32_e64 v32, null, s5, v32, vcc_lo
	v_add_nc_u32_e32 v14, -10, v13
	v_add_co_u32 v35, vcc_lo, s4, v35
	global_load_dwordx4 v[31:34], v[31:32], off
	v_add_co_ci_u32_e64 v36, null, s5, v36, vcc_lo
	v_lshlrev_b64 v[39:40], 4, v[14:15]
	v_add_nc_u32_e32 v14, 2, v16
	global_load_dwordx4 v[35:38], v[35:36], off
	v_lshlrev_b64 v[41:42], 4, v[14:15]
	v_add_co_u32 v39, vcc_lo, s2, v39
	v_add_co_ci_u32_e64 v40, null, s3, v40, vcc_lo
	v_add_nc_u32_e32 v14, -9, v13
	v_add_co_u32 v43, vcc_lo, s4, v41
	v_add_co_ci_u32_e64 v44, null, s5, v42, vcc_lo
	global_load_dwordx4 v[39:42], v[39:40], off
	v_lshlrev_b64 v[47:48], 4, v[14:15]
	v_add_nc_u32_e32 v14, 3, v16
	global_load_dwordx4 v[43:46], v[43:44], off
	v_lshlrev_b64 v[49:50], 4, v[14:15]
	v_add_co_u32 v47, vcc_lo, s2, v47
	v_add_co_ci_u32_e64 v48, null, s3, v48, vcc_lo
	v_add_nc_u32_e32 v14, -8, v13
	v_add_co_u32 v51, vcc_lo, s4, v49
	v_add_co_ci_u32_e64 v52, null, s5, v50, vcc_lo
	global_load_dwordx4 v[47:50], v[47:48], off
	;; [unrolled: 10-line block ×3, first 2 shown]
	v_lshlrev_b64 v[63:64], 4, v[14:15]
	v_add_nc_u32_e32 v14, 5, v16
	global_load_dwordx4 v[59:62], v[59:60], off
	v_lshlrev_b64 v[65:66], 4, v[14:15]
	v_add_co_u32 v63, vcc_lo, s2, v63
	v_add_co_ci_u32_e64 v64, null, s3, v64, vcc_lo
	v_add_nc_u32_e32 v14, -6, v13
	v_add_co_u32 v65, vcc_lo, s4, v65
	v_add_co_ci_u32_e64 v66, null, s5, v66, vcc_lo
	v_lshlrev_b64 v[67:68], 4, v[14:15]
	v_add_nc_u32_e32 v14, 6, v16
	s_waitcnt vmcnt(7)
	v_fma_f64 v[20:21], v[23:24], v[31:32], v[20:21]
	v_fma_f64 v[17:18], v[25:26], v[31:32], v[18:19]
	v_fma_f64 v[31:32], -v[25:26], v[33:34], v[20:21]
	v_fma_f64 v[33:34], v[23:24], v[33:34], v[17:18]
	global_load_dwordx4 v[17:20], v[63:64], off
	global_load_dwordx4 v[23:26], v[65:66], off
	v_lshlrev_b64 v[63:64], 4, v[14:15]
	v_add_co_u32 v65, vcc_lo, s2, v67
	v_add_co_ci_u32_e64 v66, null, s3, v68, vcc_lo
	v_add_nc_u32_e32 v14, -5, v13
	v_add_co_u32 v63, vcc_lo, s4, v63
	v_add_co_ci_u32_e64 v64, null, s5, v64, vcc_lo
	v_lshlrev_b64 v[67:68], 4, v[14:15]
	v_add_nc_u32_e32 v14, 7, v16
	s_waitcnt vmcnt(8)
	v_fma_f64 v[31:32], v[27:28], v[35:36], v[31:32]
	v_fma_f64 v[33:34], v[29:30], v[35:36], v[33:34]
	v_fma_f64 v[35:36], -v[29:30], v[37:38], v[31:32]
	v_fma_f64 v[37:38], v[27:28], v[37:38], v[33:34]
	global_load_dwordx4 v[27:30], v[65:66], off
	;; [unrolled: 15-line block ×3, first 2 shown]
	global_load_dwordx4 v[39:42], v[63:64], off
	v_lshlrev_b64 v[63:64], 4, v[14:15]
	v_add_co_u32 v65, vcc_lo, s2, v67
	v_add_co_ci_u32_e64 v66, null, s3, v68, vcc_lo
	v_add_nc_u32_e32 v14, -3, v13
	v_add_co_u32 v63, vcc_lo, s4, v63
	v_add_co_ci_u32_e64 v64, null, s5, v64, vcc_lo
	v_lshlrev_b64 v[67:68], 4, v[14:15]
	v_add_nc_u32_e32 v14, 9, v16
	s_waitcnt vmcnt(8)
	v_fma_f64 v[43:44], v[47:48], v[51:52], v[43:44]
	v_fma_f64 v[45:46], v[49:50], v[51:52], v[45:46]
	v_lshlrev_b64 v[51:52], 4, v[14:15]
	v_add_nc_u32_e32 v14, -2, v13
	v_fma_f64 v[69:70], -v[49:50], v[53:54], v[43:44]
	v_fma_f64 v[71:72], v[47:48], v[53:54], v[45:46]
	global_load_dwordx4 v[43:46], v[65:66], off
	global_load_dwordx4 v[47:50], v[63:64], off
	v_add_co_u32 v53, vcc_lo, s2, v67
	v_add_co_ci_u32_e64 v54, null, s3, v68, vcc_lo
	v_add_co_u32 v63, vcc_lo, s4, v51
	v_add_co_ci_u32_e64 v64, null, s5, v52, vcc_lo
	global_load_dwordx4 v[51:54], v[53:54], off
	s_waitcnt vmcnt(9)
	v_fma_f64 v[65:66], v[55:56], v[59:60], v[69:70]
	v_fma_f64 v[59:60], v[57:58], v[59:60], v[71:72]
	v_fma_f64 v[65:66], -v[57:58], v[61:62], v[65:66]
	v_fma_f64 v[67:68], v[55:56], v[61:62], v[59:60]
	global_load_dwordx4 v[55:58], v[63:64], off
	v_lshlrev_b64 v[59:60], 4, v[14:15]
	v_add_nc_u32_e32 v14, 10, v16
	v_lshlrev_b64 v[61:62], 4, v[14:15]
	v_add_co_u32 v59, vcc_lo, s2, v59
	v_add_co_ci_u32_e64 v60, null, s3, v60, vcc_lo
	v_add_nc_u32_e32 v14, -1, v13
	v_add_co_u32 v63, vcc_lo, s4, v61
	v_add_co_ci_u32_e64 v64, null, s5, v62, vcc_lo
	global_load_dwordx4 v[59:62], v[59:60], off
	s_waitcnt vmcnt(9)
	v_fma_f64 v[65:66], v[17:18], v[23:24], v[65:66]
	v_fma_f64 v[23:24], v[19:20], v[23:24], v[67:68]
	v_fma_f64 v[65:66], -v[19:20], v[25:26], v[65:66]
	v_fma_f64 v[67:68], v[17:18], v[25:26], v[23:24]
	global_load_dwordx4 v[17:20], v[63:64], off
	v_lshlrev_b64 v[23:24], 4, v[14:15]
	v_add_nc_u32_e32 v14, 11, v16
	v_lshlrev_b64 v[25:26], 4, v[14:15]
	v_add_co_u32 v23, vcc_lo, s2, v23
	v_add_co_ci_u32_e64 v24, null, s3, v24, vcc_lo
	v_mov_b32_e32 v14, v15
	v_add_co_u32 v63, vcc_lo, s4, v25
	v_add_co_ci_u32_e64 v64, null, s5, v26, vcc_lo
	global_load_dwordx4 v[23:26], v[23:24], off
	s_waitcnt vmcnt(9)
	v_fma_f64 v[65:66], v[27:28], v[31:32], v[65:66]
	v_fma_f64 v[31:32], v[29:30], v[31:32], v[67:68]
	v_fma_f64 v[67:68], -v[29:30], v[33:34], v[65:66]
	v_fma_f64 v[69:70], v[27:28], v[33:34], v[31:32]
	global_load_dwordx4 v[27:30], v[63:64], off
	v_lshlrev_b64 v[31:32], 4, v[13:14]
	v_add_nc_u32_e32 v14, 12, v16
	v_add_nc_u32_e32 v13, 0x340, v13
	v_lshlrev_b64 v[33:34], 4, v[14:15]
	v_add_co_u32 v31, vcc_lo, s2, v31
	v_add_co_ci_u32_e64 v32, null, s3, v32, vcc_lo
	v_add_co_u32 v63, vcc_lo, s4, v33
	v_add_co_ci_u32_e64 v64, null, s5, v34, vcc_lo
	global_load_dwordx4 v[31:34], v[31:32], off
	global_load_dwordx4 v[63:66], v[63:64], off
	s_waitcnt vmcnt(10)
	v_fma_f64 v[67:68], v[35:36], v[39:40], v[67:68]
	v_fma_f64 v[39:40], v[37:38], v[39:40], v[69:70]
	v_cmp_ge_i32_e32 vcc_lo, v11, v22
	s_or_b32 s10, vcc_lo, s10
	v_fma_f64 v[37:38], -v[37:38], v[41:42], v[67:68]
	v_fma_f64 v[35:36], v[35:36], v[41:42], v[39:40]
	s_waitcnt vmcnt(8)
	v_fma_f64 v[37:38], v[43:44], v[47:48], v[37:38]
	v_fma_f64 v[35:36], v[45:46], v[47:48], v[35:36]
	v_fma_f64 v[37:38], -v[45:46], v[49:50], v[37:38]
	v_fma_f64 v[35:36], v[43:44], v[49:50], v[35:36]
	s_waitcnt vmcnt(6)
	v_fma_f64 v[37:38], v[51:52], v[55:56], v[37:38]
	v_fma_f64 v[35:36], v[53:54], v[55:56], v[35:36]
	;; [unrolled: 5-line block ×5, first 2 shown]
	v_fma_f64 v[20:21], -v[33:34], v[65:66], v[18:19]
	v_fma_f64 v[18:19], v[31:32], v[65:66], v[16:17]
	s_andn2_b32 exec_lo, exec_lo, s10
	s_cbranch_execnz .LBB287_6
; %bb.7:
	s_or_b32 exec_lo, exec_lo, s10
.LBB287_8:
	s_or_b32 exec_lo, exec_lo, s9
	v_mbcnt_lo_u32_b32 v22, -1, 0
	v_or_b32_e32 v11, 32, v22
	v_xor_b32_e32 v15, 16, v22
	v_cmp_gt_i32_e32 vcc_lo, 32, v11
	v_cndmask_b32_e32 v11, v22, v11, vcc_lo
	v_cmp_gt_i32_e32 vcc_lo, 32, v15
	v_lshlrev_b32_e32 v14, 2, v11
	v_cndmask_b32_e32 v15, v22, v15, vcc_lo
	ds_bpermute_b32 v11, v14, v20
	ds_bpermute_b32 v12, v14, v21
	;; [unrolled: 1-line block ×4, first 2 shown]
	s_waitcnt lgkmcnt(2)
	v_add_f64 v[11:12], v[20:21], v[11:12]
	s_waitcnt lgkmcnt(0)
	v_add_f64 v[13:14], v[18:19], v[13:14]
	v_lshlrev_b32_e32 v18, 2, v15
	ds_bpermute_b32 v15, v18, v11
	ds_bpermute_b32 v16, v18, v12
	ds_bpermute_b32 v17, v18, v13
	ds_bpermute_b32 v18, v18, v14
	s_waitcnt lgkmcnt(2)
	v_add_f64 v[11:12], v[11:12], v[15:16]
	v_xor_b32_e32 v15, 8, v22
	s_waitcnt lgkmcnt(0)
	v_add_f64 v[13:14], v[13:14], v[17:18]
	v_cmp_gt_i32_e32 vcc_lo, 32, v15
	v_cndmask_b32_e32 v15, v22, v15, vcc_lo
	v_lshlrev_b32_e32 v18, 2, v15
	ds_bpermute_b32 v15, v18, v11
	ds_bpermute_b32 v16, v18, v12
	ds_bpermute_b32 v17, v18, v13
	ds_bpermute_b32 v18, v18, v14
	s_waitcnt lgkmcnt(2)
	v_add_f64 v[11:12], v[11:12], v[15:16]
	v_xor_b32_e32 v15, 4, v22
	s_waitcnt lgkmcnt(0)
	v_add_f64 v[13:14], v[13:14], v[17:18]
	v_cmp_gt_i32_e32 vcc_lo, 32, v15
	v_cndmask_b32_e32 v15, v22, v15, vcc_lo
	;; [unrolled: 12-line block ×4, first 2 shown]
	v_cmp_eq_u32_e32 vcc_lo, 63, v0
	v_lshlrev_b32_e32 v18, 2, v15
	ds_bpermute_b32 v15, v18, v11
	ds_bpermute_b32 v16, v18, v12
	;; [unrolled: 1-line block ×4, first 2 shown]
	s_and_b32 exec_lo, exec_lo, vcc_lo
	s_cbranch_execz .LBB287_13
; %bb.9:
	s_waitcnt lgkmcnt(0)
	v_add_f64 v[13:14], v[13:14], v[17:18]
	v_add_f64 v[11:12], v[11:12], v[15:16]
	v_cmp_eq_f64_e32 vcc_lo, 0, v[1:2]
	v_cmp_eq_f64_e64 s0, 0, v[3:4]
	v_lshlrev_b64 v[9:10], 4, v[9:10]
	v_mul_f64 v[15:16], v[13:14], -v[7:8]
	v_mul_f64 v[13:14], v[5:6], v[13:14]
	s_and_b32 s0, vcc_lo, s0
	v_fma_f64 v[5:6], v[5:6], v[11:12], v[15:16]
	v_fma_f64 v[7:8], v[7:8], v[11:12], v[13:14]
	s_and_saveexec_b32 s1, s0
	s_xor_b32 s0, exec_lo, s1
	s_cbranch_execz .LBB287_11
; %bb.10:
	v_add_co_u32 v0, vcc_lo, s6, v9
	v_add_co_ci_u32_e64 v1, null, s7, v10, vcc_lo
                                        ; implicit-def: $vgpr9_vgpr10
	global_store_dwordx4 v[0:1], v[5:8], off
                                        ; implicit-def: $vgpr1_vgpr2
                                        ; implicit-def: $vgpr5_vgpr6
.LBB287_11:
	s_andn2_saveexec_b32 s0, s0
	s_cbranch_execz .LBB287_13
; %bb.12:
	v_add_co_u32 v13, vcc_lo, s6, v9
	v_add_co_ci_u32_e64 v14, null, s7, v10, vcc_lo
	global_load_dwordx4 v[9:12], v[13:14], off
	s_waitcnt vmcnt(0)
	v_fma_f64 v[5:6], v[1:2], v[9:10], v[5:6]
	v_fma_f64 v[7:8], v[3:4], v[9:10], v[7:8]
	v_fma_f64 v[3:4], -v[3:4], v[11:12], v[5:6]
	v_fma_f64 v[5:6], v[1:2], v[11:12], v[7:8]
	global_store_dwordx4 v[13:14], v[3:6], off
.LBB287_13:
	s_endpgm
	.section	.rodata,"a",@progbits
	.p2align	6, 0x0
	.amdhsa_kernel _ZN9rocsparseL19gebsrmvn_1xn_kernelILj128ELj13ELj64E21rocsparse_complex_numIdEEEvi20rocsparse_direction_NS_24const_host_device_scalarIT2_EEPKiS8_PKS5_SA_S6_PS5_21rocsparse_index_base_b
		.amdhsa_group_segment_fixed_size 0
		.amdhsa_private_segment_fixed_size 0
		.amdhsa_kernarg_size 88
		.amdhsa_user_sgpr_count 6
		.amdhsa_user_sgpr_private_segment_buffer 1
		.amdhsa_user_sgpr_dispatch_ptr 0
		.amdhsa_user_sgpr_queue_ptr 0
		.amdhsa_user_sgpr_kernarg_segment_ptr 1
		.amdhsa_user_sgpr_dispatch_id 0
		.amdhsa_user_sgpr_flat_scratch_init 0
		.amdhsa_user_sgpr_private_segment_size 0
		.amdhsa_wavefront_size32 1
		.amdhsa_uses_dynamic_stack 0
		.amdhsa_system_sgpr_private_segment_wavefront_offset 0
		.amdhsa_system_sgpr_workgroup_id_x 1
		.amdhsa_system_sgpr_workgroup_id_y 0
		.amdhsa_system_sgpr_workgroup_id_z 0
		.amdhsa_system_sgpr_workgroup_info 0
		.amdhsa_system_vgpr_workitem_id 0
		.amdhsa_next_free_vgpr 73
		.amdhsa_next_free_sgpr 13
		.amdhsa_reserve_vcc 1
		.amdhsa_reserve_flat_scratch 0
		.amdhsa_float_round_mode_32 0
		.amdhsa_float_round_mode_16_64 0
		.amdhsa_float_denorm_mode_32 3
		.amdhsa_float_denorm_mode_16_64 3
		.amdhsa_dx10_clamp 1
		.amdhsa_ieee_mode 1
		.amdhsa_fp16_overflow 0
		.amdhsa_workgroup_processor_mode 1
		.amdhsa_memory_ordered 1
		.amdhsa_forward_progress 1
		.amdhsa_shared_vgpr_count 0
		.amdhsa_exception_fp_ieee_invalid_op 0
		.amdhsa_exception_fp_denorm_src 0
		.amdhsa_exception_fp_ieee_div_zero 0
		.amdhsa_exception_fp_ieee_overflow 0
		.amdhsa_exception_fp_ieee_underflow 0
		.amdhsa_exception_fp_ieee_inexact 0
		.amdhsa_exception_int_div_zero 0
	.end_amdhsa_kernel
	.section	.text._ZN9rocsparseL19gebsrmvn_1xn_kernelILj128ELj13ELj64E21rocsparse_complex_numIdEEEvi20rocsparse_direction_NS_24const_host_device_scalarIT2_EEPKiS8_PKS5_SA_S6_PS5_21rocsparse_index_base_b,"axG",@progbits,_ZN9rocsparseL19gebsrmvn_1xn_kernelILj128ELj13ELj64E21rocsparse_complex_numIdEEEvi20rocsparse_direction_NS_24const_host_device_scalarIT2_EEPKiS8_PKS5_SA_S6_PS5_21rocsparse_index_base_b,comdat
.Lfunc_end287:
	.size	_ZN9rocsparseL19gebsrmvn_1xn_kernelILj128ELj13ELj64E21rocsparse_complex_numIdEEEvi20rocsparse_direction_NS_24const_host_device_scalarIT2_EEPKiS8_PKS5_SA_S6_PS5_21rocsparse_index_base_b, .Lfunc_end287-_ZN9rocsparseL19gebsrmvn_1xn_kernelILj128ELj13ELj64E21rocsparse_complex_numIdEEEvi20rocsparse_direction_NS_24const_host_device_scalarIT2_EEPKiS8_PKS5_SA_S6_PS5_21rocsparse_index_base_b
                                        ; -- End function
	.set _ZN9rocsparseL19gebsrmvn_1xn_kernelILj128ELj13ELj64E21rocsparse_complex_numIdEEEvi20rocsparse_direction_NS_24const_host_device_scalarIT2_EEPKiS8_PKS5_SA_S6_PS5_21rocsparse_index_base_b.num_vgpr, 73
	.set _ZN9rocsparseL19gebsrmvn_1xn_kernelILj128ELj13ELj64E21rocsparse_complex_numIdEEEvi20rocsparse_direction_NS_24const_host_device_scalarIT2_EEPKiS8_PKS5_SA_S6_PS5_21rocsparse_index_base_b.num_agpr, 0
	.set _ZN9rocsparseL19gebsrmvn_1xn_kernelILj128ELj13ELj64E21rocsparse_complex_numIdEEEvi20rocsparse_direction_NS_24const_host_device_scalarIT2_EEPKiS8_PKS5_SA_S6_PS5_21rocsparse_index_base_b.numbered_sgpr, 13
	.set _ZN9rocsparseL19gebsrmvn_1xn_kernelILj128ELj13ELj64E21rocsparse_complex_numIdEEEvi20rocsparse_direction_NS_24const_host_device_scalarIT2_EEPKiS8_PKS5_SA_S6_PS5_21rocsparse_index_base_b.num_named_barrier, 0
	.set _ZN9rocsparseL19gebsrmvn_1xn_kernelILj128ELj13ELj64E21rocsparse_complex_numIdEEEvi20rocsparse_direction_NS_24const_host_device_scalarIT2_EEPKiS8_PKS5_SA_S6_PS5_21rocsparse_index_base_b.private_seg_size, 0
	.set _ZN9rocsparseL19gebsrmvn_1xn_kernelILj128ELj13ELj64E21rocsparse_complex_numIdEEEvi20rocsparse_direction_NS_24const_host_device_scalarIT2_EEPKiS8_PKS5_SA_S6_PS5_21rocsparse_index_base_b.uses_vcc, 1
	.set _ZN9rocsparseL19gebsrmvn_1xn_kernelILj128ELj13ELj64E21rocsparse_complex_numIdEEEvi20rocsparse_direction_NS_24const_host_device_scalarIT2_EEPKiS8_PKS5_SA_S6_PS5_21rocsparse_index_base_b.uses_flat_scratch, 0
	.set _ZN9rocsparseL19gebsrmvn_1xn_kernelILj128ELj13ELj64E21rocsparse_complex_numIdEEEvi20rocsparse_direction_NS_24const_host_device_scalarIT2_EEPKiS8_PKS5_SA_S6_PS5_21rocsparse_index_base_b.has_dyn_sized_stack, 0
	.set _ZN9rocsparseL19gebsrmvn_1xn_kernelILj128ELj13ELj64E21rocsparse_complex_numIdEEEvi20rocsparse_direction_NS_24const_host_device_scalarIT2_EEPKiS8_PKS5_SA_S6_PS5_21rocsparse_index_base_b.has_recursion, 0
	.set _ZN9rocsparseL19gebsrmvn_1xn_kernelILj128ELj13ELj64E21rocsparse_complex_numIdEEEvi20rocsparse_direction_NS_24const_host_device_scalarIT2_EEPKiS8_PKS5_SA_S6_PS5_21rocsparse_index_base_b.has_indirect_call, 0
	.section	.AMDGPU.csdata,"",@progbits
; Kernel info:
; codeLenInByte = 2488
; TotalNumSgprs: 15
; NumVgprs: 73
; ScratchSize: 0
; MemoryBound: 0
; FloatMode: 240
; IeeeMode: 1
; LDSByteSize: 0 bytes/workgroup (compile time only)
; SGPRBlocks: 0
; VGPRBlocks: 9
; NumSGPRsForWavesPerEU: 15
; NumVGPRsForWavesPerEU: 73
; Occupancy: 12
; WaveLimiterHint : 1
; COMPUTE_PGM_RSRC2:SCRATCH_EN: 0
; COMPUTE_PGM_RSRC2:USER_SGPR: 6
; COMPUTE_PGM_RSRC2:TRAP_HANDLER: 0
; COMPUTE_PGM_RSRC2:TGID_X_EN: 1
; COMPUTE_PGM_RSRC2:TGID_Y_EN: 0
; COMPUTE_PGM_RSRC2:TGID_Z_EN: 0
; COMPUTE_PGM_RSRC2:TIDIG_COMP_CNT: 0
	.section	.text._ZN9rocsparseL19gebsrmvn_1xn_kernelILj128ELj14ELj4E21rocsparse_complex_numIdEEEvi20rocsparse_direction_NS_24const_host_device_scalarIT2_EEPKiS8_PKS5_SA_S6_PS5_21rocsparse_index_base_b,"axG",@progbits,_ZN9rocsparseL19gebsrmvn_1xn_kernelILj128ELj14ELj4E21rocsparse_complex_numIdEEEvi20rocsparse_direction_NS_24const_host_device_scalarIT2_EEPKiS8_PKS5_SA_S6_PS5_21rocsparse_index_base_b,comdat
	.globl	_ZN9rocsparseL19gebsrmvn_1xn_kernelILj128ELj14ELj4E21rocsparse_complex_numIdEEEvi20rocsparse_direction_NS_24const_host_device_scalarIT2_EEPKiS8_PKS5_SA_S6_PS5_21rocsparse_index_base_b ; -- Begin function _ZN9rocsparseL19gebsrmvn_1xn_kernelILj128ELj14ELj4E21rocsparse_complex_numIdEEEvi20rocsparse_direction_NS_24const_host_device_scalarIT2_EEPKiS8_PKS5_SA_S6_PS5_21rocsparse_index_base_b
	.p2align	8
	.type	_ZN9rocsparseL19gebsrmvn_1xn_kernelILj128ELj14ELj4E21rocsparse_complex_numIdEEEvi20rocsparse_direction_NS_24const_host_device_scalarIT2_EEPKiS8_PKS5_SA_S6_PS5_21rocsparse_index_base_b,@function
_ZN9rocsparseL19gebsrmvn_1xn_kernelILj128ELj14ELj4E21rocsparse_complex_numIdEEEvi20rocsparse_direction_NS_24const_host_device_scalarIT2_EEPKiS8_PKS5_SA_S6_PS5_21rocsparse_index_base_b: ; @_ZN9rocsparseL19gebsrmvn_1xn_kernelILj128ELj14ELj4E21rocsparse_complex_numIdEEEvi20rocsparse_direction_NS_24const_host_device_scalarIT2_EEPKiS8_PKS5_SA_S6_PS5_21rocsparse_index_base_b
; %bb.0:
	s_clause 0x1
	s_load_dwordx2 s[8:9], s[4:5], 0x50
	s_load_dwordx2 s[0:1], s[4:5], 0x8
	s_add_u32 s7, s4, 8
	s_addc_u32 s10, s5, 0
	s_add_u32 s11, s4, 56
	s_addc_u32 s12, s5, 0
	s_load_dwordx2 s[2:3], s[4:5], 0x38
	s_waitcnt lgkmcnt(0)
	s_bitcmp1_b32 s9, 0
	s_cselect_b32 s0, s7, s0
	s_cselect_b32 s1, s10, s1
	v_mov_b32_e32 v1, s0
	v_mov_b32_e32 v2, s1
	s_cselect_b32 s0, s11, s2
	s_cselect_b32 s1, s12, s3
	flat_load_dwordx4 v[5:8], v[1:2]
	v_mov_b32_e32 v1, s0
	v_mov_b32_e32 v2, s1
	flat_load_dwordx4 v[1:4], v[1:2]
	s_waitcnt vmcnt(1) lgkmcnt(1)
	v_cmp_eq_f64_e32 vcc_lo, 0, v[5:6]
	v_cmp_eq_f64_e64 s0, 0, v[7:8]
	s_and_b32 s2, vcc_lo, s0
	s_mov_b32 s0, -1
	s_and_saveexec_b32 s1, s2
	s_cbranch_execz .LBB288_2
; %bb.1:
	s_waitcnt vmcnt(0) lgkmcnt(0)
	v_cmp_neq_f64_e32 vcc_lo, 1.0, v[1:2]
	v_cmp_neq_f64_e64 s0, 0, v[3:4]
	s_or_b32 s0, vcc_lo, s0
	s_orn2_b32 s0, s0, exec_lo
.LBB288_2:
	s_or_b32 exec_lo, exec_lo, s1
	s_and_saveexec_b32 s1, s0
	s_cbranch_execz .LBB288_13
; %bb.3:
	s_load_dword s0, s[4:5], 0x0
	v_lshrrev_b32_e32 v9, 2, v0
	v_lshl_or_b32 v9, s6, 5, v9
	s_waitcnt lgkmcnt(0)
	v_cmp_gt_i32_e32 vcc_lo, s0, v9
	s_and_b32 exec_lo, exec_lo, vcc_lo
	s_cbranch_execz .LBB288_13
; %bb.4:
	s_clause 0x1
	s_load_dwordx2 s[0:1], s[4:5], 0x18
	s_load_dwordx2 s[6:7], s[4:5], 0x48
	v_ashrrev_i32_e32 v10, 31, v9
	v_and_b32_e32 v0, 3, v0
	v_mov_b32_e32 v16, 0
	v_mov_b32_e32 v18, 0
	v_mov_b32_e32 v17, 0
	v_lshlrev_b64 v[11:12], 2, v[9:10]
	v_subrev_nc_u32_e32 v13, s8, v0
	v_mov_b32_e32 v19, 0
	s_mov_b32 s9, exec_lo
	s_waitcnt lgkmcnt(0)
	v_add_co_u32 v11, vcc_lo, s0, v11
	v_add_co_ci_u32_e64 v12, null, s1, v12, vcc_lo
	global_load_dwordx2 v[11:12], v[11:12], off
	s_waitcnt vmcnt(0)
	v_subrev_nc_u32_e32 v20, s8, v12
	v_add_nc_u32_e32 v11, v11, v13
	v_cmpx_lt_i32_e64 v11, v20
	s_cbranch_execz .LBB288_8
; %bb.5:
	s_clause 0x1
	s_load_dwordx4 s[0:3], s[4:5], 0x20
	s_load_dwordx2 s[4:5], s[4:5], 0x30
	v_mad_u64_u32 v[13:14], null, v11, 14, 13
	v_mov_b32_e32 v16, 0
	v_mov_b32_e32 v18, 0
	;; [unrolled: 1-line block ×5, first 2 shown]
	s_mov_b32 s10, 0
.LBB288_6:                              ; =>This Inner Loop Header: Depth=1
	v_ashrrev_i32_e32 v12, 31, v11
	v_add_nc_u32_e32 v14, -13, v13
	v_mov_b32_e32 v62, v15
	v_lshlrev_b64 v[21:22], 2, v[11:12]
	v_add_nc_u32_e32 v11, 4, v11
	s_waitcnt lgkmcnt(0)
	v_add_co_u32 v21, vcc_lo, s0, v21
	v_add_co_ci_u32_e64 v22, null, s1, v22, vcc_lo
	global_load_dword v12, v[21:22], off
	v_lshlrev_b64 v[21:22], 4, v[14:15]
	v_add_nc_u32_e32 v14, -11, v13
	v_lshlrev_b64 v[23:24], 4, v[14:15]
	v_add_co_u32 v25, vcc_lo, s2, v21
	v_add_co_ci_u32_e64 v26, null, s3, v22, vcc_lo
	v_add_co_u32 v29, vcc_lo, s2, v23
	v_add_co_ci_u32_e64 v30, null, s3, v24, vcc_lo
	s_clause 0x2
	global_load_dwordx4 v[21:24], v[25:26], off offset:16
	global_load_dwordx4 v[25:28], v[25:26], off
	global_load_dwordx4 v[29:32], v[29:30], off
	s_waitcnt vmcnt(3)
	v_subrev_nc_u32_e32 v12, s8, v12
	v_mul_lo_u32 v61, v12, 14
	v_lshlrev_b64 v[33:34], 4, v[61:62]
	v_add_nc_u32_e32 v14, 2, v61
	v_lshlrev_b64 v[41:42], 4, v[14:15]
	v_add_co_u32 v37, vcc_lo, s4, v33
	v_add_co_ci_u32_e64 v38, null, s5, v34, vcc_lo
	v_add_nc_u32_e32 v14, -10, v13
	v_add_co_u32 v47, vcc_lo, s4, v41
	s_clause 0x1
	global_load_dwordx4 v[33:36], v[37:38], off
	global_load_dwordx4 v[37:40], v[37:38], off offset:16
	v_add_co_ci_u32_e64 v48, null, s5, v42, vcc_lo
	v_lshlrev_b64 v[45:46], 4, v[14:15]
	v_add_nc_u32_e32 v14, -9, v13
	global_load_dwordx4 v[41:44], v[47:48], off
	v_add_co_u32 v49, vcc_lo, s2, v45
	v_add_co_ci_u32_e64 v50, null, s3, v46, vcc_lo
	global_load_dwordx4 v[45:48], v[47:48], off offset:16
	v_lshlrev_b64 v[53:54], 4, v[14:15]
	v_add_nc_u32_e32 v14, 4, v61
	global_load_dwordx4 v[49:52], v[49:50], off
	v_lshlrev_b64 v[55:56], 4, v[14:15]
	v_add_nc_u32_e32 v14, -8, v13
	v_add_co_u32 v53, vcc_lo, s2, v53
	v_add_co_ci_u32_e64 v54, null, s3, v54, vcc_lo
	v_lshlrev_b64 v[57:58], 4, v[14:15]
	v_add_co_u32 v62, vcc_lo, s4, v55
	v_add_co_ci_u32_e64 v63, null, s5, v56, vcc_lo
	global_load_dwordx4 v[53:56], v[53:54], off
	v_add_co_u32 v66, vcc_lo, s2, v57
	v_add_co_ci_u32_e64 v67, null, s3, v58, vcc_lo
	global_load_dwordx4 v[57:60], v[62:63], off
	v_add_nc_u32_e32 v14, -7, v13
	v_lshlrev_b64 v[64:65], 4, v[14:15]
	v_add_nc_u32_e32 v14, 6, v61
	v_add_co_u32 v64, vcc_lo, s2, v64
	v_add_co_ci_u32_e64 v65, null, s3, v65, vcc_lo
	s_waitcnt vmcnt(6)
	v_fma_f64 v[18:19], v[25:26], v[33:34], v[18:19]
	v_fma_f64 v[16:17], v[27:28], v[33:34], v[16:17]
	v_fma_f64 v[33:34], -v[27:28], v[35:36], v[18:19]
	v_fma_f64 v[35:36], v[25:26], v[35:36], v[16:17]
	global_load_dwordx4 v[16:19], v[62:63], off offset:16
	global_load_dwordx4 v[25:28], v[66:67], off
	v_lshlrev_b64 v[62:63], 4, v[14:15]
	v_add_nc_u32_e32 v14, -6, v13
	v_add_co_u32 v62, vcc_lo, s4, v62
	v_add_co_ci_u32_e64 v63, null, s5, v63, vcc_lo
	v_lshlrev_b64 v[66:67], 4, v[14:15]
	v_add_nc_u32_e32 v14, -5, v13
	s_waitcnt vmcnt(7)
	v_fma_f64 v[33:34], v[21:22], v[37:38], v[33:34]
	v_fma_f64 v[35:36], v[23:24], v[37:38], v[35:36]
	v_fma_f64 v[68:69], -v[23:24], v[39:40], v[33:34]
	v_fma_f64 v[70:71], v[21:22], v[39:40], v[35:36]
	global_load_dwordx4 v[21:24], v[64:65], off
	s_clause 0x1
	global_load_dwordx4 v[33:36], v[62:63], off
	global_load_dwordx4 v[37:40], v[62:63], off offset:16
	v_add_co_u32 v64, vcc_lo, s2, v66
	v_add_co_ci_u32_e64 v65, null, s3, v67, vcc_lo
	s_waitcnt vmcnt(9)
	v_fma_f64 v[62:63], v[29:30], v[41:42], v[68:69]
	v_fma_f64 v[41:42], v[31:32], v[41:42], v[70:71]
	v_fma_f64 v[62:63], -v[31:32], v[43:44], v[62:63]
	v_fma_f64 v[66:67], v[29:30], v[43:44], v[41:42]
	global_load_dwordx4 v[29:32], v[64:65], off
	v_lshlrev_b64 v[41:42], 4, v[14:15]
	v_add_nc_u32_e32 v14, 8, v61
	v_lshlrev_b64 v[43:44], 4, v[14:15]
	v_add_co_u32 v41, vcc_lo, s2, v41
	v_add_co_ci_u32_e64 v42, null, s3, v42, vcc_lo
	v_add_nc_u32_e32 v14, -4, v13
	v_add_co_u32 v64, vcc_lo, s4, v43
	v_add_co_ci_u32_e64 v65, null, s5, v44, vcc_lo
	global_load_dwordx4 v[41:44], v[41:42], off
	s_waitcnt vmcnt(9)
	v_fma_f64 v[62:63], v[49:50], v[45:46], v[62:63]
	v_fma_f64 v[45:46], v[51:52], v[45:46], v[66:67]
	v_fma_f64 v[62:63], -v[51:52], v[47:48], v[62:63]
	v_fma_f64 v[66:67], v[49:50], v[47:48], v[45:46]
	global_load_dwordx4 v[45:48], v[64:65], off
	v_lshlrev_b64 v[49:50], 4, v[14:15]
	v_add_nc_u32_e32 v14, -3, v13
	v_add_co_u32 v68, vcc_lo, s2, v49
	v_add_co_ci_u32_e64 v69, null, s3, v50, vcc_lo
	global_load_dwordx4 v[49:52], v[64:65], off offset:16
	s_waitcnt vmcnt(9)
	v_fma_f64 v[62:63], v[53:54], v[57:58], v[62:63]
	v_fma_f64 v[57:58], v[55:56], v[57:58], v[66:67]
	v_fma_f64 v[62:63], -v[55:56], v[59:60], v[62:63]
	v_fma_f64 v[64:65], v[53:54], v[59:60], v[57:58]
	global_load_dwordx4 v[53:56], v[68:69], off
	v_lshlrev_b64 v[57:58], 4, v[14:15]
	v_add_nc_u32_e32 v14, 10, v61
	v_lshlrev_b64 v[59:60], 4, v[14:15]
	v_add_co_u32 v57, vcc_lo, s2, v57
	v_add_co_ci_u32_e64 v58, null, s3, v58, vcc_lo
	v_add_nc_u32_e32 v14, -2, v13
	v_add_co_u32 v66, vcc_lo, s4, v59
	v_add_co_ci_u32_e64 v67, null, s5, v60, vcc_lo
	global_load_dwordx4 v[57:60], v[57:58], off
	s_waitcnt vmcnt(9)
	v_fma_f64 v[62:63], v[25:26], v[16:17], v[62:63]
	v_fma_f64 v[16:17], v[27:28], v[16:17], v[64:65]
	v_fma_f64 v[62:63], -v[27:28], v[18:19], v[62:63]
	v_fma_f64 v[64:65], v[25:26], v[18:19], v[16:17]
	global_load_dwordx4 v[16:19], v[66:67], off
	v_lshlrev_b64 v[25:26], 4, v[14:15]
	v_add_nc_u32_e32 v14, -1, v13
	v_add_co_u32 v68, vcc_lo, s2, v25
	v_add_co_ci_u32_e64 v69, null, s3, v26, vcc_lo
	global_load_dwordx4 v[25:28], v[66:67], off offset:16
	s_waitcnt vmcnt(9)
	v_fma_f64 v[62:63], v[21:22], v[33:34], v[62:63]
	v_fma_f64 v[33:34], v[23:24], v[33:34], v[64:65]
	v_fma_f64 v[62:63], -v[23:24], v[35:36], v[62:63]
	v_fma_f64 v[64:65], v[21:22], v[35:36], v[33:34]
	global_load_dwordx4 v[21:24], v[68:69], off
	v_lshlrev_b64 v[33:34], 4, v[14:15]
	v_add_nc_u32_e32 v14, 12, v61
	v_lshlrev_b64 v[35:36], 4, v[14:15]
	v_add_co_u32 v33, vcc_lo, s2, v33
	v_add_co_ci_u32_e64 v34, null, s3, v34, vcc_lo
	v_mov_b32_e32 v14, v15
	v_add_co_u32 v66, vcc_lo, s4, v35
	v_add_co_ci_u32_e64 v67, null, s5, v36, vcc_lo
	global_load_dwordx4 v[33:36], v[33:34], off
	s_waitcnt vmcnt(9)
	v_fma_f64 v[61:62], v[29:30], v[37:38], v[62:63]
	v_fma_f64 v[37:38], v[31:32], v[37:38], v[64:65]
	v_fma_f64 v[68:69], -v[31:32], v[39:40], v[61:62]
	v_fma_f64 v[70:71], v[29:30], v[39:40], v[37:38]
	global_load_dwordx4 v[29:32], v[66:67], off
	v_lshlrev_b64 v[37:38], 4, v[13:14]
	v_add_nc_u32_e32 v13, 56, v13
	v_add_co_u32 v37, vcc_lo, s2, v37
	v_add_co_ci_u32_e64 v38, null, s3, v38, vcc_lo
	global_load_dwordx4 v[37:40], v[37:38], off
	global_load_dwordx4 v[61:64], v[66:67], off offset:16
	v_cmp_ge_i32_e32 vcc_lo, v11, v20
	s_waitcnt vmcnt(10)
	v_fma_f64 v[65:66], v[41:42], v[45:46], v[68:69]
	v_fma_f64 v[45:46], v[43:44], v[45:46], v[70:71]
	s_or_b32 s10, vcc_lo, s10
	v_fma_f64 v[43:44], -v[43:44], v[47:48], v[65:66]
	v_fma_f64 v[41:42], v[41:42], v[47:48], v[45:46]
	s_waitcnt vmcnt(8)
	v_fma_f64 v[43:44], v[53:54], v[49:50], v[43:44]
	v_fma_f64 v[41:42], v[55:56], v[49:50], v[41:42]
	v_fma_f64 v[43:44], -v[55:56], v[51:52], v[43:44]
	v_fma_f64 v[41:42], v[53:54], v[51:52], v[41:42]
	s_waitcnt vmcnt(6)
	v_fma_f64 v[43:44], v[57:58], v[16:17], v[43:44]
	v_fma_f64 v[16:17], v[59:60], v[16:17], v[41:42]
	;; [unrolled: 5-line block ×5, first 2 shown]
	v_fma_f64 v[18:19], -v[39:40], v[63:64], v[18:19]
	v_fma_f64 v[16:17], v[37:38], v[63:64], v[16:17]
	s_andn2_b32 exec_lo, exec_lo, s10
	s_cbranch_execnz .LBB288_6
; %bb.7:
	s_or_b32 exec_lo, exec_lo, s10
.LBB288_8:
	s_or_b32 exec_lo, exec_lo, s9
	v_mbcnt_lo_u32_b32 v15, -1, 0
	v_xor_b32_e32 v11, 2, v15
	v_cmp_gt_i32_e32 vcc_lo, 32, v11
	v_cndmask_b32_e32 v11, v15, v11, vcc_lo
	v_lshlrev_b32_e32 v14, 2, v11
	ds_bpermute_b32 v11, v14, v18
	ds_bpermute_b32 v12, v14, v19
	;; [unrolled: 1-line block ×4, first 2 shown]
	s_waitcnt lgkmcnt(2)
	v_add_f64 v[11:12], v[18:19], v[11:12]
	s_waitcnt lgkmcnt(0)
	v_add_f64 v[13:14], v[16:17], v[13:14]
	v_xor_b32_e32 v16, 1, v15
	v_cmp_gt_i32_e32 vcc_lo, 32, v16
	v_cndmask_b32_e32 v15, v15, v16, vcc_lo
	v_cmp_eq_u32_e32 vcc_lo, 3, v0
	v_lshlrev_b32_e32 v18, 2, v15
	ds_bpermute_b32 v15, v18, v11
	ds_bpermute_b32 v16, v18, v12
	;; [unrolled: 1-line block ×4, first 2 shown]
	s_and_b32 exec_lo, exec_lo, vcc_lo
	s_cbranch_execz .LBB288_13
; %bb.9:
	s_waitcnt lgkmcnt(0)
	v_add_f64 v[13:14], v[13:14], v[17:18]
	v_add_f64 v[11:12], v[11:12], v[15:16]
	v_cmp_eq_f64_e32 vcc_lo, 0, v[1:2]
	v_cmp_eq_f64_e64 s0, 0, v[3:4]
	v_lshlrev_b64 v[9:10], 4, v[9:10]
	v_mul_f64 v[15:16], v[13:14], -v[7:8]
	v_mul_f64 v[13:14], v[5:6], v[13:14]
	s_and_b32 s0, vcc_lo, s0
	v_fma_f64 v[5:6], v[5:6], v[11:12], v[15:16]
	v_fma_f64 v[7:8], v[7:8], v[11:12], v[13:14]
	s_and_saveexec_b32 s1, s0
	s_xor_b32 s0, exec_lo, s1
	s_cbranch_execz .LBB288_11
; %bb.10:
	v_add_co_u32 v0, vcc_lo, s6, v9
	v_add_co_ci_u32_e64 v1, null, s7, v10, vcc_lo
                                        ; implicit-def: $vgpr9_vgpr10
	global_store_dwordx4 v[0:1], v[5:8], off
                                        ; implicit-def: $vgpr1_vgpr2
                                        ; implicit-def: $vgpr5_vgpr6
.LBB288_11:
	s_andn2_saveexec_b32 s0, s0
	s_cbranch_execz .LBB288_13
; %bb.12:
	v_add_co_u32 v13, vcc_lo, s6, v9
	v_add_co_ci_u32_e64 v14, null, s7, v10, vcc_lo
	global_load_dwordx4 v[9:12], v[13:14], off
	s_waitcnt vmcnt(0)
	v_fma_f64 v[5:6], v[1:2], v[9:10], v[5:6]
	v_fma_f64 v[7:8], v[3:4], v[9:10], v[7:8]
	v_fma_f64 v[3:4], -v[3:4], v[11:12], v[5:6]
	v_fma_f64 v[5:6], v[1:2], v[11:12], v[7:8]
	global_store_dwordx4 v[13:14], v[3:6], off
.LBB288_13:
	s_endpgm
	.section	.rodata,"a",@progbits
	.p2align	6, 0x0
	.amdhsa_kernel _ZN9rocsparseL19gebsrmvn_1xn_kernelILj128ELj14ELj4E21rocsparse_complex_numIdEEEvi20rocsparse_direction_NS_24const_host_device_scalarIT2_EEPKiS8_PKS5_SA_S6_PS5_21rocsparse_index_base_b
		.amdhsa_group_segment_fixed_size 0
		.amdhsa_private_segment_fixed_size 0
		.amdhsa_kernarg_size 88
		.amdhsa_user_sgpr_count 6
		.amdhsa_user_sgpr_private_segment_buffer 1
		.amdhsa_user_sgpr_dispatch_ptr 0
		.amdhsa_user_sgpr_queue_ptr 0
		.amdhsa_user_sgpr_kernarg_segment_ptr 1
		.amdhsa_user_sgpr_dispatch_id 0
		.amdhsa_user_sgpr_flat_scratch_init 0
		.amdhsa_user_sgpr_private_segment_size 0
		.amdhsa_wavefront_size32 1
		.amdhsa_uses_dynamic_stack 0
		.amdhsa_system_sgpr_private_segment_wavefront_offset 0
		.amdhsa_system_sgpr_workgroup_id_x 1
		.amdhsa_system_sgpr_workgroup_id_y 0
		.amdhsa_system_sgpr_workgroup_id_z 0
		.amdhsa_system_sgpr_workgroup_info 0
		.amdhsa_system_vgpr_workitem_id 0
		.amdhsa_next_free_vgpr 72
		.amdhsa_next_free_sgpr 13
		.amdhsa_reserve_vcc 1
		.amdhsa_reserve_flat_scratch 0
		.amdhsa_float_round_mode_32 0
		.amdhsa_float_round_mode_16_64 0
		.amdhsa_float_denorm_mode_32 3
		.amdhsa_float_denorm_mode_16_64 3
		.amdhsa_dx10_clamp 1
		.amdhsa_ieee_mode 1
		.amdhsa_fp16_overflow 0
		.amdhsa_workgroup_processor_mode 1
		.amdhsa_memory_ordered 1
		.amdhsa_forward_progress 1
		.amdhsa_shared_vgpr_count 0
		.amdhsa_exception_fp_ieee_invalid_op 0
		.amdhsa_exception_fp_denorm_src 0
		.amdhsa_exception_fp_ieee_div_zero 0
		.amdhsa_exception_fp_ieee_overflow 0
		.amdhsa_exception_fp_ieee_underflow 0
		.amdhsa_exception_fp_ieee_inexact 0
		.amdhsa_exception_int_div_zero 0
	.end_amdhsa_kernel
	.section	.text._ZN9rocsparseL19gebsrmvn_1xn_kernelILj128ELj14ELj4E21rocsparse_complex_numIdEEEvi20rocsparse_direction_NS_24const_host_device_scalarIT2_EEPKiS8_PKS5_SA_S6_PS5_21rocsparse_index_base_b,"axG",@progbits,_ZN9rocsparseL19gebsrmvn_1xn_kernelILj128ELj14ELj4E21rocsparse_complex_numIdEEEvi20rocsparse_direction_NS_24const_host_device_scalarIT2_EEPKiS8_PKS5_SA_S6_PS5_21rocsparse_index_base_b,comdat
.Lfunc_end288:
	.size	_ZN9rocsparseL19gebsrmvn_1xn_kernelILj128ELj14ELj4E21rocsparse_complex_numIdEEEvi20rocsparse_direction_NS_24const_host_device_scalarIT2_EEPKiS8_PKS5_SA_S6_PS5_21rocsparse_index_base_b, .Lfunc_end288-_ZN9rocsparseL19gebsrmvn_1xn_kernelILj128ELj14ELj4E21rocsparse_complex_numIdEEEvi20rocsparse_direction_NS_24const_host_device_scalarIT2_EEPKiS8_PKS5_SA_S6_PS5_21rocsparse_index_base_b
                                        ; -- End function
	.set _ZN9rocsparseL19gebsrmvn_1xn_kernelILj128ELj14ELj4E21rocsparse_complex_numIdEEEvi20rocsparse_direction_NS_24const_host_device_scalarIT2_EEPKiS8_PKS5_SA_S6_PS5_21rocsparse_index_base_b.num_vgpr, 72
	.set _ZN9rocsparseL19gebsrmvn_1xn_kernelILj128ELj14ELj4E21rocsparse_complex_numIdEEEvi20rocsparse_direction_NS_24const_host_device_scalarIT2_EEPKiS8_PKS5_SA_S6_PS5_21rocsparse_index_base_b.num_agpr, 0
	.set _ZN9rocsparseL19gebsrmvn_1xn_kernelILj128ELj14ELj4E21rocsparse_complex_numIdEEEvi20rocsparse_direction_NS_24const_host_device_scalarIT2_EEPKiS8_PKS5_SA_S6_PS5_21rocsparse_index_base_b.numbered_sgpr, 13
	.set _ZN9rocsparseL19gebsrmvn_1xn_kernelILj128ELj14ELj4E21rocsparse_complex_numIdEEEvi20rocsparse_direction_NS_24const_host_device_scalarIT2_EEPKiS8_PKS5_SA_S6_PS5_21rocsparse_index_base_b.num_named_barrier, 0
	.set _ZN9rocsparseL19gebsrmvn_1xn_kernelILj128ELj14ELj4E21rocsparse_complex_numIdEEEvi20rocsparse_direction_NS_24const_host_device_scalarIT2_EEPKiS8_PKS5_SA_S6_PS5_21rocsparse_index_base_b.private_seg_size, 0
	.set _ZN9rocsparseL19gebsrmvn_1xn_kernelILj128ELj14ELj4E21rocsparse_complex_numIdEEEvi20rocsparse_direction_NS_24const_host_device_scalarIT2_EEPKiS8_PKS5_SA_S6_PS5_21rocsparse_index_base_b.uses_vcc, 1
	.set _ZN9rocsparseL19gebsrmvn_1xn_kernelILj128ELj14ELj4E21rocsparse_complex_numIdEEEvi20rocsparse_direction_NS_24const_host_device_scalarIT2_EEPKiS8_PKS5_SA_S6_PS5_21rocsparse_index_base_b.uses_flat_scratch, 0
	.set _ZN9rocsparseL19gebsrmvn_1xn_kernelILj128ELj14ELj4E21rocsparse_complex_numIdEEEvi20rocsparse_direction_NS_24const_host_device_scalarIT2_EEPKiS8_PKS5_SA_S6_PS5_21rocsparse_index_base_b.has_dyn_sized_stack, 0
	.set _ZN9rocsparseL19gebsrmvn_1xn_kernelILj128ELj14ELj4E21rocsparse_complex_numIdEEEvi20rocsparse_direction_NS_24const_host_device_scalarIT2_EEPKiS8_PKS5_SA_S6_PS5_21rocsparse_index_base_b.has_recursion, 0
	.set _ZN9rocsparseL19gebsrmvn_1xn_kernelILj128ELj14ELj4E21rocsparse_complex_numIdEEEvi20rocsparse_direction_NS_24const_host_device_scalarIT2_EEPKiS8_PKS5_SA_S6_PS5_21rocsparse_index_base_b.has_indirect_call, 0
	.section	.AMDGPU.csdata,"",@progbits
; Kernel info:
; codeLenInByte = 2088
; TotalNumSgprs: 15
; NumVgprs: 72
; ScratchSize: 0
; MemoryBound: 1
; FloatMode: 240
; IeeeMode: 1
; LDSByteSize: 0 bytes/workgroup (compile time only)
; SGPRBlocks: 0
; VGPRBlocks: 8
; NumSGPRsForWavesPerEU: 15
; NumVGPRsForWavesPerEU: 72
; Occupancy: 12
; WaveLimiterHint : 1
; COMPUTE_PGM_RSRC2:SCRATCH_EN: 0
; COMPUTE_PGM_RSRC2:USER_SGPR: 6
; COMPUTE_PGM_RSRC2:TRAP_HANDLER: 0
; COMPUTE_PGM_RSRC2:TGID_X_EN: 1
; COMPUTE_PGM_RSRC2:TGID_Y_EN: 0
; COMPUTE_PGM_RSRC2:TGID_Z_EN: 0
; COMPUTE_PGM_RSRC2:TIDIG_COMP_CNT: 0
	.section	.text._ZN9rocsparseL19gebsrmvn_1xn_kernelILj128ELj14ELj8E21rocsparse_complex_numIdEEEvi20rocsparse_direction_NS_24const_host_device_scalarIT2_EEPKiS8_PKS5_SA_S6_PS5_21rocsparse_index_base_b,"axG",@progbits,_ZN9rocsparseL19gebsrmvn_1xn_kernelILj128ELj14ELj8E21rocsparse_complex_numIdEEEvi20rocsparse_direction_NS_24const_host_device_scalarIT2_EEPKiS8_PKS5_SA_S6_PS5_21rocsparse_index_base_b,comdat
	.globl	_ZN9rocsparseL19gebsrmvn_1xn_kernelILj128ELj14ELj8E21rocsparse_complex_numIdEEEvi20rocsparse_direction_NS_24const_host_device_scalarIT2_EEPKiS8_PKS5_SA_S6_PS5_21rocsparse_index_base_b ; -- Begin function _ZN9rocsparseL19gebsrmvn_1xn_kernelILj128ELj14ELj8E21rocsparse_complex_numIdEEEvi20rocsparse_direction_NS_24const_host_device_scalarIT2_EEPKiS8_PKS5_SA_S6_PS5_21rocsparse_index_base_b
	.p2align	8
	.type	_ZN9rocsparseL19gebsrmvn_1xn_kernelILj128ELj14ELj8E21rocsparse_complex_numIdEEEvi20rocsparse_direction_NS_24const_host_device_scalarIT2_EEPKiS8_PKS5_SA_S6_PS5_21rocsparse_index_base_b,@function
_ZN9rocsparseL19gebsrmvn_1xn_kernelILj128ELj14ELj8E21rocsparse_complex_numIdEEEvi20rocsparse_direction_NS_24const_host_device_scalarIT2_EEPKiS8_PKS5_SA_S6_PS5_21rocsparse_index_base_b: ; @_ZN9rocsparseL19gebsrmvn_1xn_kernelILj128ELj14ELj8E21rocsparse_complex_numIdEEEvi20rocsparse_direction_NS_24const_host_device_scalarIT2_EEPKiS8_PKS5_SA_S6_PS5_21rocsparse_index_base_b
; %bb.0:
	s_clause 0x1
	s_load_dwordx2 s[8:9], s[4:5], 0x50
	s_load_dwordx2 s[0:1], s[4:5], 0x8
	s_add_u32 s7, s4, 8
	s_addc_u32 s10, s5, 0
	s_add_u32 s11, s4, 56
	s_addc_u32 s12, s5, 0
	s_load_dwordx2 s[2:3], s[4:5], 0x38
	s_waitcnt lgkmcnt(0)
	s_bitcmp1_b32 s9, 0
	s_cselect_b32 s0, s7, s0
	s_cselect_b32 s1, s10, s1
	v_mov_b32_e32 v1, s0
	v_mov_b32_e32 v2, s1
	s_cselect_b32 s0, s11, s2
	s_cselect_b32 s1, s12, s3
	flat_load_dwordx4 v[5:8], v[1:2]
	v_mov_b32_e32 v1, s0
	v_mov_b32_e32 v2, s1
	flat_load_dwordx4 v[1:4], v[1:2]
	s_waitcnt vmcnt(1) lgkmcnt(1)
	v_cmp_eq_f64_e32 vcc_lo, 0, v[5:6]
	v_cmp_eq_f64_e64 s0, 0, v[7:8]
	s_and_b32 s2, vcc_lo, s0
	s_mov_b32 s0, -1
	s_and_saveexec_b32 s1, s2
	s_cbranch_execz .LBB289_2
; %bb.1:
	s_waitcnt vmcnt(0) lgkmcnt(0)
	v_cmp_neq_f64_e32 vcc_lo, 1.0, v[1:2]
	v_cmp_neq_f64_e64 s0, 0, v[3:4]
	s_or_b32 s0, vcc_lo, s0
	s_orn2_b32 s0, s0, exec_lo
.LBB289_2:
	s_or_b32 exec_lo, exec_lo, s1
	s_and_saveexec_b32 s1, s0
	s_cbranch_execz .LBB289_13
; %bb.3:
	s_load_dword s0, s[4:5], 0x0
	v_lshrrev_b32_e32 v9, 3, v0
	v_lshl_or_b32 v9, s6, 4, v9
	s_waitcnt lgkmcnt(0)
	v_cmp_gt_i32_e32 vcc_lo, s0, v9
	s_and_b32 exec_lo, exec_lo, vcc_lo
	s_cbranch_execz .LBB289_13
; %bb.4:
	s_clause 0x1
	s_load_dwordx2 s[0:1], s[4:5], 0x18
	s_load_dwordx2 s[6:7], s[4:5], 0x48
	v_ashrrev_i32_e32 v10, 31, v9
	v_and_b32_e32 v0, 7, v0
	v_mov_b32_e32 v16, 0
	v_mov_b32_e32 v18, 0
	;; [unrolled: 1-line block ×3, first 2 shown]
	v_lshlrev_b64 v[11:12], 2, v[9:10]
	v_subrev_nc_u32_e32 v13, s8, v0
	v_mov_b32_e32 v19, 0
	s_mov_b32 s9, exec_lo
	s_waitcnt lgkmcnt(0)
	v_add_co_u32 v11, vcc_lo, s0, v11
	v_add_co_ci_u32_e64 v12, null, s1, v12, vcc_lo
	global_load_dwordx2 v[11:12], v[11:12], off
	s_waitcnt vmcnt(0)
	v_subrev_nc_u32_e32 v20, s8, v12
	v_add_nc_u32_e32 v11, v11, v13
	v_cmpx_lt_i32_e64 v11, v20
	s_cbranch_execz .LBB289_8
; %bb.5:
	s_clause 0x1
	s_load_dwordx4 s[0:3], s[4:5], 0x20
	s_load_dwordx2 s[4:5], s[4:5], 0x30
	v_mad_u64_u32 v[13:14], null, v11, 14, 13
	v_mov_b32_e32 v16, 0
	v_mov_b32_e32 v18, 0
	;; [unrolled: 1-line block ×5, first 2 shown]
	s_mov_b32 s10, 0
.LBB289_6:                              ; =>This Inner Loop Header: Depth=1
	v_ashrrev_i32_e32 v12, 31, v11
	v_add_nc_u32_e32 v14, -13, v13
	v_mov_b32_e32 v62, v15
	v_lshlrev_b64 v[21:22], 2, v[11:12]
	v_add_nc_u32_e32 v11, 8, v11
	s_waitcnt lgkmcnt(0)
	v_add_co_u32 v21, vcc_lo, s0, v21
	v_add_co_ci_u32_e64 v22, null, s1, v22, vcc_lo
	global_load_dword v12, v[21:22], off
	v_lshlrev_b64 v[21:22], 4, v[14:15]
	v_add_nc_u32_e32 v14, -11, v13
	v_lshlrev_b64 v[23:24], 4, v[14:15]
	v_add_co_u32 v25, vcc_lo, s2, v21
	v_add_co_ci_u32_e64 v26, null, s3, v22, vcc_lo
	v_add_co_u32 v29, vcc_lo, s2, v23
	v_add_co_ci_u32_e64 v30, null, s3, v24, vcc_lo
	s_clause 0x2
	global_load_dwordx4 v[21:24], v[25:26], off offset:16
	global_load_dwordx4 v[25:28], v[25:26], off
	global_load_dwordx4 v[29:32], v[29:30], off
	s_waitcnt vmcnt(3)
	v_subrev_nc_u32_e32 v12, s8, v12
	v_mul_lo_u32 v61, v12, 14
	v_lshlrev_b64 v[33:34], 4, v[61:62]
	v_add_nc_u32_e32 v14, 2, v61
	v_lshlrev_b64 v[41:42], 4, v[14:15]
	v_add_co_u32 v37, vcc_lo, s4, v33
	v_add_co_ci_u32_e64 v38, null, s5, v34, vcc_lo
	v_add_nc_u32_e32 v14, -10, v13
	v_add_co_u32 v47, vcc_lo, s4, v41
	s_clause 0x1
	global_load_dwordx4 v[33:36], v[37:38], off
	global_load_dwordx4 v[37:40], v[37:38], off offset:16
	v_add_co_ci_u32_e64 v48, null, s5, v42, vcc_lo
	v_lshlrev_b64 v[45:46], 4, v[14:15]
	v_add_nc_u32_e32 v14, -9, v13
	global_load_dwordx4 v[41:44], v[47:48], off
	v_add_co_u32 v49, vcc_lo, s2, v45
	v_add_co_ci_u32_e64 v50, null, s3, v46, vcc_lo
	global_load_dwordx4 v[45:48], v[47:48], off offset:16
	v_lshlrev_b64 v[53:54], 4, v[14:15]
	v_add_nc_u32_e32 v14, 4, v61
	global_load_dwordx4 v[49:52], v[49:50], off
	v_lshlrev_b64 v[55:56], 4, v[14:15]
	v_add_nc_u32_e32 v14, -8, v13
	v_add_co_u32 v53, vcc_lo, s2, v53
	v_add_co_ci_u32_e64 v54, null, s3, v54, vcc_lo
	v_lshlrev_b64 v[57:58], 4, v[14:15]
	v_add_co_u32 v62, vcc_lo, s4, v55
	v_add_co_ci_u32_e64 v63, null, s5, v56, vcc_lo
	global_load_dwordx4 v[53:56], v[53:54], off
	v_add_co_u32 v66, vcc_lo, s2, v57
	v_add_co_ci_u32_e64 v67, null, s3, v58, vcc_lo
	global_load_dwordx4 v[57:60], v[62:63], off
	v_add_nc_u32_e32 v14, -7, v13
	v_lshlrev_b64 v[64:65], 4, v[14:15]
	v_add_nc_u32_e32 v14, 6, v61
	v_add_co_u32 v64, vcc_lo, s2, v64
	v_add_co_ci_u32_e64 v65, null, s3, v65, vcc_lo
	s_waitcnt vmcnt(6)
	v_fma_f64 v[18:19], v[25:26], v[33:34], v[18:19]
	v_fma_f64 v[16:17], v[27:28], v[33:34], v[16:17]
	v_fma_f64 v[33:34], -v[27:28], v[35:36], v[18:19]
	v_fma_f64 v[35:36], v[25:26], v[35:36], v[16:17]
	global_load_dwordx4 v[16:19], v[62:63], off offset:16
	global_load_dwordx4 v[25:28], v[66:67], off
	v_lshlrev_b64 v[62:63], 4, v[14:15]
	v_add_nc_u32_e32 v14, -6, v13
	v_add_co_u32 v62, vcc_lo, s4, v62
	v_add_co_ci_u32_e64 v63, null, s5, v63, vcc_lo
	v_lshlrev_b64 v[66:67], 4, v[14:15]
	v_add_nc_u32_e32 v14, -5, v13
	s_waitcnt vmcnt(7)
	v_fma_f64 v[33:34], v[21:22], v[37:38], v[33:34]
	v_fma_f64 v[35:36], v[23:24], v[37:38], v[35:36]
	v_fma_f64 v[68:69], -v[23:24], v[39:40], v[33:34]
	v_fma_f64 v[70:71], v[21:22], v[39:40], v[35:36]
	global_load_dwordx4 v[21:24], v[64:65], off
	s_clause 0x1
	global_load_dwordx4 v[33:36], v[62:63], off
	global_load_dwordx4 v[37:40], v[62:63], off offset:16
	v_add_co_u32 v64, vcc_lo, s2, v66
	v_add_co_ci_u32_e64 v65, null, s3, v67, vcc_lo
	s_waitcnt vmcnt(9)
	v_fma_f64 v[62:63], v[29:30], v[41:42], v[68:69]
	v_fma_f64 v[41:42], v[31:32], v[41:42], v[70:71]
	v_fma_f64 v[62:63], -v[31:32], v[43:44], v[62:63]
	v_fma_f64 v[66:67], v[29:30], v[43:44], v[41:42]
	global_load_dwordx4 v[29:32], v[64:65], off
	v_lshlrev_b64 v[41:42], 4, v[14:15]
	v_add_nc_u32_e32 v14, 8, v61
	v_lshlrev_b64 v[43:44], 4, v[14:15]
	v_add_co_u32 v41, vcc_lo, s2, v41
	v_add_co_ci_u32_e64 v42, null, s3, v42, vcc_lo
	v_add_nc_u32_e32 v14, -4, v13
	v_add_co_u32 v64, vcc_lo, s4, v43
	v_add_co_ci_u32_e64 v65, null, s5, v44, vcc_lo
	global_load_dwordx4 v[41:44], v[41:42], off
	s_waitcnt vmcnt(9)
	v_fma_f64 v[62:63], v[49:50], v[45:46], v[62:63]
	v_fma_f64 v[45:46], v[51:52], v[45:46], v[66:67]
	v_fma_f64 v[62:63], -v[51:52], v[47:48], v[62:63]
	v_fma_f64 v[66:67], v[49:50], v[47:48], v[45:46]
	global_load_dwordx4 v[45:48], v[64:65], off
	v_lshlrev_b64 v[49:50], 4, v[14:15]
	v_add_nc_u32_e32 v14, -3, v13
	v_add_co_u32 v68, vcc_lo, s2, v49
	v_add_co_ci_u32_e64 v69, null, s3, v50, vcc_lo
	global_load_dwordx4 v[49:52], v[64:65], off offset:16
	s_waitcnt vmcnt(9)
	v_fma_f64 v[62:63], v[53:54], v[57:58], v[62:63]
	v_fma_f64 v[57:58], v[55:56], v[57:58], v[66:67]
	v_fma_f64 v[62:63], -v[55:56], v[59:60], v[62:63]
	v_fma_f64 v[64:65], v[53:54], v[59:60], v[57:58]
	global_load_dwordx4 v[53:56], v[68:69], off
	v_lshlrev_b64 v[57:58], 4, v[14:15]
	v_add_nc_u32_e32 v14, 10, v61
	v_lshlrev_b64 v[59:60], 4, v[14:15]
	v_add_co_u32 v57, vcc_lo, s2, v57
	v_add_co_ci_u32_e64 v58, null, s3, v58, vcc_lo
	v_add_nc_u32_e32 v14, -2, v13
	v_add_co_u32 v66, vcc_lo, s4, v59
	v_add_co_ci_u32_e64 v67, null, s5, v60, vcc_lo
	global_load_dwordx4 v[57:60], v[57:58], off
	s_waitcnt vmcnt(9)
	v_fma_f64 v[62:63], v[25:26], v[16:17], v[62:63]
	v_fma_f64 v[16:17], v[27:28], v[16:17], v[64:65]
	v_fma_f64 v[62:63], -v[27:28], v[18:19], v[62:63]
	v_fma_f64 v[64:65], v[25:26], v[18:19], v[16:17]
	global_load_dwordx4 v[16:19], v[66:67], off
	v_lshlrev_b64 v[25:26], 4, v[14:15]
	v_add_nc_u32_e32 v14, -1, v13
	v_add_co_u32 v68, vcc_lo, s2, v25
	v_add_co_ci_u32_e64 v69, null, s3, v26, vcc_lo
	global_load_dwordx4 v[25:28], v[66:67], off offset:16
	s_waitcnt vmcnt(9)
	v_fma_f64 v[62:63], v[21:22], v[33:34], v[62:63]
	v_fma_f64 v[33:34], v[23:24], v[33:34], v[64:65]
	v_fma_f64 v[62:63], -v[23:24], v[35:36], v[62:63]
	v_fma_f64 v[64:65], v[21:22], v[35:36], v[33:34]
	global_load_dwordx4 v[21:24], v[68:69], off
	v_lshlrev_b64 v[33:34], 4, v[14:15]
	v_add_nc_u32_e32 v14, 12, v61
	v_lshlrev_b64 v[35:36], 4, v[14:15]
	v_add_co_u32 v33, vcc_lo, s2, v33
	v_add_co_ci_u32_e64 v34, null, s3, v34, vcc_lo
	v_mov_b32_e32 v14, v15
	v_add_co_u32 v66, vcc_lo, s4, v35
	v_add_co_ci_u32_e64 v67, null, s5, v36, vcc_lo
	global_load_dwordx4 v[33:36], v[33:34], off
	s_waitcnt vmcnt(9)
	v_fma_f64 v[61:62], v[29:30], v[37:38], v[62:63]
	v_fma_f64 v[37:38], v[31:32], v[37:38], v[64:65]
	v_fma_f64 v[68:69], -v[31:32], v[39:40], v[61:62]
	v_fma_f64 v[70:71], v[29:30], v[39:40], v[37:38]
	global_load_dwordx4 v[29:32], v[66:67], off
	v_lshlrev_b64 v[37:38], 4, v[13:14]
	v_add_nc_u32_e32 v13, 0x70, v13
	v_add_co_u32 v37, vcc_lo, s2, v37
	v_add_co_ci_u32_e64 v38, null, s3, v38, vcc_lo
	global_load_dwordx4 v[37:40], v[37:38], off
	global_load_dwordx4 v[61:64], v[66:67], off offset:16
	v_cmp_ge_i32_e32 vcc_lo, v11, v20
	s_waitcnt vmcnt(10)
	v_fma_f64 v[65:66], v[41:42], v[45:46], v[68:69]
	v_fma_f64 v[45:46], v[43:44], v[45:46], v[70:71]
	s_or_b32 s10, vcc_lo, s10
	v_fma_f64 v[43:44], -v[43:44], v[47:48], v[65:66]
	v_fma_f64 v[41:42], v[41:42], v[47:48], v[45:46]
	s_waitcnt vmcnt(8)
	v_fma_f64 v[43:44], v[53:54], v[49:50], v[43:44]
	v_fma_f64 v[41:42], v[55:56], v[49:50], v[41:42]
	v_fma_f64 v[43:44], -v[55:56], v[51:52], v[43:44]
	v_fma_f64 v[41:42], v[53:54], v[51:52], v[41:42]
	s_waitcnt vmcnt(6)
	v_fma_f64 v[43:44], v[57:58], v[16:17], v[43:44]
	v_fma_f64 v[16:17], v[59:60], v[16:17], v[41:42]
	;; [unrolled: 5-line block ×5, first 2 shown]
	v_fma_f64 v[18:19], -v[39:40], v[63:64], v[18:19]
	v_fma_f64 v[16:17], v[37:38], v[63:64], v[16:17]
	s_andn2_b32 exec_lo, exec_lo, s10
	s_cbranch_execnz .LBB289_6
; %bb.7:
	s_or_b32 exec_lo, exec_lo, s10
.LBB289_8:
	s_or_b32 exec_lo, exec_lo, s9
	v_mbcnt_lo_u32_b32 v20, -1, 0
	v_xor_b32_e32 v11, 4, v20
	v_xor_b32_e32 v15, 2, v20
	v_cmp_gt_i32_e32 vcc_lo, 32, v11
	v_cndmask_b32_e32 v11, v20, v11, vcc_lo
	v_cmp_gt_i32_e32 vcc_lo, 32, v15
	v_lshlrev_b32_e32 v14, 2, v11
	v_cndmask_b32_e32 v15, v20, v15, vcc_lo
	ds_bpermute_b32 v11, v14, v18
	ds_bpermute_b32 v12, v14, v19
	;; [unrolled: 1-line block ×4, first 2 shown]
	s_waitcnt lgkmcnt(2)
	v_add_f64 v[11:12], v[18:19], v[11:12]
	v_lshlrev_b32_e32 v18, 2, v15
	s_waitcnt lgkmcnt(0)
	v_add_f64 v[13:14], v[16:17], v[13:14]
	ds_bpermute_b32 v15, v18, v11
	ds_bpermute_b32 v16, v18, v12
	;; [unrolled: 1-line block ×4, first 2 shown]
	s_waitcnt lgkmcnt(2)
	v_add_f64 v[11:12], v[11:12], v[15:16]
	v_xor_b32_e32 v15, 1, v20
	s_waitcnt lgkmcnt(0)
	v_add_f64 v[13:14], v[13:14], v[17:18]
	v_cmp_gt_i32_e32 vcc_lo, 32, v15
	v_cndmask_b32_e32 v15, v20, v15, vcc_lo
	v_cmp_eq_u32_e32 vcc_lo, 7, v0
	v_lshlrev_b32_e32 v18, 2, v15
	ds_bpermute_b32 v15, v18, v11
	ds_bpermute_b32 v16, v18, v12
	;; [unrolled: 1-line block ×4, first 2 shown]
	s_and_b32 exec_lo, exec_lo, vcc_lo
	s_cbranch_execz .LBB289_13
; %bb.9:
	s_waitcnt lgkmcnt(0)
	v_add_f64 v[13:14], v[13:14], v[17:18]
	v_add_f64 v[11:12], v[11:12], v[15:16]
	v_cmp_eq_f64_e32 vcc_lo, 0, v[1:2]
	v_cmp_eq_f64_e64 s0, 0, v[3:4]
	v_lshlrev_b64 v[9:10], 4, v[9:10]
	v_mul_f64 v[15:16], v[13:14], -v[7:8]
	v_mul_f64 v[13:14], v[5:6], v[13:14]
	s_and_b32 s0, vcc_lo, s0
	v_fma_f64 v[5:6], v[5:6], v[11:12], v[15:16]
	v_fma_f64 v[7:8], v[7:8], v[11:12], v[13:14]
	s_and_saveexec_b32 s1, s0
	s_xor_b32 s0, exec_lo, s1
	s_cbranch_execz .LBB289_11
; %bb.10:
	v_add_co_u32 v0, vcc_lo, s6, v9
	v_add_co_ci_u32_e64 v1, null, s7, v10, vcc_lo
                                        ; implicit-def: $vgpr9_vgpr10
	global_store_dwordx4 v[0:1], v[5:8], off
                                        ; implicit-def: $vgpr1_vgpr2
                                        ; implicit-def: $vgpr5_vgpr6
.LBB289_11:
	s_andn2_saveexec_b32 s0, s0
	s_cbranch_execz .LBB289_13
; %bb.12:
	v_add_co_u32 v13, vcc_lo, s6, v9
	v_add_co_ci_u32_e64 v14, null, s7, v10, vcc_lo
	global_load_dwordx4 v[9:12], v[13:14], off
	s_waitcnt vmcnt(0)
	v_fma_f64 v[5:6], v[1:2], v[9:10], v[5:6]
	v_fma_f64 v[7:8], v[3:4], v[9:10], v[7:8]
	v_fma_f64 v[3:4], -v[3:4], v[11:12], v[5:6]
	v_fma_f64 v[5:6], v[1:2], v[11:12], v[7:8]
	global_store_dwordx4 v[13:14], v[3:6], off
.LBB289_13:
	s_endpgm
	.section	.rodata,"a",@progbits
	.p2align	6, 0x0
	.amdhsa_kernel _ZN9rocsparseL19gebsrmvn_1xn_kernelILj128ELj14ELj8E21rocsparse_complex_numIdEEEvi20rocsparse_direction_NS_24const_host_device_scalarIT2_EEPKiS8_PKS5_SA_S6_PS5_21rocsparse_index_base_b
		.amdhsa_group_segment_fixed_size 0
		.amdhsa_private_segment_fixed_size 0
		.amdhsa_kernarg_size 88
		.amdhsa_user_sgpr_count 6
		.amdhsa_user_sgpr_private_segment_buffer 1
		.amdhsa_user_sgpr_dispatch_ptr 0
		.amdhsa_user_sgpr_queue_ptr 0
		.amdhsa_user_sgpr_kernarg_segment_ptr 1
		.amdhsa_user_sgpr_dispatch_id 0
		.amdhsa_user_sgpr_flat_scratch_init 0
		.amdhsa_user_sgpr_private_segment_size 0
		.amdhsa_wavefront_size32 1
		.amdhsa_uses_dynamic_stack 0
		.amdhsa_system_sgpr_private_segment_wavefront_offset 0
		.amdhsa_system_sgpr_workgroup_id_x 1
		.amdhsa_system_sgpr_workgroup_id_y 0
		.amdhsa_system_sgpr_workgroup_id_z 0
		.amdhsa_system_sgpr_workgroup_info 0
		.amdhsa_system_vgpr_workitem_id 0
		.amdhsa_next_free_vgpr 72
		.amdhsa_next_free_sgpr 13
		.amdhsa_reserve_vcc 1
		.amdhsa_reserve_flat_scratch 0
		.amdhsa_float_round_mode_32 0
		.amdhsa_float_round_mode_16_64 0
		.amdhsa_float_denorm_mode_32 3
		.amdhsa_float_denorm_mode_16_64 3
		.amdhsa_dx10_clamp 1
		.amdhsa_ieee_mode 1
		.amdhsa_fp16_overflow 0
		.amdhsa_workgroup_processor_mode 1
		.amdhsa_memory_ordered 1
		.amdhsa_forward_progress 1
		.amdhsa_shared_vgpr_count 0
		.amdhsa_exception_fp_ieee_invalid_op 0
		.amdhsa_exception_fp_denorm_src 0
		.amdhsa_exception_fp_ieee_div_zero 0
		.amdhsa_exception_fp_ieee_overflow 0
		.amdhsa_exception_fp_ieee_underflow 0
		.amdhsa_exception_fp_ieee_inexact 0
		.amdhsa_exception_int_div_zero 0
	.end_amdhsa_kernel
	.section	.text._ZN9rocsparseL19gebsrmvn_1xn_kernelILj128ELj14ELj8E21rocsparse_complex_numIdEEEvi20rocsparse_direction_NS_24const_host_device_scalarIT2_EEPKiS8_PKS5_SA_S6_PS5_21rocsparse_index_base_b,"axG",@progbits,_ZN9rocsparseL19gebsrmvn_1xn_kernelILj128ELj14ELj8E21rocsparse_complex_numIdEEEvi20rocsparse_direction_NS_24const_host_device_scalarIT2_EEPKiS8_PKS5_SA_S6_PS5_21rocsparse_index_base_b,comdat
.Lfunc_end289:
	.size	_ZN9rocsparseL19gebsrmvn_1xn_kernelILj128ELj14ELj8E21rocsparse_complex_numIdEEEvi20rocsparse_direction_NS_24const_host_device_scalarIT2_EEPKiS8_PKS5_SA_S6_PS5_21rocsparse_index_base_b, .Lfunc_end289-_ZN9rocsparseL19gebsrmvn_1xn_kernelILj128ELj14ELj8E21rocsparse_complex_numIdEEEvi20rocsparse_direction_NS_24const_host_device_scalarIT2_EEPKiS8_PKS5_SA_S6_PS5_21rocsparse_index_base_b
                                        ; -- End function
	.set _ZN9rocsparseL19gebsrmvn_1xn_kernelILj128ELj14ELj8E21rocsparse_complex_numIdEEEvi20rocsparse_direction_NS_24const_host_device_scalarIT2_EEPKiS8_PKS5_SA_S6_PS5_21rocsparse_index_base_b.num_vgpr, 72
	.set _ZN9rocsparseL19gebsrmvn_1xn_kernelILj128ELj14ELj8E21rocsparse_complex_numIdEEEvi20rocsparse_direction_NS_24const_host_device_scalarIT2_EEPKiS8_PKS5_SA_S6_PS5_21rocsparse_index_base_b.num_agpr, 0
	.set _ZN9rocsparseL19gebsrmvn_1xn_kernelILj128ELj14ELj8E21rocsparse_complex_numIdEEEvi20rocsparse_direction_NS_24const_host_device_scalarIT2_EEPKiS8_PKS5_SA_S6_PS5_21rocsparse_index_base_b.numbered_sgpr, 13
	.set _ZN9rocsparseL19gebsrmvn_1xn_kernelILj128ELj14ELj8E21rocsparse_complex_numIdEEEvi20rocsparse_direction_NS_24const_host_device_scalarIT2_EEPKiS8_PKS5_SA_S6_PS5_21rocsparse_index_base_b.num_named_barrier, 0
	.set _ZN9rocsparseL19gebsrmvn_1xn_kernelILj128ELj14ELj8E21rocsparse_complex_numIdEEEvi20rocsparse_direction_NS_24const_host_device_scalarIT2_EEPKiS8_PKS5_SA_S6_PS5_21rocsparse_index_base_b.private_seg_size, 0
	.set _ZN9rocsparseL19gebsrmvn_1xn_kernelILj128ELj14ELj8E21rocsparse_complex_numIdEEEvi20rocsparse_direction_NS_24const_host_device_scalarIT2_EEPKiS8_PKS5_SA_S6_PS5_21rocsparse_index_base_b.uses_vcc, 1
	.set _ZN9rocsparseL19gebsrmvn_1xn_kernelILj128ELj14ELj8E21rocsparse_complex_numIdEEEvi20rocsparse_direction_NS_24const_host_device_scalarIT2_EEPKiS8_PKS5_SA_S6_PS5_21rocsparse_index_base_b.uses_flat_scratch, 0
	.set _ZN9rocsparseL19gebsrmvn_1xn_kernelILj128ELj14ELj8E21rocsparse_complex_numIdEEEvi20rocsparse_direction_NS_24const_host_device_scalarIT2_EEPKiS8_PKS5_SA_S6_PS5_21rocsparse_index_base_b.has_dyn_sized_stack, 0
	.set _ZN9rocsparseL19gebsrmvn_1xn_kernelILj128ELj14ELj8E21rocsparse_complex_numIdEEEvi20rocsparse_direction_NS_24const_host_device_scalarIT2_EEPKiS8_PKS5_SA_S6_PS5_21rocsparse_index_base_b.has_recursion, 0
	.set _ZN9rocsparseL19gebsrmvn_1xn_kernelILj128ELj14ELj8E21rocsparse_complex_numIdEEEvi20rocsparse_direction_NS_24const_host_device_scalarIT2_EEPKiS8_PKS5_SA_S6_PS5_21rocsparse_index_base_b.has_indirect_call, 0
	.section	.AMDGPU.csdata,"",@progbits
; Kernel info:
; codeLenInByte = 2164
; TotalNumSgprs: 15
; NumVgprs: 72
; ScratchSize: 0
; MemoryBound: 1
; FloatMode: 240
; IeeeMode: 1
; LDSByteSize: 0 bytes/workgroup (compile time only)
; SGPRBlocks: 0
; VGPRBlocks: 8
; NumSGPRsForWavesPerEU: 15
; NumVGPRsForWavesPerEU: 72
; Occupancy: 12
; WaveLimiterHint : 1
; COMPUTE_PGM_RSRC2:SCRATCH_EN: 0
; COMPUTE_PGM_RSRC2:USER_SGPR: 6
; COMPUTE_PGM_RSRC2:TRAP_HANDLER: 0
; COMPUTE_PGM_RSRC2:TGID_X_EN: 1
; COMPUTE_PGM_RSRC2:TGID_Y_EN: 0
; COMPUTE_PGM_RSRC2:TGID_Z_EN: 0
; COMPUTE_PGM_RSRC2:TIDIG_COMP_CNT: 0
	.section	.text._ZN9rocsparseL19gebsrmvn_1xn_kernelILj128ELj14ELj16E21rocsparse_complex_numIdEEEvi20rocsparse_direction_NS_24const_host_device_scalarIT2_EEPKiS8_PKS5_SA_S6_PS5_21rocsparse_index_base_b,"axG",@progbits,_ZN9rocsparseL19gebsrmvn_1xn_kernelILj128ELj14ELj16E21rocsparse_complex_numIdEEEvi20rocsparse_direction_NS_24const_host_device_scalarIT2_EEPKiS8_PKS5_SA_S6_PS5_21rocsparse_index_base_b,comdat
	.globl	_ZN9rocsparseL19gebsrmvn_1xn_kernelILj128ELj14ELj16E21rocsparse_complex_numIdEEEvi20rocsparse_direction_NS_24const_host_device_scalarIT2_EEPKiS8_PKS5_SA_S6_PS5_21rocsparse_index_base_b ; -- Begin function _ZN9rocsparseL19gebsrmvn_1xn_kernelILj128ELj14ELj16E21rocsparse_complex_numIdEEEvi20rocsparse_direction_NS_24const_host_device_scalarIT2_EEPKiS8_PKS5_SA_S6_PS5_21rocsparse_index_base_b
	.p2align	8
	.type	_ZN9rocsparseL19gebsrmvn_1xn_kernelILj128ELj14ELj16E21rocsparse_complex_numIdEEEvi20rocsparse_direction_NS_24const_host_device_scalarIT2_EEPKiS8_PKS5_SA_S6_PS5_21rocsparse_index_base_b,@function
_ZN9rocsparseL19gebsrmvn_1xn_kernelILj128ELj14ELj16E21rocsparse_complex_numIdEEEvi20rocsparse_direction_NS_24const_host_device_scalarIT2_EEPKiS8_PKS5_SA_S6_PS5_21rocsparse_index_base_b: ; @_ZN9rocsparseL19gebsrmvn_1xn_kernelILj128ELj14ELj16E21rocsparse_complex_numIdEEEvi20rocsparse_direction_NS_24const_host_device_scalarIT2_EEPKiS8_PKS5_SA_S6_PS5_21rocsparse_index_base_b
; %bb.0:
	s_clause 0x1
	s_load_dwordx2 s[8:9], s[4:5], 0x50
	s_load_dwordx2 s[0:1], s[4:5], 0x8
	s_add_u32 s7, s4, 8
	s_addc_u32 s10, s5, 0
	s_add_u32 s11, s4, 56
	s_addc_u32 s12, s5, 0
	s_load_dwordx2 s[2:3], s[4:5], 0x38
	s_waitcnt lgkmcnt(0)
	s_bitcmp1_b32 s9, 0
	s_cselect_b32 s0, s7, s0
	s_cselect_b32 s1, s10, s1
	v_mov_b32_e32 v1, s0
	v_mov_b32_e32 v2, s1
	s_cselect_b32 s0, s11, s2
	s_cselect_b32 s1, s12, s3
	flat_load_dwordx4 v[5:8], v[1:2]
	v_mov_b32_e32 v1, s0
	v_mov_b32_e32 v2, s1
	flat_load_dwordx4 v[1:4], v[1:2]
	s_waitcnt vmcnt(1) lgkmcnt(1)
	v_cmp_eq_f64_e32 vcc_lo, 0, v[5:6]
	v_cmp_eq_f64_e64 s0, 0, v[7:8]
	s_and_b32 s2, vcc_lo, s0
	s_mov_b32 s0, -1
	s_and_saveexec_b32 s1, s2
	s_cbranch_execz .LBB290_2
; %bb.1:
	s_waitcnt vmcnt(0) lgkmcnt(0)
	v_cmp_neq_f64_e32 vcc_lo, 1.0, v[1:2]
	v_cmp_neq_f64_e64 s0, 0, v[3:4]
	s_or_b32 s0, vcc_lo, s0
	s_orn2_b32 s0, s0, exec_lo
.LBB290_2:
	s_or_b32 exec_lo, exec_lo, s1
	s_and_saveexec_b32 s1, s0
	s_cbranch_execz .LBB290_13
; %bb.3:
	s_load_dword s0, s[4:5], 0x0
	v_lshrrev_b32_e32 v9, 4, v0
	v_lshl_or_b32 v9, s6, 3, v9
	s_waitcnt lgkmcnt(0)
	v_cmp_gt_i32_e32 vcc_lo, s0, v9
	s_and_b32 exec_lo, exec_lo, vcc_lo
	s_cbranch_execz .LBB290_13
; %bb.4:
	s_clause 0x1
	s_load_dwordx2 s[0:1], s[4:5], 0x18
	s_load_dwordx2 s[6:7], s[4:5], 0x48
	v_ashrrev_i32_e32 v10, 31, v9
	v_and_b32_e32 v0, 15, v0
	v_mov_b32_e32 v16, 0
	v_mov_b32_e32 v18, 0
	;; [unrolled: 1-line block ×3, first 2 shown]
	v_lshlrev_b64 v[11:12], 2, v[9:10]
	v_subrev_nc_u32_e32 v13, s8, v0
	v_mov_b32_e32 v19, 0
	s_mov_b32 s9, exec_lo
	s_waitcnt lgkmcnt(0)
	v_add_co_u32 v11, vcc_lo, s0, v11
	v_add_co_ci_u32_e64 v12, null, s1, v12, vcc_lo
	global_load_dwordx2 v[11:12], v[11:12], off
	s_waitcnt vmcnt(0)
	v_subrev_nc_u32_e32 v20, s8, v12
	v_add_nc_u32_e32 v11, v11, v13
	v_cmpx_lt_i32_e64 v11, v20
	s_cbranch_execz .LBB290_8
; %bb.5:
	s_clause 0x1
	s_load_dwordx4 s[0:3], s[4:5], 0x20
	s_load_dwordx2 s[4:5], s[4:5], 0x30
	v_mad_u64_u32 v[13:14], null, v11, 14, 13
	v_mov_b32_e32 v16, 0
	v_mov_b32_e32 v18, 0
	;; [unrolled: 1-line block ×5, first 2 shown]
	s_mov_b32 s10, 0
.LBB290_6:                              ; =>This Inner Loop Header: Depth=1
	v_ashrrev_i32_e32 v12, 31, v11
	v_add_nc_u32_e32 v14, -13, v13
	v_mov_b32_e32 v62, v15
	v_lshlrev_b64 v[21:22], 2, v[11:12]
	v_add_nc_u32_e32 v11, 16, v11
	s_waitcnt lgkmcnt(0)
	v_add_co_u32 v21, vcc_lo, s0, v21
	v_add_co_ci_u32_e64 v22, null, s1, v22, vcc_lo
	global_load_dword v12, v[21:22], off
	v_lshlrev_b64 v[21:22], 4, v[14:15]
	v_add_nc_u32_e32 v14, -11, v13
	v_lshlrev_b64 v[23:24], 4, v[14:15]
	v_add_co_u32 v25, vcc_lo, s2, v21
	v_add_co_ci_u32_e64 v26, null, s3, v22, vcc_lo
	v_add_co_u32 v29, vcc_lo, s2, v23
	v_add_co_ci_u32_e64 v30, null, s3, v24, vcc_lo
	s_clause 0x2
	global_load_dwordx4 v[21:24], v[25:26], off offset:16
	global_load_dwordx4 v[25:28], v[25:26], off
	global_load_dwordx4 v[29:32], v[29:30], off
	s_waitcnt vmcnt(3)
	v_subrev_nc_u32_e32 v12, s8, v12
	v_mul_lo_u32 v61, v12, 14
	v_lshlrev_b64 v[33:34], 4, v[61:62]
	v_add_nc_u32_e32 v14, 2, v61
	v_lshlrev_b64 v[41:42], 4, v[14:15]
	v_add_co_u32 v37, vcc_lo, s4, v33
	v_add_co_ci_u32_e64 v38, null, s5, v34, vcc_lo
	v_add_nc_u32_e32 v14, -10, v13
	v_add_co_u32 v47, vcc_lo, s4, v41
	s_clause 0x1
	global_load_dwordx4 v[33:36], v[37:38], off
	global_load_dwordx4 v[37:40], v[37:38], off offset:16
	v_add_co_ci_u32_e64 v48, null, s5, v42, vcc_lo
	v_lshlrev_b64 v[45:46], 4, v[14:15]
	v_add_nc_u32_e32 v14, -9, v13
	global_load_dwordx4 v[41:44], v[47:48], off
	v_add_co_u32 v49, vcc_lo, s2, v45
	v_add_co_ci_u32_e64 v50, null, s3, v46, vcc_lo
	global_load_dwordx4 v[45:48], v[47:48], off offset:16
	v_lshlrev_b64 v[53:54], 4, v[14:15]
	v_add_nc_u32_e32 v14, 4, v61
	global_load_dwordx4 v[49:52], v[49:50], off
	v_lshlrev_b64 v[55:56], 4, v[14:15]
	v_add_nc_u32_e32 v14, -8, v13
	v_add_co_u32 v53, vcc_lo, s2, v53
	v_add_co_ci_u32_e64 v54, null, s3, v54, vcc_lo
	v_lshlrev_b64 v[57:58], 4, v[14:15]
	v_add_co_u32 v62, vcc_lo, s4, v55
	v_add_co_ci_u32_e64 v63, null, s5, v56, vcc_lo
	global_load_dwordx4 v[53:56], v[53:54], off
	v_add_co_u32 v66, vcc_lo, s2, v57
	v_add_co_ci_u32_e64 v67, null, s3, v58, vcc_lo
	global_load_dwordx4 v[57:60], v[62:63], off
	v_add_nc_u32_e32 v14, -7, v13
	v_lshlrev_b64 v[64:65], 4, v[14:15]
	v_add_nc_u32_e32 v14, 6, v61
	v_add_co_u32 v64, vcc_lo, s2, v64
	v_add_co_ci_u32_e64 v65, null, s3, v65, vcc_lo
	s_waitcnt vmcnt(6)
	v_fma_f64 v[18:19], v[25:26], v[33:34], v[18:19]
	v_fma_f64 v[16:17], v[27:28], v[33:34], v[16:17]
	v_fma_f64 v[33:34], -v[27:28], v[35:36], v[18:19]
	v_fma_f64 v[35:36], v[25:26], v[35:36], v[16:17]
	global_load_dwordx4 v[16:19], v[62:63], off offset:16
	global_load_dwordx4 v[25:28], v[66:67], off
	v_lshlrev_b64 v[62:63], 4, v[14:15]
	v_add_nc_u32_e32 v14, -6, v13
	v_add_co_u32 v62, vcc_lo, s4, v62
	v_add_co_ci_u32_e64 v63, null, s5, v63, vcc_lo
	v_lshlrev_b64 v[66:67], 4, v[14:15]
	v_add_nc_u32_e32 v14, -5, v13
	s_waitcnt vmcnt(7)
	v_fma_f64 v[33:34], v[21:22], v[37:38], v[33:34]
	v_fma_f64 v[35:36], v[23:24], v[37:38], v[35:36]
	v_fma_f64 v[68:69], -v[23:24], v[39:40], v[33:34]
	v_fma_f64 v[70:71], v[21:22], v[39:40], v[35:36]
	global_load_dwordx4 v[21:24], v[64:65], off
	s_clause 0x1
	global_load_dwordx4 v[33:36], v[62:63], off
	global_load_dwordx4 v[37:40], v[62:63], off offset:16
	v_add_co_u32 v64, vcc_lo, s2, v66
	v_add_co_ci_u32_e64 v65, null, s3, v67, vcc_lo
	s_waitcnt vmcnt(9)
	v_fma_f64 v[62:63], v[29:30], v[41:42], v[68:69]
	v_fma_f64 v[41:42], v[31:32], v[41:42], v[70:71]
	v_fma_f64 v[62:63], -v[31:32], v[43:44], v[62:63]
	v_fma_f64 v[66:67], v[29:30], v[43:44], v[41:42]
	global_load_dwordx4 v[29:32], v[64:65], off
	v_lshlrev_b64 v[41:42], 4, v[14:15]
	v_add_nc_u32_e32 v14, 8, v61
	v_lshlrev_b64 v[43:44], 4, v[14:15]
	v_add_co_u32 v41, vcc_lo, s2, v41
	v_add_co_ci_u32_e64 v42, null, s3, v42, vcc_lo
	v_add_nc_u32_e32 v14, -4, v13
	v_add_co_u32 v64, vcc_lo, s4, v43
	v_add_co_ci_u32_e64 v65, null, s5, v44, vcc_lo
	global_load_dwordx4 v[41:44], v[41:42], off
	s_waitcnt vmcnt(9)
	v_fma_f64 v[62:63], v[49:50], v[45:46], v[62:63]
	v_fma_f64 v[45:46], v[51:52], v[45:46], v[66:67]
	v_fma_f64 v[62:63], -v[51:52], v[47:48], v[62:63]
	v_fma_f64 v[66:67], v[49:50], v[47:48], v[45:46]
	global_load_dwordx4 v[45:48], v[64:65], off
	v_lshlrev_b64 v[49:50], 4, v[14:15]
	v_add_nc_u32_e32 v14, -3, v13
	v_add_co_u32 v68, vcc_lo, s2, v49
	v_add_co_ci_u32_e64 v69, null, s3, v50, vcc_lo
	global_load_dwordx4 v[49:52], v[64:65], off offset:16
	s_waitcnt vmcnt(9)
	v_fma_f64 v[62:63], v[53:54], v[57:58], v[62:63]
	v_fma_f64 v[57:58], v[55:56], v[57:58], v[66:67]
	v_fma_f64 v[62:63], -v[55:56], v[59:60], v[62:63]
	v_fma_f64 v[64:65], v[53:54], v[59:60], v[57:58]
	global_load_dwordx4 v[53:56], v[68:69], off
	v_lshlrev_b64 v[57:58], 4, v[14:15]
	v_add_nc_u32_e32 v14, 10, v61
	v_lshlrev_b64 v[59:60], 4, v[14:15]
	v_add_co_u32 v57, vcc_lo, s2, v57
	v_add_co_ci_u32_e64 v58, null, s3, v58, vcc_lo
	v_add_nc_u32_e32 v14, -2, v13
	v_add_co_u32 v66, vcc_lo, s4, v59
	v_add_co_ci_u32_e64 v67, null, s5, v60, vcc_lo
	global_load_dwordx4 v[57:60], v[57:58], off
	s_waitcnt vmcnt(9)
	v_fma_f64 v[62:63], v[25:26], v[16:17], v[62:63]
	v_fma_f64 v[16:17], v[27:28], v[16:17], v[64:65]
	v_fma_f64 v[62:63], -v[27:28], v[18:19], v[62:63]
	v_fma_f64 v[64:65], v[25:26], v[18:19], v[16:17]
	global_load_dwordx4 v[16:19], v[66:67], off
	v_lshlrev_b64 v[25:26], 4, v[14:15]
	v_add_nc_u32_e32 v14, -1, v13
	v_add_co_u32 v68, vcc_lo, s2, v25
	v_add_co_ci_u32_e64 v69, null, s3, v26, vcc_lo
	global_load_dwordx4 v[25:28], v[66:67], off offset:16
	s_waitcnt vmcnt(9)
	v_fma_f64 v[62:63], v[21:22], v[33:34], v[62:63]
	v_fma_f64 v[33:34], v[23:24], v[33:34], v[64:65]
	v_fma_f64 v[62:63], -v[23:24], v[35:36], v[62:63]
	v_fma_f64 v[64:65], v[21:22], v[35:36], v[33:34]
	global_load_dwordx4 v[21:24], v[68:69], off
	v_lshlrev_b64 v[33:34], 4, v[14:15]
	v_add_nc_u32_e32 v14, 12, v61
	v_lshlrev_b64 v[35:36], 4, v[14:15]
	v_add_co_u32 v33, vcc_lo, s2, v33
	v_add_co_ci_u32_e64 v34, null, s3, v34, vcc_lo
	v_mov_b32_e32 v14, v15
	v_add_co_u32 v66, vcc_lo, s4, v35
	v_add_co_ci_u32_e64 v67, null, s5, v36, vcc_lo
	global_load_dwordx4 v[33:36], v[33:34], off
	s_waitcnt vmcnt(9)
	v_fma_f64 v[61:62], v[29:30], v[37:38], v[62:63]
	v_fma_f64 v[37:38], v[31:32], v[37:38], v[64:65]
	v_fma_f64 v[68:69], -v[31:32], v[39:40], v[61:62]
	v_fma_f64 v[70:71], v[29:30], v[39:40], v[37:38]
	global_load_dwordx4 v[29:32], v[66:67], off
	v_lshlrev_b64 v[37:38], 4, v[13:14]
	v_add_nc_u32_e32 v13, 0xe0, v13
	v_add_co_u32 v37, vcc_lo, s2, v37
	v_add_co_ci_u32_e64 v38, null, s3, v38, vcc_lo
	global_load_dwordx4 v[37:40], v[37:38], off
	global_load_dwordx4 v[61:64], v[66:67], off offset:16
	v_cmp_ge_i32_e32 vcc_lo, v11, v20
	s_waitcnt vmcnt(10)
	v_fma_f64 v[65:66], v[41:42], v[45:46], v[68:69]
	v_fma_f64 v[45:46], v[43:44], v[45:46], v[70:71]
	s_or_b32 s10, vcc_lo, s10
	v_fma_f64 v[43:44], -v[43:44], v[47:48], v[65:66]
	v_fma_f64 v[41:42], v[41:42], v[47:48], v[45:46]
	s_waitcnt vmcnt(8)
	v_fma_f64 v[43:44], v[53:54], v[49:50], v[43:44]
	v_fma_f64 v[41:42], v[55:56], v[49:50], v[41:42]
	v_fma_f64 v[43:44], -v[55:56], v[51:52], v[43:44]
	v_fma_f64 v[41:42], v[53:54], v[51:52], v[41:42]
	s_waitcnt vmcnt(6)
	v_fma_f64 v[43:44], v[57:58], v[16:17], v[43:44]
	v_fma_f64 v[16:17], v[59:60], v[16:17], v[41:42]
	;; [unrolled: 5-line block ×5, first 2 shown]
	v_fma_f64 v[18:19], -v[39:40], v[63:64], v[18:19]
	v_fma_f64 v[16:17], v[37:38], v[63:64], v[16:17]
	s_andn2_b32 exec_lo, exec_lo, s10
	s_cbranch_execnz .LBB290_6
; %bb.7:
	s_or_b32 exec_lo, exec_lo, s10
.LBB290_8:
	s_or_b32 exec_lo, exec_lo, s9
	v_mbcnt_lo_u32_b32 v20, -1, 0
	v_xor_b32_e32 v11, 8, v20
	v_xor_b32_e32 v15, 4, v20
	v_cmp_gt_i32_e32 vcc_lo, 32, v11
	v_cndmask_b32_e32 v11, v20, v11, vcc_lo
	v_cmp_gt_i32_e32 vcc_lo, 32, v15
	v_lshlrev_b32_e32 v14, 2, v11
	v_cndmask_b32_e32 v15, v20, v15, vcc_lo
	ds_bpermute_b32 v11, v14, v18
	ds_bpermute_b32 v12, v14, v19
	;; [unrolled: 1-line block ×4, first 2 shown]
	s_waitcnt lgkmcnt(2)
	v_add_f64 v[11:12], v[18:19], v[11:12]
	v_lshlrev_b32_e32 v18, 2, v15
	s_waitcnt lgkmcnt(0)
	v_add_f64 v[13:14], v[16:17], v[13:14]
	ds_bpermute_b32 v15, v18, v11
	ds_bpermute_b32 v16, v18, v12
	;; [unrolled: 1-line block ×4, first 2 shown]
	s_waitcnt lgkmcnt(2)
	v_add_f64 v[11:12], v[11:12], v[15:16]
	v_xor_b32_e32 v15, 2, v20
	s_waitcnt lgkmcnt(0)
	v_add_f64 v[13:14], v[13:14], v[17:18]
	v_cmp_gt_i32_e32 vcc_lo, 32, v15
	v_cndmask_b32_e32 v15, v20, v15, vcc_lo
	v_lshlrev_b32_e32 v18, 2, v15
	ds_bpermute_b32 v15, v18, v11
	ds_bpermute_b32 v16, v18, v12
	;; [unrolled: 1-line block ×4, first 2 shown]
	s_waitcnt lgkmcnt(2)
	v_add_f64 v[11:12], v[11:12], v[15:16]
	v_xor_b32_e32 v15, 1, v20
	s_waitcnt lgkmcnt(0)
	v_add_f64 v[13:14], v[13:14], v[17:18]
	v_cmp_gt_i32_e32 vcc_lo, 32, v15
	v_cndmask_b32_e32 v15, v20, v15, vcc_lo
	v_cmp_eq_u32_e32 vcc_lo, 15, v0
	v_lshlrev_b32_e32 v18, 2, v15
	ds_bpermute_b32 v15, v18, v11
	ds_bpermute_b32 v16, v18, v12
	;; [unrolled: 1-line block ×4, first 2 shown]
	s_and_b32 exec_lo, exec_lo, vcc_lo
	s_cbranch_execz .LBB290_13
; %bb.9:
	s_waitcnt lgkmcnt(0)
	v_add_f64 v[13:14], v[13:14], v[17:18]
	v_add_f64 v[11:12], v[11:12], v[15:16]
	v_cmp_eq_f64_e32 vcc_lo, 0, v[1:2]
	v_cmp_eq_f64_e64 s0, 0, v[3:4]
	v_lshlrev_b64 v[9:10], 4, v[9:10]
	v_mul_f64 v[15:16], v[13:14], -v[7:8]
	v_mul_f64 v[13:14], v[5:6], v[13:14]
	s_and_b32 s0, vcc_lo, s0
	v_fma_f64 v[5:6], v[5:6], v[11:12], v[15:16]
	v_fma_f64 v[7:8], v[7:8], v[11:12], v[13:14]
	s_and_saveexec_b32 s1, s0
	s_xor_b32 s0, exec_lo, s1
	s_cbranch_execz .LBB290_11
; %bb.10:
	v_add_co_u32 v0, vcc_lo, s6, v9
	v_add_co_ci_u32_e64 v1, null, s7, v10, vcc_lo
                                        ; implicit-def: $vgpr9_vgpr10
	global_store_dwordx4 v[0:1], v[5:8], off
                                        ; implicit-def: $vgpr1_vgpr2
                                        ; implicit-def: $vgpr5_vgpr6
.LBB290_11:
	s_andn2_saveexec_b32 s0, s0
	s_cbranch_execz .LBB290_13
; %bb.12:
	v_add_co_u32 v13, vcc_lo, s6, v9
	v_add_co_ci_u32_e64 v14, null, s7, v10, vcc_lo
	global_load_dwordx4 v[9:12], v[13:14], off
	s_waitcnt vmcnt(0)
	v_fma_f64 v[5:6], v[1:2], v[9:10], v[5:6]
	v_fma_f64 v[7:8], v[3:4], v[9:10], v[7:8]
	v_fma_f64 v[3:4], -v[3:4], v[11:12], v[5:6]
	v_fma_f64 v[5:6], v[1:2], v[11:12], v[7:8]
	global_store_dwordx4 v[13:14], v[3:6], off
.LBB290_13:
	s_endpgm
	.section	.rodata,"a",@progbits
	.p2align	6, 0x0
	.amdhsa_kernel _ZN9rocsparseL19gebsrmvn_1xn_kernelILj128ELj14ELj16E21rocsparse_complex_numIdEEEvi20rocsparse_direction_NS_24const_host_device_scalarIT2_EEPKiS8_PKS5_SA_S6_PS5_21rocsparse_index_base_b
		.amdhsa_group_segment_fixed_size 0
		.amdhsa_private_segment_fixed_size 0
		.amdhsa_kernarg_size 88
		.amdhsa_user_sgpr_count 6
		.amdhsa_user_sgpr_private_segment_buffer 1
		.amdhsa_user_sgpr_dispatch_ptr 0
		.amdhsa_user_sgpr_queue_ptr 0
		.amdhsa_user_sgpr_kernarg_segment_ptr 1
		.amdhsa_user_sgpr_dispatch_id 0
		.amdhsa_user_sgpr_flat_scratch_init 0
		.amdhsa_user_sgpr_private_segment_size 0
		.amdhsa_wavefront_size32 1
		.amdhsa_uses_dynamic_stack 0
		.amdhsa_system_sgpr_private_segment_wavefront_offset 0
		.amdhsa_system_sgpr_workgroup_id_x 1
		.amdhsa_system_sgpr_workgroup_id_y 0
		.amdhsa_system_sgpr_workgroup_id_z 0
		.amdhsa_system_sgpr_workgroup_info 0
		.amdhsa_system_vgpr_workitem_id 0
		.amdhsa_next_free_vgpr 72
		.amdhsa_next_free_sgpr 13
		.amdhsa_reserve_vcc 1
		.amdhsa_reserve_flat_scratch 0
		.amdhsa_float_round_mode_32 0
		.amdhsa_float_round_mode_16_64 0
		.amdhsa_float_denorm_mode_32 3
		.amdhsa_float_denorm_mode_16_64 3
		.amdhsa_dx10_clamp 1
		.amdhsa_ieee_mode 1
		.amdhsa_fp16_overflow 0
		.amdhsa_workgroup_processor_mode 1
		.amdhsa_memory_ordered 1
		.amdhsa_forward_progress 1
		.amdhsa_shared_vgpr_count 0
		.amdhsa_exception_fp_ieee_invalid_op 0
		.amdhsa_exception_fp_denorm_src 0
		.amdhsa_exception_fp_ieee_div_zero 0
		.amdhsa_exception_fp_ieee_overflow 0
		.amdhsa_exception_fp_ieee_underflow 0
		.amdhsa_exception_fp_ieee_inexact 0
		.amdhsa_exception_int_div_zero 0
	.end_amdhsa_kernel
	.section	.text._ZN9rocsparseL19gebsrmvn_1xn_kernelILj128ELj14ELj16E21rocsparse_complex_numIdEEEvi20rocsparse_direction_NS_24const_host_device_scalarIT2_EEPKiS8_PKS5_SA_S6_PS5_21rocsparse_index_base_b,"axG",@progbits,_ZN9rocsparseL19gebsrmvn_1xn_kernelILj128ELj14ELj16E21rocsparse_complex_numIdEEEvi20rocsparse_direction_NS_24const_host_device_scalarIT2_EEPKiS8_PKS5_SA_S6_PS5_21rocsparse_index_base_b,comdat
.Lfunc_end290:
	.size	_ZN9rocsparseL19gebsrmvn_1xn_kernelILj128ELj14ELj16E21rocsparse_complex_numIdEEEvi20rocsparse_direction_NS_24const_host_device_scalarIT2_EEPKiS8_PKS5_SA_S6_PS5_21rocsparse_index_base_b, .Lfunc_end290-_ZN9rocsparseL19gebsrmvn_1xn_kernelILj128ELj14ELj16E21rocsparse_complex_numIdEEEvi20rocsparse_direction_NS_24const_host_device_scalarIT2_EEPKiS8_PKS5_SA_S6_PS5_21rocsparse_index_base_b
                                        ; -- End function
	.set _ZN9rocsparseL19gebsrmvn_1xn_kernelILj128ELj14ELj16E21rocsparse_complex_numIdEEEvi20rocsparse_direction_NS_24const_host_device_scalarIT2_EEPKiS8_PKS5_SA_S6_PS5_21rocsparse_index_base_b.num_vgpr, 72
	.set _ZN9rocsparseL19gebsrmvn_1xn_kernelILj128ELj14ELj16E21rocsparse_complex_numIdEEEvi20rocsparse_direction_NS_24const_host_device_scalarIT2_EEPKiS8_PKS5_SA_S6_PS5_21rocsparse_index_base_b.num_agpr, 0
	.set _ZN9rocsparseL19gebsrmvn_1xn_kernelILj128ELj14ELj16E21rocsparse_complex_numIdEEEvi20rocsparse_direction_NS_24const_host_device_scalarIT2_EEPKiS8_PKS5_SA_S6_PS5_21rocsparse_index_base_b.numbered_sgpr, 13
	.set _ZN9rocsparseL19gebsrmvn_1xn_kernelILj128ELj14ELj16E21rocsparse_complex_numIdEEEvi20rocsparse_direction_NS_24const_host_device_scalarIT2_EEPKiS8_PKS5_SA_S6_PS5_21rocsparse_index_base_b.num_named_barrier, 0
	.set _ZN9rocsparseL19gebsrmvn_1xn_kernelILj128ELj14ELj16E21rocsparse_complex_numIdEEEvi20rocsparse_direction_NS_24const_host_device_scalarIT2_EEPKiS8_PKS5_SA_S6_PS5_21rocsparse_index_base_b.private_seg_size, 0
	.set _ZN9rocsparseL19gebsrmvn_1xn_kernelILj128ELj14ELj16E21rocsparse_complex_numIdEEEvi20rocsparse_direction_NS_24const_host_device_scalarIT2_EEPKiS8_PKS5_SA_S6_PS5_21rocsparse_index_base_b.uses_vcc, 1
	.set _ZN9rocsparseL19gebsrmvn_1xn_kernelILj128ELj14ELj16E21rocsparse_complex_numIdEEEvi20rocsparse_direction_NS_24const_host_device_scalarIT2_EEPKiS8_PKS5_SA_S6_PS5_21rocsparse_index_base_b.uses_flat_scratch, 0
	.set _ZN9rocsparseL19gebsrmvn_1xn_kernelILj128ELj14ELj16E21rocsparse_complex_numIdEEEvi20rocsparse_direction_NS_24const_host_device_scalarIT2_EEPKiS8_PKS5_SA_S6_PS5_21rocsparse_index_base_b.has_dyn_sized_stack, 0
	.set _ZN9rocsparseL19gebsrmvn_1xn_kernelILj128ELj14ELj16E21rocsparse_complex_numIdEEEvi20rocsparse_direction_NS_24const_host_device_scalarIT2_EEPKiS8_PKS5_SA_S6_PS5_21rocsparse_index_base_b.has_recursion, 0
	.set _ZN9rocsparseL19gebsrmvn_1xn_kernelILj128ELj14ELj16E21rocsparse_complex_numIdEEEvi20rocsparse_direction_NS_24const_host_device_scalarIT2_EEPKiS8_PKS5_SA_S6_PS5_21rocsparse_index_base_b.has_indirect_call, 0
	.section	.AMDGPU.csdata,"",@progbits
; Kernel info:
; codeLenInByte = 2236
; TotalNumSgprs: 15
; NumVgprs: 72
; ScratchSize: 0
; MemoryBound: 1
; FloatMode: 240
; IeeeMode: 1
; LDSByteSize: 0 bytes/workgroup (compile time only)
; SGPRBlocks: 0
; VGPRBlocks: 8
; NumSGPRsForWavesPerEU: 15
; NumVGPRsForWavesPerEU: 72
; Occupancy: 12
; WaveLimiterHint : 1
; COMPUTE_PGM_RSRC2:SCRATCH_EN: 0
; COMPUTE_PGM_RSRC2:USER_SGPR: 6
; COMPUTE_PGM_RSRC2:TRAP_HANDLER: 0
; COMPUTE_PGM_RSRC2:TGID_X_EN: 1
; COMPUTE_PGM_RSRC2:TGID_Y_EN: 0
; COMPUTE_PGM_RSRC2:TGID_Z_EN: 0
; COMPUTE_PGM_RSRC2:TIDIG_COMP_CNT: 0
	.section	.text._ZN9rocsparseL19gebsrmvn_1xn_kernelILj128ELj14ELj32E21rocsparse_complex_numIdEEEvi20rocsparse_direction_NS_24const_host_device_scalarIT2_EEPKiS8_PKS5_SA_S6_PS5_21rocsparse_index_base_b,"axG",@progbits,_ZN9rocsparseL19gebsrmvn_1xn_kernelILj128ELj14ELj32E21rocsparse_complex_numIdEEEvi20rocsparse_direction_NS_24const_host_device_scalarIT2_EEPKiS8_PKS5_SA_S6_PS5_21rocsparse_index_base_b,comdat
	.globl	_ZN9rocsparseL19gebsrmvn_1xn_kernelILj128ELj14ELj32E21rocsparse_complex_numIdEEEvi20rocsparse_direction_NS_24const_host_device_scalarIT2_EEPKiS8_PKS5_SA_S6_PS5_21rocsparse_index_base_b ; -- Begin function _ZN9rocsparseL19gebsrmvn_1xn_kernelILj128ELj14ELj32E21rocsparse_complex_numIdEEEvi20rocsparse_direction_NS_24const_host_device_scalarIT2_EEPKiS8_PKS5_SA_S6_PS5_21rocsparse_index_base_b
	.p2align	8
	.type	_ZN9rocsparseL19gebsrmvn_1xn_kernelILj128ELj14ELj32E21rocsparse_complex_numIdEEEvi20rocsparse_direction_NS_24const_host_device_scalarIT2_EEPKiS8_PKS5_SA_S6_PS5_21rocsparse_index_base_b,@function
_ZN9rocsparseL19gebsrmvn_1xn_kernelILj128ELj14ELj32E21rocsparse_complex_numIdEEEvi20rocsparse_direction_NS_24const_host_device_scalarIT2_EEPKiS8_PKS5_SA_S6_PS5_21rocsparse_index_base_b: ; @_ZN9rocsparseL19gebsrmvn_1xn_kernelILj128ELj14ELj32E21rocsparse_complex_numIdEEEvi20rocsparse_direction_NS_24const_host_device_scalarIT2_EEPKiS8_PKS5_SA_S6_PS5_21rocsparse_index_base_b
; %bb.0:
	s_clause 0x1
	s_load_dwordx2 s[8:9], s[4:5], 0x50
	s_load_dwordx2 s[0:1], s[4:5], 0x8
	s_add_u32 s7, s4, 8
	s_addc_u32 s10, s5, 0
	s_add_u32 s11, s4, 56
	s_addc_u32 s12, s5, 0
	s_load_dwordx2 s[2:3], s[4:5], 0x38
	s_waitcnt lgkmcnt(0)
	s_bitcmp1_b32 s9, 0
	s_cselect_b32 s0, s7, s0
	s_cselect_b32 s1, s10, s1
	v_mov_b32_e32 v1, s0
	v_mov_b32_e32 v2, s1
	s_cselect_b32 s0, s11, s2
	s_cselect_b32 s1, s12, s3
	flat_load_dwordx4 v[5:8], v[1:2]
	v_mov_b32_e32 v1, s0
	v_mov_b32_e32 v2, s1
	flat_load_dwordx4 v[1:4], v[1:2]
	s_waitcnt vmcnt(1) lgkmcnt(1)
	v_cmp_eq_f64_e32 vcc_lo, 0, v[5:6]
	v_cmp_eq_f64_e64 s0, 0, v[7:8]
	s_and_b32 s2, vcc_lo, s0
	s_mov_b32 s0, -1
	s_and_saveexec_b32 s1, s2
	s_cbranch_execz .LBB291_2
; %bb.1:
	s_waitcnt vmcnt(0) lgkmcnt(0)
	v_cmp_neq_f64_e32 vcc_lo, 1.0, v[1:2]
	v_cmp_neq_f64_e64 s0, 0, v[3:4]
	s_or_b32 s0, vcc_lo, s0
	s_orn2_b32 s0, s0, exec_lo
.LBB291_2:
	s_or_b32 exec_lo, exec_lo, s1
	s_and_saveexec_b32 s1, s0
	s_cbranch_execz .LBB291_13
; %bb.3:
	s_load_dword s0, s[4:5], 0x0
	v_lshrrev_b32_e32 v9, 5, v0
	v_lshl_or_b32 v9, s6, 2, v9
	s_waitcnt lgkmcnt(0)
	v_cmp_gt_i32_e32 vcc_lo, s0, v9
	s_and_b32 exec_lo, exec_lo, vcc_lo
	s_cbranch_execz .LBB291_13
; %bb.4:
	s_clause 0x1
	s_load_dwordx2 s[0:1], s[4:5], 0x18
	s_load_dwordx2 s[6:7], s[4:5], 0x48
	v_ashrrev_i32_e32 v10, 31, v9
	v_and_b32_e32 v0, 31, v0
	v_mov_b32_e32 v16, 0
	v_mov_b32_e32 v18, 0
	;; [unrolled: 1-line block ×3, first 2 shown]
	v_lshlrev_b64 v[11:12], 2, v[9:10]
	v_subrev_nc_u32_e32 v13, s8, v0
	v_mov_b32_e32 v19, 0
	s_mov_b32 s9, exec_lo
	s_waitcnt lgkmcnt(0)
	v_add_co_u32 v11, vcc_lo, s0, v11
	v_add_co_ci_u32_e64 v12, null, s1, v12, vcc_lo
	global_load_dwordx2 v[11:12], v[11:12], off
	s_waitcnt vmcnt(0)
	v_subrev_nc_u32_e32 v20, s8, v12
	v_add_nc_u32_e32 v11, v11, v13
	v_cmpx_lt_i32_e64 v11, v20
	s_cbranch_execz .LBB291_8
; %bb.5:
	s_clause 0x1
	s_load_dwordx4 s[0:3], s[4:5], 0x20
	s_load_dwordx2 s[4:5], s[4:5], 0x30
	v_mad_u64_u32 v[13:14], null, v11, 14, 13
	v_mov_b32_e32 v16, 0
	v_mov_b32_e32 v18, 0
	;; [unrolled: 1-line block ×5, first 2 shown]
	s_mov_b32 s10, 0
.LBB291_6:                              ; =>This Inner Loop Header: Depth=1
	v_ashrrev_i32_e32 v12, 31, v11
	v_add_nc_u32_e32 v14, -13, v13
	v_mov_b32_e32 v62, v15
	v_lshlrev_b64 v[21:22], 2, v[11:12]
	v_add_nc_u32_e32 v11, 32, v11
	s_waitcnt lgkmcnt(0)
	v_add_co_u32 v21, vcc_lo, s0, v21
	v_add_co_ci_u32_e64 v22, null, s1, v22, vcc_lo
	global_load_dword v12, v[21:22], off
	v_lshlrev_b64 v[21:22], 4, v[14:15]
	v_add_nc_u32_e32 v14, -11, v13
	v_lshlrev_b64 v[23:24], 4, v[14:15]
	v_add_co_u32 v25, vcc_lo, s2, v21
	v_add_co_ci_u32_e64 v26, null, s3, v22, vcc_lo
	v_add_co_u32 v29, vcc_lo, s2, v23
	v_add_co_ci_u32_e64 v30, null, s3, v24, vcc_lo
	s_clause 0x2
	global_load_dwordx4 v[21:24], v[25:26], off offset:16
	global_load_dwordx4 v[25:28], v[25:26], off
	global_load_dwordx4 v[29:32], v[29:30], off
	s_waitcnt vmcnt(3)
	v_subrev_nc_u32_e32 v12, s8, v12
	v_mul_lo_u32 v61, v12, 14
	v_lshlrev_b64 v[33:34], 4, v[61:62]
	v_add_nc_u32_e32 v14, 2, v61
	v_lshlrev_b64 v[41:42], 4, v[14:15]
	v_add_co_u32 v37, vcc_lo, s4, v33
	v_add_co_ci_u32_e64 v38, null, s5, v34, vcc_lo
	v_add_nc_u32_e32 v14, -10, v13
	v_add_co_u32 v47, vcc_lo, s4, v41
	s_clause 0x1
	global_load_dwordx4 v[33:36], v[37:38], off
	global_load_dwordx4 v[37:40], v[37:38], off offset:16
	v_add_co_ci_u32_e64 v48, null, s5, v42, vcc_lo
	v_lshlrev_b64 v[45:46], 4, v[14:15]
	v_add_nc_u32_e32 v14, -9, v13
	global_load_dwordx4 v[41:44], v[47:48], off
	v_add_co_u32 v49, vcc_lo, s2, v45
	v_add_co_ci_u32_e64 v50, null, s3, v46, vcc_lo
	global_load_dwordx4 v[45:48], v[47:48], off offset:16
	v_lshlrev_b64 v[53:54], 4, v[14:15]
	v_add_nc_u32_e32 v14, 4, v61
	global_load_dwordx4 v[49:52], v[49:50], off
	v_lshlrev_b64 v[55:56], 4, v[14:15]
	v_add_nc_u32_e32 v14, -8, v13
	v_add_co_u32 v53, vcc_lo, s2, v53
	v_add_co_ci_u32_e64 v54, null, s3, v54, vcc_lo
	v_lshlrev_b64 v[57:58], 4, v[14:15]
	v_add_co_u32 v62, vcc_lo, s4, v55
	v_add_co_ci_u32_e64 v63, null, s5, v56, vcc_lo
	global_load_dwordx4 v[53:56], v[53:54], off
	v_add_co_u32 v66, vcc_lo, s2, v57
	v_add_co_ci_u32_e64 v67, null, s3, v58, vcc_lo
	global_load_dwordx4 v[57:60], v[62:63], off
	v_add_nc_u32_e32 v14, -7, v13
	v_lshlrev_b64 v[64:65], 4, v[14:15]
	v_add_nc_u32_e32 v14, 6, v61
	v_add_co_u32 v64, vcc_lo, s2, v64
	v_add_co_ci_u32_e64 v65, null, s3, v65, vcc_lo
	s_waitcnt vmcnt(6)
	v_fma_f64 v[18:19], v[25:26], v[33:34], v[18:19]
	v_fma_f64 v[16:17], v[27:28], v[33:34], v[16:17]
	v_fma_f64 v[33:34], -v[27:28], v[35:36], v[18:19]
	v_fma_f64 v[35:36], v[25:26], v[35:36], v[16:17]
	global_load_dwordx4 v[16:19], v[62:63], off offset:16
	global_load_dwordx4 v[25:28], v[66:67], off
	v_lshlrev_b64 v[62:63], 4, v[14:15]
	v_add_nc_u32_e32 v14, -6, v13
	v_add_co_u32 v62, vcc_lo, s4, v62
	v_add_co_ci_u32_e64 v63, null, s5, v63, vcc_lo
	v_lshlrev_b64 v[66:67], 4, v[14:15]
	v_add_nc_u32_e32 v14, -5, v13
	s_waitcnt vmcnt(7)
	v_fma_f64 v[33:34], v[21:22], v[37:38], v[33:34]
	v_fma_f64 v[35:36], v[23:24], v[37:38], v[35:36]
	v_fma_f64 v[68:69], -v[23:24], v[39:40], v[33:34]
	v_fma_f64 v[70:71], v[21:22], v[39:40], v[35:36]
	global_load_dwordx4 v[21:24], v[64:65], off
	s_clause 0x1
	global_load_dwordx4 v[33:36], v[62:63], off
	global_load_dwordx4 v[37:40], v[62:63], off offset:16
	v_add_co_u32 v64, vcc_lo, s2, v66
	v_add_co_ci_u32_e64 v65, null, s3, v67, vcc_lo
	s_waitcnt vmcnt(9)
	v_fma_f64 v[62:63], v[29:30], v[41:42], v[68:69]
	v_fma_f64 v[41:42], v[31:32], v[41:42], v[70:71]
	v_fma_f64 v[62:63], -v[31:32], v[43:44], v[62:63]
	v_fma_f64 v[66:67], v[29:30], v[43:44], v[41:42]
	global_load_dwordx4 v[29:32], v[64:65], off
	v_lshlrev_b64 v[41:42], 4, v[14:15]
	v_add_nc_u32_e32 v14, 8, v61
	v_lshlrev_b64 v[43:44], 4, v[14:15]
	v_add_co_u32 v41, vcc_lo, s2, v41
	v_add_co_ci_u32_e64 v42, null, s3, v42, vcc_lo
	v_add_nc_u32_e32 v14, -4, v13
	v_add_co_u32 v64, vcc_lo, s4, v43
	v_add_co_ci_u32_e64 v65, null, s5, v44, vcc_lo
	global_load_dwordx4 v[41:44], v[41:42], off
	s_waitcnt vmcnt(9)
	v_fma_f64 v[62:63], v[49:50], v[45:46], v[62:63]
	v_fma_f64 v[45:46], v[51:52], v[45:46], v[66:67]
	v_fma_f64 v[62:63], -v[51:52], v[47:48], v[62:63]
	v_fma_f64 v[66:67], v[49:50], v[47:48], v[45:46]
	global_load_dwordx4 v[45:48], v[64:65], off
	v_lshlrev_b64 v[49:50], 4, v[14:15]
	v_add_nc_u32_e32 v14, -3, v13
	v_add_co_u32 v68, vcc_lo, s2, v49
	v_add_co_ci_u32_e64 v69, null, s3, v50, vcc_lo
	global_load_dwordx4 v[49:52], v[64:65], off offset:16
	s_waitcnt vmcnt(9)
	v_fma_f64 v[62:63], v[53:54], v[57:58], v[62:63]
	v_fma_f64 v[57:58], v[55:56], v[57:58], v[66:67]
	v_fma_f64 v[62:63], -v[55:56], v[59:60], v[62:63]
	v_fma_f64 v[64:65], v[53:54], v[59:60], v[57:58]
	global_load_dwordx4 v[53:56], v[68:69], off
	v_lshlrev_b64 v[57:58], 4, v[14:15]
	v_add_nc_u32_e32 v14, 10, v61
	v_lshlrev_b64 v[59:60], 4, v[14:15]
	v_add_co_u32 v57, vcc_lo, s2, v57
	v_add_co_ci_u32_e64 v58, null, s3, v58, vcc_lo
	v_add_nc_u32_e32 v14, -2, v13
	v_add_co_u32 v66, vcc_lo, s4, v59
	v_add_co_ci_u32_e64 v67, null, s5, v60, vcc_lo
	global_load_dwordx4 v[57:60], v[57:58], off
	s_waitcnt vmcnt(9)
	v_fma_f64 v[62:63], v[25:26], v[16:17], v[62:63]
	v_fma_f64 v[16:17], v[27:28], v[16:17], v[64:65]
	v_fma_f64 v[62:63], -v[27:28], v[18:19], v[62:63]
	v_fma_f64 v[64:65], v[25:26], v[18:19], v[16:17]
	global_load_dwordx4 v[16:19], v[66:67], off
	v_lshlrev_b64 v[25:26], 4, v[14:15]
	v_add_nc_u32_e32 v14, -1, v13
	v_add_co_u32 v68, vcc_lo, s2, v25
	v_add_co_ci_u32_e64 v69, null, s3, v26, vcc_lo
	global_load_dwordx4 v[25:28], v[66:67], off offset:16
	s_waitcnt vmcnt(9)
	v_fma_f64 v[62:63], v[21:22], v[33:34], v[62:63]
	v_fma_f64 v[33:34], v[23:24], v[33:34], v[64:65]
	v_fma_f64 v[62:63], -v[23:24], v[35:36], v[62:63]
	v_fma_f64 v[64:65], v[21:22], v[35:36], v[33:34]
	global_load_dwordx4 v[21:24], v[68:69], off
	v_lshlrev_b64 v[33:34], 4, v[14:15]
	v_add_nc_u32_e32 v14, 12, v61
	v_lshlrev_b64 v[35:36], 4, v[14:15]
	v_add_co_u32 v33, vcc_lo, s2, v33
	v_add_co_ci_u32_e64 v34, null, s3, v34, vcc_lo
	v_mov_b32_e32 v14, v15
	v_add_co_u32 v66, vcc_lo, s4, v35
	v_add_co_ci_u32_e64 v67, null, s5, v36, vcc_lo
	global_load_dwordx4 v[33:36], v[33:34], off
	s_waitcnt vmcnt(9)
	v_fma_f64 v[61:62], v[29:30], v[37:38], v[62:63]
	v_fma_f64 v[37:38], v[31:32], v[37:38], v[64:65]
	v_fma_f64 v[68:69], -v[31:32], v[39:40], v[61:62]
	v_fma_f64 v[70:71], v[29:30], v[39:40], v[37:38]
	global_load_dwordx4 v[29:32], v[66:67], off
	v_lshlrev_b64 v[37:38], 4, v[13:14]
	v_add_nc_u32_e32 v13, 0x1c0, v13
	v_add_co_u32 v37, vcc_lo, s2, v37
	v_add_co_ci_u32_e64 v38, null, s3, v38, vcc_lo
	global_load_dwordx4 v[37:40], v[37:38], off
	global_load_dwordx4 v[61:64], v[66:67], off offset:16
	v_cmp_ge_i32_e32 vcc_lo, v11, v20
	s_waitcnt vmcnt(10)
	v_fma_f64 v[65:66], v[41:42], v[45:46], v[68:69]
	v_fma_f64 v[45:46], v[43:44], v[45:46], v[70:71]
	s_or_b32 s10, vcc_lo, s10
	v_fma_f64 v[43:44], -v[43:44], v[47:48], v[65:66]
	v_fma_f64 v[41:42], v[41:42], v[47:48], v[45:46]
	s_waitcnt vmcnt(8)
	v_fma_f64 v[43:44], v[53:54], v[49:50], v[43:44]
	v_fma_f64 v[41:42], v[55:56], v[49:50], v[41:42]
	v_fma_f64 v[43:44], -v[55:56], v[51:52], v[43:44]
	v_fma_f64 v[41:42], v[53:54], v[51:52], v[41:42]
	s_waitcnt vmcnt(6)
	v_fma_f64 v[43:44], v[57:58], v[16:17], v[43:44]
	v_fma_f64 v[16:17], v[59:60], v[16:17], v[41:42]
	;; [unrolled: 5-line block ×5, first 2 shown]
	v_fma_f64 v[18:19], -v[39:40], v[63:64], v[18:19]
	v_fma_f64 v[16:17], v[37:38], v[63:64], v[16:17]
	s_andn2_b32 exec_lo, exec_lo, s10
	s_cbranch_execnz .LBB291_6
; %bb.7:
	s_or_b32 exec_lo, exec_lo, s10
.LBB291_8:
	s_or_b32 exec_lo, exec_lo, s9
	v_mbcnt_lo_u32_b32 v20, -1, 0
	v_xor_b32_e32 v11, 16, v20
	v_xor_b32_e32 v15, 8, v20
	v_cmp_gt_i32_e32 vcc_lo, 32, v11
	v_cndmask_b32_e32 v11, v20, v11, vcc_lo
	v_cmp_gt_i32_e32 vcc_lo, 32, v15
	v_lshlrev_b32_e32 v14, 2, v11
	v_cndmask_b32_e32 v15, v20, v15, vcc_lo
	ds_bpermute_b32 v11, v14, v18
	ds_bpermute_b32 v12, v14, v19
	;; [unrolled: 1-line block ×4, first 2 shown]
	s_waitcnt lgkmcnt(2)
	v_add_f64 v[11:12], v[18:19], v[11:12]
	v_lshlrev_b32_e32 v18, 2, v15
	s_waitcnt lgkmcnt(0)
	v_add_f64 v[13:14], v[16:17], v[13:14]
	ds_bpermute_b32 v15, v18, v11
	ds_bpermute_b32 v16, v18, v12
	;; [unrolled: 1-line block ×4, first 2 shown]
	s_waitcnt lgkmcnt(2)
	v_add_f64 v[11:12], v[11:12], v[15:16]
	v_xor_b32_e32 v15, 4, v20
	s_waitcnt lgkmcnt(0)
	v_add_f64 v[13:14], v[13:14], v[17:18]
	v_cmp_gt_i32_e32 vcc_lo, 32, v15
	v_cndmask_b32_e32 v15, v20, v15, vcc_lo
	v_lshlrev_b32_e32 v18, 2, v15
	ds_bpermute_b32 v15, v18, v11
	ds_bpermute_b32 v16, v18, v12
	ds_bpermute_b32 v17, v18, v13
	ds_bpermute_b32 v18, v18, v14
	s_waitcnt lgkmcnt(2)
	v_add_f64 v[11:12], v[11:12], v[15:16]
	v_xor_b32_e32 v15, 2, v20
	s_waitcnt lgkmcnt(0)
	v_add_f64 v[13:14], v[13:14], v[17:18]
	v_cmp_gt_i32_e32 vcc_lo, 32, v15
	v_cndmask_b32_e32 v15, v20, v15, vcc_lo
	v_lshlrev_b32_e32 v18, 2, v15
	ds_bpermute_b32 v15, v18, v11
	ds_bpermute_b32 v16, v18, v12
	ds_bpermute_b32 v17, v18, v13
	ds_bpermute_b32 v18, v18, v14
	s_waitcnt lgkmcnt(2)
	v_add_f64 v[11:12], v[11:12], v[15:16]
	v_xor_b32_e32 v15, 1, v20
	s_waitcnt lgkmcnt(0)
	v_add_f64 v[13:14], v[13:14], v[17:18]
	v_cmp_gt_i32_e32 vcc_lo, 32, v15
	v_cndmask_b32_e32 v15, v20, v15, vcc_lo
	v_cmp_eq_u32_e32 vcc_lo, 31, v0
	v_lshlrev_b32_e32 v18, 2, v15
	ds_bpermute_b32 v15, v18, v11
	ds_bpermute_b32 v16, v18, v12
	;; [unrolled: 1-line block ×4, first 2 shown]
	s_and_b32 exec_lo, exec_lo, vcc_lo
	s_cbranch_execz .LBB291_13
; %bb.9:
	s_waitcnt lgkmcnt(0)
	v_add_f64 v[13:14], v[13:14], v[17:18]
	v_add_f64 v[11:12], v[11:12], v[15:16]
	v_cmp_eq_f64_e32 vcc_lo, 0, v[1:2]
	v_cmp_eq_f64_e64 s0, 0, v[3:4]
	v_lshlrev_b64 v[9:10], 4, v[9:10]
	v_mul_f64 v[15:16], v[13:14], -v[7:8]
	v_mul_f64 v[13:14], v[5:6], v[13:14]
	s_and_b32 s0, vcc_lo, s0
	v_fma_f64 v[5:6], v[5:6], v[11:12], v[15:16]
	v_fma_f64 v[7:8], v[7:8], v[11:12], v[13:14]
	s_and_saveexec_b32 s1, s0
	s_xor_b32 s0, exec_lo, s1
	s_cbranch_execz .LBB291_11
; %bb.10:
	v_add_co_u32 v0, vcc_lo, s6, v9
	v_add_co_ci_u32_e64 v1, null, s7, v10, vcc_lo
                                        ; implicit-def: $vgpr9_vgpr10
	global_store_dwordx4 v[0:1], v[5:8], off
                                        ; implicit-def: $vgpr1_vgpr2
                                        ; implicit-def: $vgpr5_vgpr6
.LBB291_11:
	s_andn2_saveexec_b32 s0, s0
	s_cbranch_execz .LBB291_13
; %bb.12:
	v_add_co_u32 v13, vcc_lo, s6, v9
	v_add_co_ci_u32_e64 v14, null, s7, v10, vcc_lo
	global_load_dwordx4 v[9:12], v[13:14], off
	s_waitcnt vmcnt(0)
	v_fma_f64 v[5:6], v[1:2], v[9:10], v[5:6]
	v_fma_f64 v[7:8], v[3:4], v[9:10], v[7:8]
	v_fma_f64 v[3:4], -v[3:4], v[11:12], v[5:6]
	v_fma_f64 v[5:6], v[1:2], v[11:12], v[7:8]
	global_store_dwordx4 v[13:14], v[3:6], off
.LBB291_13:
	s_endpgm
	.section	.rodata,"a",@progbits
	.p2align	6, 0x0
	.amdhsa_kernel _ZN9rocsparseL19gebsrmvn_1xn_kernelILj128ELj14ELj32E21rocsparse_complex_numIdEEEvi20rocsparse_direction_NS_24const_host_device_scalarIT2_EEPKiS8_PKS5_SA_S6_PS5_21rocsparse_index_base_b
		.amdhsa_group_segment_fixed_size 0
		.amdhsa_private_segment_fixed_size 0
		.amdhsa_kernarg_size 88
		.amdhsa_user_sgpr_count 6
		.amdhsa_user_sgpr_private_segment_buffer 1
		.amdhsa_user_sgpr_dispatch_ptr 0
		.amdhsa_user_sgpr_queue_ptr 0
		.amdhsa_user_sgpr_kernarg_segment_ptr 1
		.amdhsa_user_sgpr_dispatch_id 0
		.amdhsa_user_sgpr_flat_scratch_init 0
		.amdhsa_user_sgpr_private_segment_size 0
		.amdhsa_wavefront_size32 1
		.amdhsa_uses_dynamic_stack 0
		.amdhsa_system_sgpr_private_segment_wavefront_offset 0
		.amdhsa_system_sgpr_workgroup_id_x 1
		.amdhsa_system_sgpr_workgroup_id_y 0
		.amdhsa_system_sgpr_workgroup_id_z 0
		.amdhsa_system_sgpr_workgroup_info 0
		.amdhsa_system_vgpr_workitem_id 0
		.amdhsa_next_free_vgpr 72
		.amdhsa_next_free_sgpr 13
		.amdhsa_reserve_vcc 1
		.amdhsa_reserve_flat_scratch 0
		.amdhsa_float_round_mode_32 0
		.amdhsa_float_round_mode_16_64 0
		.amdhsa_float_denorm_mode_32 3
		.amdhsa_float_denorm_mode_16_64 3
		.amdhsa_dx10_clamp 1
		.amdhsa_ieee_mode 1
		.amdhsa_fp16_overflow 0
		.amdhsa_workgroup_processor_mode 1
		.amdhsa_memory_ordered 1
		.amdhsa_forward_progress 1
		.amdhsa_shared_vgpr_count 0
		.amdhsa_exception_fp_ieee_invalid_op 0
		.amdhsa_exception_fp_denorm_src 0
		.amdhsa_exception_fp_ieee_div_zero 0
		.amdhsa_exception_fp_ieee_overflow 0
		.amdhsa_exception_fp_ieee_underflow 0
		.amdhsa_exception_fp_ieee_inexact 0
		.amdhsa_exception_int_div_zero 0
	.end_amdhsa_kernel
	.section	.text._ZN9rocsparseL19gebsrmvn_1xn_kernelILj128ELj14ELj32E21rocsparse_complex_numIdEEEvi20rocsparse_direction_NS_24const_host_device_scalarIT2_EEPKiS8_PKS5_SA_S6_PS5_21rocsparse_index_base_b,"axG",@progbits,_ZN9rocsparseL19gebsrmvn_1xn_kernelILj128ELj14ELj32E21rocsparse_complex_numIdEEEvi20rocsparse_direction_NS_24const_host_device_scalarIT2_EEPKiS8_PKS5_SA_S6_PS5_21rocsparse_index_base_b,comdat
.Lfunc_end291:
	.size	_ZN9rocsparseL19gebsrmvn_1xn_kernelILj128ELj14ELj32E21rocsparse_complex_numIdEEEvi20rocsparse_direction_NS_24const_host_device_scalarIT2_EEPKiS8_PKS5_SA_S6_PS5_21rocsparse_index_base_b, .Lfunc_end291-_ZN9rocsparseL19gebsrmvn_1xn_kernelILj128ELj14ELj32E21rocsparse_complex_numIdEEEvi20rocsparse_direction_NS_24const_host_device_scalarIT2_EEPKiS8_PKS5_SA_S6_PS5_21rocsparse_index_base_b
                                        ; -- End function
	.set _ZN9rocsparseL19gebsrmvn_1xn_kernelILj128ELj14ELj32E21rocsparse_complex_numIdEEEvi20rocsparse_direction_NS_24const_host_device_scalarIT2_EEPKiS8_PKS5_SA_S6_PS5_21rocsparse_index_base_b.num_vgpr, 72
	.set _ZN9rocsparseL19gebsrmvn_1xn_kernelILj128ELj14ELj32E21rocsparse_complex_numIdEEEvi20rocsparse_direction_NS_24const_host_device_scalarIT2_EEPKiS8_PKS5_SA_S6_PS5_21rocsparse_index_base_b.num_agpr, 0
	.set _ZN9rocsparseL19gebsrmvn_1xn_kernelILj128ELj14ELj32E21rocsparse_complex_numIdEEEvi20rocsparse_direction_NS_24const_host_device_scalarIT2_EEPKiS8_PKS5_SA_S6_PS5_21rocsparse_index_base_b.numbered_sgpr, 13
	.set _ZN9rocsparseL19gebsrmvn_1xn_kernelILj128ELj14ELj32E21rocsparse_complex_numIdEEEvi20rocsparse_direction_NS_24const_host_device_scalarIT2_EEPKiS8_PKS5_SA_S6_PS5_21rocsparse_index_base_b.num_named_barrier, 0
	.set _ZN9rocsparseL19gebsrmvn_1xn_kernelILj128ELj14ELj32E21rocsparse_complex_numIdEEEvi20rocsparse_direction_NS_24const_host_device_scalarIT2_EEPKiS8_PKS5_SA_S6_PS5_21rocsparse_index_base_b.private_seg_size, 0
	.set _ZN9rocsparseL19gebsrmvn_1xn_kernelILj128ELj14ELj32E21rocsparse_complex_numIdEEEvi20rocsparse_direction_NS_24const_host_device_scalarIT2_EEPKiS8_PKS5_SA_S6_PS5_21rocsparse_index_base_b.uses_vcc, 1
	.set _ZN9rocsparseL19gebsrmvn_1xn_kernelILj128ELj14ELj32E21rocsparse_complex_numIdEEEvi20rocsparse_direction_NS_24const_host_device_scalarIT2_EEPKiS8_PKS5_SA_S6_PS5_21rocsparse_index_base_b.uses_flat_scratch, 0
	.set _ZN9rocsparseL19gebsrmvn_1xn_kernelILj128ELj14ELj32E21rocsparse_complex_numIdEEEvi20rocsparse_direction_NS_24const_host_device_scalarIT2_EEPKiS8_PKS5_SA_S6_PS5_21rocsparse_index_base_b.has_dyn_sized_stack, 0
	.set _ZN9rocsparseL19gebsrmvn_1xn_kernelILj128ELj14ELj32E21rocsparse_complex_numIdEEEvi20rocsparse_direction_NS_24const_host_device_scalarIT2_EEPKiS8_PKS5_SA_S6_PS5_21rocsparse_index_base_b.has_recursion, 0
	.set _ZN9rocsparseL19gebsrmvn_1xn_kernelILj128ELj14ELj32E21rocsparse_complex_numIdEEEvi20rocsparse_direction_NS_24const_host_device_scalarIT2_EEPKiS8_PKS5_SA_S6_PS5_21rocsparse_index_base_b.has_indirect_call, 0
	.section	.AMDGPU.csdata,"",@progbits
; Kernel info:
; codeLenInByte = 2308
; TotalNumSgprs: 15
; NumVgprs: 72
; ScratchSize: 0
; MemoryBound: 1
; FloatMode: 240
; IeeeMode: 1
; LDSByteSize: 0 bytes/workgroup (compile time only)
; SGPRBlocks: 0
; VGPRBlocks: 8
; NumSGPRsForWavesPerEU: 15
; NumVGPRsForWavesPerEU: 72
; Occupancy: 12
; WaveLimiterHint : 1
; COMPUTE_PGM_RSRC2:SCRATCH_EN: 0
; COMPUTE_PGM_RSRC2:USER_SGPR: 6
; COMPUTE_PGM_RSRC2:TRAP_HANDLER: 0
; COMPUTE_PGM_RSRC2:TGID_X_EN: 1
; COMPUTE_PGM_RSRC2:TGID_Y_EN: 0
; COMPUTE_PGM_RSRC2:TGID_Z_EN: 0
; COMPUTE_PGM_RSRC2:TIDIG_COMP_CNT: 0
	.section	.text._ZN9rocsparseL19gebsrmvn_1xn_kernelILj128ELj14ELj64E21rocsparse_complex_numIdEEEvi20rocsparse_direction_NS_24const_host_device_scalarIT2_EEPKiS8_PKS5_SA_S6_PS5_21rocsparse_index_base_b,"axG",@progbits,_ZN9rocsparseL19gebsrmvn_1xn_kernelILj128ELj14ELj64E21rocsparse_complex_numIdEEEvi20rocsparse_direction_NS_24const_host_device_scalarIT2_EEPKiS8_PKS5_SA_S6_PS5_21rocsparse_index_base_b,comdat
	.globl	_ZN9rocsparseL19gebsrmvn_1xn_kernelILj128ELj14ELj64E21rocsparse_complex_numIdEEEvi20rocsparse_direction_NS_24const_host_device_scalarIT2_EEPKiS8_PKS5_SA_S6_PS5_21rocsparse_index_base_b ; -- Begin function _ZN9rocsparseL19gebsrmvn_1xn_kernelILj128ELj14ELj64E21rocsparse_complex_numIdEEEvi20rocsparse_direction_NS_24const_host_device_scalarIT2_EEPKiS8_PKS5_SA_S6_PS5_21rocsparse_index_base_b
	.p2align	8
	.type	_ZN9rocsparseL19gebsrmvn_1xn_kernelILj128ELj14ELj64E21rocsparse_complex_numIdEEEvi20rocsparse_direction_NS_24const_host_device_scalarIT2_EEPKiS8_PKS5_SA_S6_PS5_21rocsparse_index_base_b,@function
_ZN9rocsparseL19gebsrmvn_1xn_kernelILj128ELj14ELj64E21rocsparse_complex_numIdEEEvi20rocsparse_direction_NS_24const_host_device_scalarIT2_EEPKiS8_PKS5_SA_S6_PS5_21rocsparse_index_base_b: ; @_ZN9rocsparseL19gebsrmvn_1xn_kernelILj128ELj14ELj64E21rocsparse_complex_numIdEEEvi20rocsparse_direction_NS_24const_host_device_scalarIT2_EEPKiS8_PKS5_SA_S6_PS5_21rocsparse_index_base_b
; %bb.0:
	s_clause 0x1
	s_load_dwordx2 s[8:9], s[4:5], 0x50
	s_load_dwordx2 s[0:1], s[4:5], 0x8
	s_add_u32 s7, s4, 8
	s_addc_u32 s10, s5, 0
	s_add_u32 s11, s4, 56
	s_addc_u32 s12, s5, 0
	s_load_dwordx2 s[2:3], s[4:5], 0x38
	s_waitcnt lgkmcnt(0)
	s_bitcmp1_b32 s9, 0
	s_cselect_b32 s0, s7, s0
	s_cselect_b32 s1, s10, s1
	v_mov_b32_e32 v1, s0
	v_mov_b32_e32 v2, s1
	s_cselect_b32 s0, s11, s2
	s_cselect_b32 s1, s12, s3
	flat_load_dwordx4 v[5:8], v[1:2]
	v_mov_b32_e32 v1, s0
	v_mov_b32_e32 v2, s1
	flat_load_dwordx4 v[1:4], v[1:2]
	s_waitcnt vmcnt(1) lgkmcnt(1)
	v_cmp_eq_f64_e32 vcc_lo, 0, v[5:6]
	v_cmp_eq_f64_e64 s0, 0, v[7:8]
	s_and_b32 s2, vcc_lo, s0
	s_mov_b32 s0, -1
	s_and_saveexec_b32 s1, s2
	s_cbranch_execz .LBB292_2
; %bb.1:
	s_waitcnt vmcnt(0) lgkmcnt(0)
	v_cmp_neq_f64_e32 vcc_lo, 1.0, v[1:2]
	v_cmp_neq_f64_e64 s0, 0, v[3:4]
	s_or_b32 s0, vcc_lo, s0
	s_orn2_b32 s0, s0, exec_lo
.LBB292_2:
	s_or_b32 exec_lo, exec_lo, s1
	s_and_saveexec_b32 s1, s0
	s_cbranch_execz .LBB292_13
; %bb.3:
	s_load_dword s0, s[4:5], 0x0
	v_lshrrev_b32_e32 v9, 6, v0
	v_lshl_or_b32 v9, s6, 1, v9
	s_waitcnt lgkmcnt(0)
	v_cmp_gt_i32_e32 vcc_lo, s0, v9
	s_and_b32 exec_lo, exec_lo, vcc_lo
	s_cbranch_execz .LBB292_13
; %bb.4:
	s_clause 0x1
	s_load_dwordx2 s[0:1], s[4:5], 0x18
	s_load_dwordx2 s[6:7], s[4:5], 0x48
	v_ashrrev_i32_e32 v10, 31, v9
	v_and_b32_e32 v0, 63, v0
	v_mov_b32_e32 v16, 0
	v_mov_b32_e32 v18, 0
	v_mov_b32_e32 v17, 0
	v_lshlrev_b64 v[11:12], 2, v[9:10]
	v_subrev_nc_u32_e32 v13, s8, v0
	v_mov_b32_e32 v19, 0
	s_mov_b32 s9, exec_lo
	s_waitcnt lgkmcnt(0)
	v_add_co_u32 v11, vcc_lo, s0, v11
	v_add_co_ci_u32_e64 v12, null, s1, v12, vcc_lo
	global_load_dwordx2 v[11:12], v[11:12], off
	s_waitcnt vmcnt(0)
	v_subrev_nc_u32_e32 v20, s8, v12
	v_add_nc_u32_e32 v11, v11, v13
	v_cmpx_lt_i32_e64 v11, v20
	s_cbranch_execz .LBB292_8
; %bb.5:
	s_clause 0x1
	s_load_dwordx4 s[0:3], s[4:5], 0x20
	s_load_dwordx2 s[4:5], s[4:5], 0x30
	v_mad_u64_u32 v[13:14], null, v11, 14, 13
	v_mov_b32_e32 v16, 0
	v_mov_b32_e32 v18, 0
	;; [unrolled: 1-line block ×5, first 2 shown]
	s_mov_b32 s10, 0
.LBB292_6:                              ; =>This Inner Loop Header: Depth=1
	v_ashrrev_i32_e32 v12, 31, v11
	v_add_nc_u32_e32 v14, -13, v13
	v_mov_b32_e32 v62, v15
	v_lshlrev_b64 v[21:22], 2, v[11:12]
	v_add_nc_u32_e32 v11, 64, v11
	s_waitcnt lgkmcnt(0)
	v_add_co_u32 v21, vcc_lo, s0, v21
	v_add_co_ci_u32_e64 v22, null, s1, v22, vcc_lo
	global_load_dword v12, v[21:22], off
	v_lshlrev_b64 v[21:22], 4, v[14:15]
	v_add_nc_u32_e32 v14, -11, v13
	v_lshlrev_b64 v[23:24], 4, v[14:15]
	v_add_co_u32 v25, vcc_lo, s2, v21
	v_add_co_ci_u32_e64 v26, null, s3, v22, vcc_lo
	v_add_co_u32 v29, vcc_lo, s2, v23
	v_add_co_ci_u32_e64 v30, null, s3, v24, vcc_lo
	s_clause 0x2
	global_load_dwordx4 v[21:24], v[25:26], off offset:16
	global_load_dwordx4 v[25:28], v[25:26], off
	global_load_dwordx4 v[29:32], v[29:30], off
	s_waitcnt vmcnt(3)
	v_subrev_nc_u32_e32 v12, s8, v12
	v_mul_lo_u32 v61, v12, 14
	v_lshlrev_b64 v[33:34], 4, v[61:62]
	v_add_nc_u32_e32 v14, 2, v61
	v_lshlrev_b64 v[41:42], 4, v[14:15]
	v_add_co_u32 v37, vcc_lo, s4, v33
	v_add_co_ci_u32_e64 v38, null, s5, v34, vcc_lo
	v_add_nc_u32_e32 v14, -10, v13
	v_add_co_u32 v47, vcc_lo, s4, v41
	s_clause 0x1
	global_load_dwordx4 v[33:36], v[37:38], off
	global_load_dwordx4 v[37:40], v[37:38], off offset:16
	v_add_co_ci_u32_e64 v48, null, s5, v42, vcc_lo
	v_lshlrev_b64 v[45:46], 4, v[14:15]
	v_add_nc_u32_e32 v14, -9, v13
	global_load_dwordx4 v[41:44], v[47:48], off
	v_add_co_u32 v49, vcc_lo, s2, v45
	v_add_co_ci_u32_e64 v50, null, s3, v46, vcc_lo
	global_load_dwordx4 v[45:48], v[47:48], off offset:16
	v_lshlrev_b64 v[53:54], 4, v[14:15]
	v_add_nc_u32_e32 v14, 4, v61
	global_load_dwordx4 v[49:52], v[49:50], off
	v_lshlrev_b64 v[55:56], 4, v[14:15]
	v_add_nc_u32_e32 v14, -8, v13
	v_add_co_u32 v53, vcc_lo, s2, v53
	v_add_co_ci_u32_e64 v54, null, s3, v54, vcc_lo
	v_lshlrev_b64 v[57:58], 4, v[14:15]
	v_add_co_u32 v62, vcc_lo, s4, v55
	v_add_co_ci_u32_e64 v63, null, s5, v56, vcc_lo
	global_load_dwordx4 v[53:56], v[53:54], off
	v_add_co_u32 v66, vcc_lo, s2, v57
	v_add_co_ci_u32_e64 v67, null, s3, v58, vcc_lo
	global_load_dwordx4 v[57:60], v[62:63], off
	v_add_nc_u32_e32 v14, -7, v13
	v_lshlrev_b64 v[64:65], 4, v[14:15]
	v_add_nc_u32_e32 v14, 6, v61
	v_add_co_u32 v64, vcc_lo, s2, v64
	v_add_co_ci_u32_e64 v65, null, s3, v65, vcc_lo
	s_waitcnt vmcnt(6)
	v_fma_f64 v[18:19], v[25:26], v[33:34], v[18:19]
	v_fma_f64 v[16:17], v[27:28], v[33:34], v[16:17]
	v_fma_f64 v[33:34], -v[27:28], v[35:36], v[18:19]
	v_fma_f64 v[35:36], v[25:26], v[35:36], v[16:17]
	global_load_dwordx4 v[16:19], v[62:63], off offset:16
	global_load_dwordx4 v[25:28], v[66:67], off
	v_lshlrev_b64 v[62:63], 4, v[14:15]
	v_add_nc_u32_e32 v14, -6, v13
	v_add_co_u32 v62, vcc_lo, s4, v62
	v_add_co_ci_u32_e64 v63, null, s5, v63, vcc_lo
	v_lshlrev_b64 v[66:67], 4, v[14:15]
	v_add_nc_u32_e32 v14, -5, v13
	s_waitcnt vmcnt(7)
	v_fma_f64 v[33:34], v[21:22], v[37:38], v[33:34]
	v_fma_f64 v[35:36], v[23:24], v[37:38], v[35:36]
	v_fma_f64 v[68:69], -v[23:24], v[39:40], v[33:34]
	v_fma_f64 v[70:71], v[21:22], v[39:40], v[35:36]
	global_load_dwordx4 v[21:24], v[64:65], off
	s_clause 0x1
	global_load_dwordx4 v[33:36], v[62:63], off
	global_load_dwordx4 v[37:40], v[62:63], off offset:16
	v_add_co_u32 v64, vcc_lo, s2, v66
	v_add_co_ci_u32_e64 v65, null, s3, v67, vcc_lo
	s_waitcnt vmcnt(9)
	v_fma_f64 v[62:63], v[29:30], v[41:42], v[68:69]
	v_fma_f64 v[41:42], v[31:32], v[41:42], v[70:71]
	v_fma_f64 v[62:63], -v[31:32], v[43:44], v[62:63]
	v_fma_f64 v[66:67], v[29:30], v[43:44], v[41:42]
	global_load_dwordx4 v[29:32], v[64:65], off
	v_lshlrev_b64 v[41:42], 4, v[14:15]
	v_add_nc_u32_e32 v14, 8, v61
	v_lshlrev_b64 v[43:44], 4, v[14:15]
	v_add_co_u32 v41, vcc_lo, s2, v41
	v_add_co_ci_u32_e64 v42, null, s3, v42, vcc_lo
	v_add_nc_u32_e32 v14, -4, v13
	v_add_co_u32 v64, vcc_lo, s4, v43
	v_add_co_ci_u32_e64 v65, null, s5, v44, vcc_lo
	global_load_dwordx4 v[41:44], v[41:42], off
	s_waitcnt vmcnt(9)
	v_fma_f64 v[62:63], v[49:50], v[45:46], v[62:63]
	v_fma_f64 v[45:46], v[51:52], v[45:46], v[66:67]
	v_fma_f64 v[62:63], -v[51:52], v[47:48], v[62:63]
	v_fma_f64 v[66:67], v[49:50], v[47:48], v[45:46]
	global_load_dwordx4 v[45:48], v[64:65], off
	v_lshlrev_b64 v[49:50], 4, v[14:15]
	v_add_nc_u32_e32 v14, -3, v13
	v_add_co_u32 v68, vcc_lo, s2, v49
	v_add_co_ci_u32_e64 v69, null, s3, v50, vcc_lo
	global_load_dwordx4 v[49:52], v[64:65], off offset:16
	s_waitcnt vmcnt(9)
	v_fma_f64 v[62:63], v[53:54], v[57:58], v[62:63]
	v_fma_f64 v[57:58], v[55:56], v[57:58], v[66:67]
	v_fma_f64 v[62:63], -v[55:56], v[59:60], v[62:63]
	v_fma_f64 v[64:65], v[53:54], v[59:60], v[57:58]
	global_load_dwordx4 v[53:56], v[68:69], off
	v_lshlrev_b64 v[57:58], 4, v[14:15]
	v_add_nc_u32_e32 v14, 10, v61
	v_lshlrev_b64 v[59:60], 4, v[14:15]
	v_add_co_u32 v57, vcc_lo, s2, v57
	v_add_co_ci_u32_e64 v58, null, s3, v58, vcc_lo
	v_add_nc_u32_e32 v14, -2, v13
	v_add_co_u32 v66, vcc_lo, s4, v59
	v_add_co_ci_u32_e64 v67, null, s5, v60, vcc_lo
	global_load_dwordx4 v[57:60], v[57:58], off
	s_waitcnt vmcnt(9)
	v_fma_f64 v[62:63], v[25:26], v[16:17], v[62:63]
	v_fma_f64 v[16:17], v[27:28], v[16:17], v[64:65]
	v_fma_f64 v[62:63], -v[27:28], v[18:19], v[62:63]
	v_fma_f64 v[64:65], v[25:26], v[18:19], v[16:17]
	global_load_dwordx4 v[16:19], v[66:67], off
	v_lshlrev_b64 v[25:26], 4, v[14:15]
	v_add_nc_u32_e32 v14, -1, v13
	v_add_co_u32 v68, vcc_lo, s2, v25
	v_add_co_ci_u32_e64 v69, null, s3, v26, vcc_lo
	global_load_dwordx4 v[25:28], v[66:67], off offset:16
	s_waitcnt vmcnt(9)
	v_fma_f64 v[62:63], v[21:22], v[33:34], v[62:63]
	v_fma_f64 v[33:34], v[23:24], v[33:34], v[64:65]
	v_fma_f64 v[62:63], -v[23:24], v[35:36], v[62:63]
	v_fma_f64 v[64:65], v[21:22], v[35:36], v[33:34]
	global_load_dwordx4 v[21:24], v[68:69], off
	v_lshlrev_b64 v[33:34], 4, v[14:15]
	v_add_nc_u32_e32 v14, 12, v61
	v_lshlrev_b64 v[35:36], 4, v[14:15]
	v_add_co_u32 v33, vcc_lo, s2, v33
	v_add_co_ci_u32_e64 v34, null, s3, v34, vcc_lo
	v_mov_b32_e32 v14, v15
	v_add_co_u32 v66, vcc_lo, s4, v35
	v_add_co_ci_u32_e64 v67, null, s5, v36, vcc_lo
	global_load_dwordx4 v[33:36], v[33:34], off
	s_waitcnt vmcnt(9)
	v_fma_f64 v[61:62], v[29:30], v[37:38], v[62:63]
	v_fma_f64 v[37:38], v[31:32], v[37:38], v[64:65]
	v_fma_f64 v[68:69], -v[31:32], v[39:40], v[61:62]
	v_fma_f64 v[70:71], v[29:30], v[39:40], v[37:38]
	global_load_dwordx4 v[29:32], v[66:67], off
	v_lshlrev_b64 v[37:38], 4, v[13:14]
	v_add_nc_u32_e32 v13, 0x380, v13
	v_add_co_u32 v37, vcc_lo, s2, v37
	v_add_co_ci_u32_e64 v38, null, s3, v38, vcc_lo
	global_load_dwordx4 v[37:40], v[37:38], off
	global_load_dwordx4 v[61:64], v[66:67], off offset:16
	v_cmp_ge_i32_e32 vcc_lo, v11, v20
	s_waitcnt vmcnt(10)
	v_fma_f64 v[65:66], v[41:42], v[45:46], v[68:69]
	v_fma_f64 v[45:46], v[43:44], v[45:46], v[70:71]
	s_or_b32 s10, vcc_lo, s10
	v_fma_f64 v[43:44], -v[43:44], v[47:48], v[65:66]
	v_fma_f64 v[41:42], v[41:42], v[47:48], v[45:46]
	s_waitcnt vmcnt(8)
	v_fma_f64 v[43:44], v[53:54], v[49:50], v[43:44]
	v_fma_f64 v[41:42], v[55:56], v[49:50], v[41:42]
	v_fma_f64 v[43:44], -v[55:56], v[51:52], v[43:44]
	v_fma_f64 v[41:42], v[53:54], v[51:52], v[41:42]
	s_waitcnt vmcnt(6)
	v_fma_f64 v[43:44], v[57:58], v[16:17], v[43:44]
	v_fma_f64 v[16:17], v[59:60], v[16:17], v[41:42]
	v_fma_f64 v[41:42], -v[59:60], v[18:19], v[43:44]
	v_fma_f64 v[16:17], v[57:58], v[18:19], v[16:17]
	s_waitcnt vmcnt(4)
	v_fma_f64 v[18:19], v[21:22], v[25:26], v[41:42]
	v_fma_f64 v[16:17], v[23:24], v[25:26], v[16:17]
	v_fma_f64 v[18:19], -v[23:24], v[27:28], v[18:19]
	v_fma_f64 v[16:17], v[21:22], v[27:28], v[16:17]
	s_waitcnt vmcnt(2)
	v_fma_f64 v[18:19], v[33:34], v[29:30], v[18:19]
	v_fma_f64 v[16:17], v[35:36], v[29:30], v[16:17]
	v_fma_f64 v[18:19], -v[35:36], v[31:32], v[18:19]
	v_fma_f64 v[16:17], v[33:34], v[31:32], v[16:17]
	s_waitcnt vmcnt(0)
	v_fma_f64 v[18:19], v[37:38], v[61:62], v[18:19]
	v_fma_f64 v[16:17], v[39:40], v[61:62], v[16:17]
	v_fma_f64 v[18:19], -v[39:40], v[63:64], v[18:19]
	v_fma_f64 v[16:17], v[37:38], v[63:64], v[16:17]
	s_andn2_b32 exec_lo, exec_lo, s10
	s_cbranch_execnz .LBB292_6
; %bb.7:
	s_or_b32 exec_lo, exec_lo, s10
.LBB292_8:
	s_or_b32 exec_lo, exec_lo, s9
	v_mbcnt_lo_u32_b32 v20, -1, 0
	v_or_b32_e32 v11, 32, v20
	v_xor_b32_e32 v15, 16, v20
	v_cmp_gt_i32_e32 vcc_lo, 32, v11
	v_cndmask_b32_e32 v11, v20, v11, vcc_lo
	v_cmp_gt_i32_e32 vcc_lo, 32, v15
	v_lshlrev_b32_e32 v14, 2, v11
	v_cndmask_b32_e32 v15, v20, v15, vcc_lo
	ds_bpermute_b32 v11, v14, v18
	ds_bpermute_b32 v12, v14, v19
	ds_bpermute_b32 v13, v14, v16
	ds_bpermute_b32 v14, v14, v17
	s_waitcnt lgkmcnt(2)
	v_add_f64 v[11:12], v[18:19], v[11:12]
	v_lshlrev_b32_e32 v18, 2, v15
	s_waitcnt lgkmcnt(0)
	v_add_f64 v[13:14], v[16:17], v[13:14]
	ds_bpermute_b32 v15, v18, v11
	ds_bpermute_b32 v16, v18, v12
	ds_bpermute_b32 v17, v18, v13
	ds_bpermute_b32 v18, v18, v14
	s_waitcnt lgkmcnt(2)
	v_add_f64 v[11:12], v[11:12], v[15:16]
	v_xor_b32_e32 v15, 8, v20
	s_waitcnt lgkmcnt(0)
	v_add_f64 v[13:14], v[13:14], v[17:18]
	v_cmp_gt_i32_e32 vcc_lo, 32, v15
	v_cndmask_b32_e32 v15, v20, v15, vcc_lo
	v_lshlrev_b32_e32 v18, 2, v15
	ds_bpermute_b32 v15, v18, v11
	ds_bpermute_b32 v16, v18, v12
	ds_bpermute_b32 v17, v18, v13
	ds_bpermute_b32 v18, v18, v14
	s_waitcnt lgkmcnt(2)
	v_add_f64 v[11:12], v[11:12], v[15:16]
	v_xor_b32_e32 v15, 4, v20
	s_waitcnt lgkmcnt(0)
	v_add_f64 v[13:14], v[13:14], v[17:18]
	v_cmp_gt_i32_e32 vcc_lo, 32, v15
	v_cndmask_b32_e32 v15, v20, v15, vcc_lo
	v_lshlrev_b32_e32 v18, 2, v15
	;; [unrolled: 12-line block ×3, first 2 shown]
	ds_bpermute_b32 v15, v18, v11
	ds_bpermute_b32 v16, v18, v12
	;; [unrolled: 1-line block ×4, first 2 shown]
	s_waitcnt lgkmcnt(2)
	v_add_f64 v[11:12], v[11:12], v[15:16]
	v_xor_b32_e32 v15, 1, v20
	s_waitcnt lgkmcnt(0)
	v_add_f64 v[13:14], v[13:14], v[17:18]
	v_cmp_gt_i32_e32 vcc_lo, 32, v15
	v_cndmask_b32_e32 v15, v20, v15, vcc_lo
	v_cmp_eq_u32_e32 vcc_lo, 63, v0
	v_lshlrev_b32_e32 v18, 2, v15
	ds_bpermute_b32 v15, v18, v11
	ds_bpermute_b32 v16, v18, v12
	;; [unrolled: 1-line block ×4, first 2 shown]
	s_and_b32 exec_lo, exec_lo, vcc_lo
	s_cbranch_execz .LBB292_13
; %bb.9:
	s_waitcnt lgkmcnt(0)
	v_add_f64 v[13:14], v[13:14], v[17:18]
	v_add_f64 v[11:12], v[11:12], v[15:16]
	v_cmp_eq_f64_e32 vcc_lo, 0, v[1:2]
	v_cmp_eq_f64_e64 s0, 0, v[3:4]
	v_lshlrev_b64 v[9:10], 4, v[9:10]
	v_mul_f64 v[15:16], v[13:14], -v[7:8]
	v_mul_f64 v[13:14], v[5:6], v[13:14]
	s_and_b32 s0, vcc_lo, s0
	v_fma_f64 v[5:6], v[5:6], v[11:12], v[15:16]
	v_fma_f64 v[7:8], v[7:8], v[11:12], v[13:14]
	s_and_saveexec_b32 s1, s0
	s_xor_b32 s0, exec_lo, s1
	s_cbranch_execz .LBB292_11
; %bb.10:
	v_add_co_u32 v0, vcc_lo, s6, v9
	v_add_co_ci_u32_e64 v1, null, s7, v10, vcc_lo
                                        ; implicit-def: $vgpr9_vgpr10
	global_store_dwordx4 v[0:1], v[5:8], off
                                        ; implicit-def: $vgpr1_vgpr2
                                        ; implicit-def: $vgpr5_vgpr6
.LBB292_11:
	s_andn2_saveexec_b32 s0, s0
	s_cbranch_execz .LBB292_13
; %bb.12:
	v_add_co_u32 v13, vcc_lo, s6, v9
	v_add_co_ci_u32_e64 v14, null, s7, v10, vcc_lo
	global_load_dwordx4 v[9:12], v[13:14], off
	s_waitcnt vmcnt(0)
	v_fma_f64 v[5:6], v[1:2], v[9:10], v[5:6]
	v_fma_f64 v[7:8], v[3:4], v[9:10], v[7:8]
	v_fma_f64 v[3:4], -v[3:4], v[11:12], v[5:6]
	v_fma_f64 v[5:6], v[1:2], v[11:12], v[7:8]
	global_store_dwordx4 v[13:14], v[3:6], off
.LBB292_13:
	s_endpgm
	.section	.rodata,"a",@progbits
	.p2align	6, 0x0
	.amdhsa_kernel _ZN9rocsparseL19gebsrmvn_1xn_kernelILj128ELj14ELj64E21rocsparse_complex_numIdEEEvi20rocsparse_direction_NS_24const_host_device_scalarIT2_EEPKiS8_PKS5_SA_S6_PS5_21rocsparse_index_base_b
		.amdhsa_group_segment_fixed_size 0
		.amdhsa_private_segment_fixed_size 0
		.amdhsa_kernarg_size 88
		.amdhsa_user_sgpr_count 6
		.amdhsa_user_sgpr_private_segment_buffer 1
		.amdhsa_user_sgpr_dispatch_ptr 0
		.amdhsa_user_sgpr_queue_ptr 0
		.amdhsa_user_sgpr_kernarg_segment_ptr 1
		.amdhsa_user_sgpr_dispatch_id 0
		.amdhsa_user_sgpr_flat_scratch_init 0
		.amdhsa_user_sgpr_private_segment_size 0
		.amdhsa_wavefront_size32 1
		.amdhsa_uses_dynamic_stack 0
		.amdhsa_system_sgpr_private_segment_wavefront_offset 0
		.amdhsa_system_sgpr_workgroup_id_x 1
		.amdhsa_system_sgpr_workgroup_id_y 0
		.amdhsa_system_sgpr_workgroup_id_z 0
		.amdhsa_system_sgpr_workgroup_info 0
		.amdhsa_system_vgpr_workitem_id 0
		.amdhsa_next_free_vgpr 72
		.amdhsa_next_free_sgpr 13
		.amdhsa_reserve_vcc 1
		.amdhsa_reserve_flat_scratch 0
		.amdhsa_float_round_mode_32 0
		.amdhsa_float_round_mode_16_64 0
		.amdhsa_float_denorm_mode_32 3
		.amdhsa_float_denorm_mode_16_64 3
		.amdhsa_dx10_clamp 1
		.amdhsa_ieee_mode 1
		.amdhsa_fp16_overflow 0
		.amdhsa_workgroup_processor_mode 1
		.amdhsa_memory_ordered 1
		.amdhsa_forward_progress 1
		.amdhsa_shared_vgpr_count 0
		.amdhsa_exception_fp_ieee_invalid_op 0
		.amdhsa_exception_fp_denorm_src 0
		.amdhsa_exception_fp_ieee_div_zero 0
		.amdhsa_exception_fp_ieee_overflow 0
		.amdhsa_exception_fp_ieee_underflow 0
		.amdhsa_exception_fp_ieee_inexact 0
		.amdhsa_exception_int_div_zero 0
	.end_amdhsa_kernel
	.section	.text._ZN9rocsparseL19gebsrmvn_1xn_kernelILj128ELj14ELj64E21rocsparse_complex_numIdEEEvi20rocsparse_direction_NS_24const_host_device_scalarIT2_EEPKiS8_PKS5_SA_S6_PS5_21rocsparse_index_base_b,"axG",@progbits,_ZN9rocsparseL19gebsrmvn_1xn_kernelILj128ELj14ELj64E21rocsparse_complex_numIdEEEvi20rocsparse_direction_NS_24const_host_device_scalarIT2_EEPKiS8_PKS5_SA_S6_PS5_21rocsparse_index_base_b,comdat
.Lfunc_end292:
	.size	_ZN9rocsparseL19gebsrmvn_1xn_kernelILj128ELj14ELj64E21rocsparse_complex_numIdEEEvi20rocsparse_direction_NS_24const_host_device_scalarIT2_EEPKiS8_PKS5_SA_S6_PS5_21rocsparse_index_base_b, .Lfunc_end292-_ZN9rocsparseL19gebsrmvn_1xn_kernelILj128ELj14ELj64E21rocsparse_complex_numIdEEEvi20rocsparse_direction_NS_24const_host_device_scalarIT2_EEPKiS8_PKS5_SA_S6_PS5_21rocsparse_index_base_b
                                        ; -- End function
	.set _ZN9rocsparseL19gebsrmvn_1xn_kernelILj128ELj14ELj64E21rocsparse_complex_numIdEEEvi20rocsparse_direction_NS_24const_host_device_scalarIT2_EEPKiS8_PKS5_SA_S6_PS5_21rocsparse_index_base_b.num_vgpr, 72
	.set _ZN9rocsparseL19gebsrmvn_1xn_kernelILj128ELj14ELj64E21rocsparse_complex_numIdEEEvi20rocsparse_direction_NS_24const_host_device_scalarIT2_EEPKiS8_PKS5_SA_S6_PS5_21rocsparse_index_base_b.num_agpr, 0
	.set _ZN9rocsparseL19gebsrmvn_1xn_kernelILj128ELj14ELj64E21rocsparse_complex_numIdEEEvi20rocsparse_direction_NS_24const_host_device_scalarIT2_EEPKiS8_PKS5_SA_S6_PS5_21rocsparse_index_base_b.numbered_sgpr, 13
	.set _ZN9rocsparseL19gebsrmvn_1xn_kernelILj128ELj14ELj64E21rocsparse_complex_numIdEEEvi20rocsparse_direction_NS_24const_host_device_scalarIT2_EEPKiS8_PKS5_SA_S6_PS5_21rocsparse_index_base_b.num_named_barrier, 0
	.set _ZN9rocsparseL19gebsrmvn_1xn_kernelILj128ELj14ELj64E21rocsparse_complex_numIdEEEvi20rocsparse_direction_NS_24const_host_device_scalarIT2_EEPKiS8_PKS5_SA_S6_PS5_21rocsparse_index_base_b.private_seg_size, 0
	.set _ZN9rocsparseL19gebsrmvn_1xn_kernelILj128ELj14ELj64E21rocsparse_complex_numIdEEEvi20rocsparse_direction_NS_24const_host_device_scalarIT2_EEPKiS8_PKS5_SA_S6_PS5_21rocsparse_index_base_b.uses_vcc, 1
	.set _ZN9rocsparseL19gebsrmvn_1xn_kernelILj128ELj14ELj64E21rocsparse_complex_numIdEEEvi20rocsparse_direction_NS_24const_host_device_scalarIT2_EEPKiS8_PKS5_SA_S6_PS5_21rocsparse_index_base_b.uses_flat_scratch, 0
	.set _ZN9rocsparseL19gebsrmvn_1xn_kernelILj128ELj14ELj64E21rocsparse_complex_numIdEEEvi20rocsparse_direction_NS_24const_host_device_scalarIT2_EEPKiS8_PKS5_SA_S6_PS5_21rocsparse_index_base_b.has_dyn_sized_stack, 0
	.set _ZN9rocsparseL19gebsrmvn_1xn_kernelILj128ELj14ELj64E21rocsparse_complex_numIdEEEvi20rocsparse_direction_NS_24const_host_device_scalarIT2_EEPKiS8_PKS5_SA_S6_PS5_21rocsparse_index_base_b.has_recursion, 0
	.set _ZN9rocsparseL19gebsrmvn_1xn_kernelILj128ELj14ELj64E21rocsparse_complex_numIdEEEvi20rocsparse_direction_NS_24const_host_device_scalarIT2_EEPKiS8_PKS5_SA_S6_PS5_21rocsparse_index_base_b.has_indirect_call, 0
	.section	.AMDGPU.csdata,"",@progbits
; Kernel info:
; codeLenInByte = 2380
; TotalNumSgprs: 15
; NumVgprs: 72
; ScratchSize: 0
; MemoryBound: 1
; FloatMode: 240
; IeeeMode: 1
; LDSByteSize: 0 bytes/workgroup (compile time only)
; SGPRBlocks: 0
; VGPRBlocks: 8
; NumSGPRsForWavesPerEU: 15
; NumVGPRsForWavesPerEU: 72
; Occupancy: 12
; WaveLimiterHint : 1
; COMPUTE_PGM_RSRC2:SCRATCH_EN: 0
; COMPUTE_PGM_RSRC2:USER_SGPR: 6
; COMPUTE_PGM_RSRC2:TRAP_HANDLER: 0
; COMPUTE_PGM_RSRC2:TGID_X_EN: 1
; COMPUTE_PGM_RSRC2:TGID_Y_EN: 0
; COMPUTE_PGM_RSRC2:TGID_Z_EN: 0
; COMPUTE_PGM_RSRC2:TIDIG_COMP_CNT: 0
	.section	.text._ZN9rocsparseL19gebsrmvn_1xn_kernelILj128ELj15ELj4E21rocsparse_complex_numIdEEEvi20rocsparse_direction_NS_24const_host_device_scalarIT2_EEPKiS8_PKS5_SA_S6_PS5_21rocsparse_index_base_b,"axG",@progbits,_ZN9rocsparseL19gebsrmvn_1xn_kernelILj128ELj15ELj4E21rocsparse_complex_numIdEEEvi20rocsparse_direction_NS_24const_host_device_scalarIT2_EEPKiS8_PKS5_SA_S6_PS5_21rocsparse_index_base_b,comdat
	.globl	_ZN9rocsparseL19gebsrmvn_1xn_kernelILj128ELj15ELj4E21rocsparse_complex_numIdEEEvi20rocsparse_direction_NS_24const_host_device_scalarIT2_EEPKiS8_PKS5_SA_S6_PS5_21rocsparse_index_base_b ; -- Begin function _ZN9rocsparseL19gebsrmvn_1xn_kernelILj128ELj15ELj4E21rocsparse_complex_numIdEEEvi20rocsparse_direction_NS_24const_host_device_scalarIT2_EEPKiS8_PKS5_SA_S6_PS5_21rocsparse_index_base_b
	.p2align	8
	.type	_ZN9rocsparseL19gebsrmvn_1xn_kernelILj128ELj15ELj4E21rocsparse_complex_numIdEEEvi20rocsparse_direction_NS_24const_host_device_scalarIT2_EEPKiS8_PKS5_SA_S6_PS5_21rocsparse_index_base_b,@function
_ZN9rocsparseL19gebsrmvn_1xn_kernelILj128ELj15ELj4E21rocsparse_complex_numIdEEEvi20rocsparse_direction_NS_24const_host_device_scalarIT2_EEPKiS8_PKS5_SA_S6_PS5_21rocsparse_index_base_b: ; @_ZN9rocsparseL19gebsrmvn_1xn_kernelILj128ELj15ELj4E21rocsparse_complex_numIdEEEvi20rocsparse_direction_NS_24const_host_device_scalarIT2_EEPKiS8_PKS5_SA_S6_PS5_21rocsparse_index_base_b
; %bb.0:
	s_clause 0x1
	s_load_dwordx2 s[8:9], s[4:5], 0x50
	s_load_dwordx2 s[0:1], s[4:5], 0x8
	s_add_u32 s7, s4, 8
	s_addc_u32 s10, s5, 0
	s_add_u32 s11, s4, 56
	s_addc_u32 s12, s5, 0
	s_load_dwordx2 s[2:3], s[4:5], 0x38
	s_waitcnt lgkmcnt(0)
	s_bitcmp1_b32 s9, 0
	s_cselect_b32 s0, s7, s0
	s_cselect_b32 s1, s10, s1
	v_mov_b32_e32 v1, s0
	v_mov_b32_e32 v2, s1
	s_cselect_b32 s0, s11, s2
	s_cselect_b32 s1, s12, s3
	flat_load_dwordx4 v[5:8], v[1:2]
	v_mov_b32_e32 v1, s0
	v_mov_b32_e32 v2, s1
	flat_load_dwordx4 v[1:4], v[1:2]
	s_waitcnt vmcnt(1) lgkmcnt(1)
	v_cmp_eq_f64_e32 vcc_lo, 0, v[5:6]
	v_cmp_eq_f64_e64 s0, 0, v[7:8]
	s_and_b32 s2, vcc_lo, s0
	s_mov_b32 s0, -1
	s_and_saveexec_b32 s1, s2
	s_cbranch_execz .LBB293_2
; %bb.1:
	s_waitcnt vmcnt(0) lgkmcnt(0)
	v_cmp_neq_f64_e32 vcc_lo, 1.0, v[1:2]
	v_cmp_neq_f64_e64 s0, 0, v[3:4]
	s_or_b32 s0, vcc_lo, s0
	s_orn2_b32 s0, s0, exec_lo
.LBB293_2:
	s_or_b32 exec_lo, exec_lo, s1
	s_and_saveexec_b32 s1, s0
	s_cbranch_execz .LBB293_13
; %bb.3:
	s_load_dword s0, s[4:5], 0x0
	v_lshrrev_b32_e32 v9, 2, v0
	v_lshl_or_b32 v9, s6, 5, v9
	s_waitcnt lgkmcnt(0)
	v_cmp_gt_i32_e32 vcc_lo, s0, v9
	s_and_b32 exec_lo, exec_lo, vcc_lo
	s_cbranch_execz .LBB293_13
; %bb.4:
	s_clause 0x1
	s_load_dwordx2 s[0:1], s[4:5], 0x18
	s_load_dwordx2 s[6:7], s[4:5], 0x48
	v_ashrrev_i32_e32 v10, 31, v9
	v_and_b32_e32 v0, 3, v0
	v_mov_b32_e32 v18, 0
	v_mov_b32_e32 v20, 0
	;; [unrolled: 1-line block ×3, first 2 shown]
	v_lshlrev_b64 v[11:12], 2, v[9:10]
	v_subrev_nc_u32_e32 v13, s8, v0
	v_mov_b32_e32 v21, 0
	s_mov_b32 s9, exec_lo
	s_waitcnt lgkmcnt(0)
	v_add_co_u32 v11, vcc_lo, s0, v11
	v_add_co_ci_u32_e64 v12, null, s1, v12, vcc_lo
	global_load_dwordx2 v[11:12], v[11:12], off
	s_waitcnt vmcnt(0)
	v_subrev_nc_u32_e32 v22, s8, v12
	v_add_nc_u32_e32 v11, v11, v13
	v_cmpx_lt_i32_e64 v11, v22
	s_cbranch_execz .LBB293_8
; %bb.5:
	s_clause 0x1
	s_load_dwordx4 s[0:3], s[4:5], 0x20
	s_load_dwordx2 s[4:5], s[4:5], 0x30
	v_mad_u64_u32 v[13:14], null, v11, 15, 14
	v_mov_b32_e32 v18, 0
	v_mov_b32_e32 v20, 0
	;; [unrolled: 1-line block ×5, first 2 shown]
	s_mov_b32 s10, 0
.LBB293_6:                              ; =>This Inner Loop Header: Depth=1
	v_ashrrev_i32_e32 v12, 31, v11
	v_add_nc_u32_e32 v14, -14, v13
	v_lshlrev_b64 v[16:17], 2, v[11:12]
	v_lshlrev_b64 v[23:24], 4, v[14:15]
	v_add_nc_u32_e32 v14, -13, v13
	v_add_nc_u32_e32 v11, 4, v11
	s_waitcnt lgkmcnt(0)
	v_add_co_u32 v16, vcc_lo, s0, v16
	v_add_co_ci_u32_e64 v17, null, s1, v17, vcc_lo
	v_lshlrev_b64 v[25:26], 4, v[14:15]
	v_add_co_u32 v23, vcc_lo, s2, v23
	global_load_dword v12, v[16:17], off
	v_mov_b32_e32 v17, v15
	v_add_co_ci_u32_e64 v24, null, s3, v24, vcc_lo
	v_add_co_u32 v27, vcc_lo, s2, v25
	v_add_co_ci_u32_e64 v28, null, s3, v26, vcc_lo
	s_clause 0x1
	global_load_dwordx4 v[23:26], v[23:24], off
	global_load_dwordx4 v[27:30], v[27:28], off
	s_waitcnt vmcnt(2)
	v_subrev_nc_u32_e32 v12, s8, v12
	v_mul_lo_u32 v16, v12, 15
	v_lshlrev_b64 v[31:32], 4, v[16:17]
	v_add_nc_u32_e32 v14, 1, v16
	v_lshlrev_b64 v[35:36], 4, v[14:15]
	v_add_co_u32 v31, vcc_lo, s4, v31
	v_add_co_ci_u32_e64 v32, null, s5, v32, vcc_lo
	v_add_nc_u32_e32 v14, -12, v13
	v_add_co_u32 v35, vcc_lo, s4, v35
	global_load_dwordx4 v[31:34], v[31:32], off
	v_add_co_ci_u32_e64 v36, null, s5, v36, vcc_lo
	v_lshlrev_b64 v[39:40], 4, v[14:15]
	v_add_nc_u32_e32 v14, 2, v16
	global_load_dwordx4 v[35:38], v[35:36], off
	v_lshlrev_b64 v[41:42], 4, v[14:15]
	v_add_co_u32 v39, vcc_lo, s2, v39
	v_add_co_ci_u32_e64 v40, null, s3, v40, vcc_lo
	v_add_nc_u32_e32 v14, -11, v13
	v_add_co_u32 v43, vcc_lo, s4, v41
	v_add_co_ci_u32_e64 v44, null, s5, v42, vcc_lo
	global_load_dwordx4 v[39:42], v[39:40], off
	v_lshlrev_b64 v[47:48], 4, v[14:15]
	v_add_nc_u32_e32 v14, 3, v16
	global_load_dwordx4 v[43:46], v[43:44], off
	v_lshlrev_b64 v[49:50], 4, v[14:15]
	v_add_co_u32 v47, vcc_lo, s2, v47
	v_add_co_ci_u32_e64 v48, null, s3, v48, vcc_lo
	v_add_nc_u32_e32 v14, -10, v13
	v_add_co_u32 v51, vcc_lo, s4, v49
	v_add_co_ci_u32_e64 v52, null, s5, v50, vcc_lo
	global_load_dwordx4 v[47:50], v[47:48], off
	;; [unrolled: 10-line block ×3, first 2 shown]
	v_lshlrev_b64 v[63:64], 4, v[14:15]
	v_add_nc_u32_e32 v14, 5, v16
	global_load_dwordx4 v[59:62], v[59:60], off
	v_lshlrev_b64 v[65:66], 4, v[14:15]
	v_add_co_u32 v63, vcc_lo, s2, v63
	v_add_co_ci_u32_e64 v64, null, s3, v64, vcc_lo
	v_add_nc_u32_e32 v14, -8, v13
	v_add_co_u32 v65, vcc_lo, s4, v65
	v_add_co_ci_u32_e64 v66, null, s5, v66, vcc_lo
	v_lshlrev_b64 v[67:68], 4, v[14:15]
	v_add_nc_u32_e32 v14, 6, v16
	s_waitcnt vmcnt(7)
	v_fma_f64 v[20:21], v[23:24], v[31:32], v[20:21]
	v_fma_f64 v[17:18], v[25:26], v[31:32], v[18:19]
	v_fma_f64 v[31:32], -v[25:26], v[33:34], v[20:21]
	v_fma_f64 v[33:34], v[23:24], v[33:34], v[17:18]
	global_load_dwordx4 v[17:20], v[63:64], off
	global_load_dwordx4 v[23:26], v[65:66], off
	v_lshlrev_b64 v[63:64], 4, v[14:15]
	v_add_co_u32 v65, vcc_lo, s2, v67
	v_add_co_ci_u32_e64 v66, null, s3, v68, vcc_lo
	v_add_nc_u32_e32 v14, -7, v13
	v_add_co_u32 v63, vcc_lo, s4, v63
	v_add_co_ci_u32_e64 v64, null, s5, v64, vcc_lo
	v_lshlrev_b64 v[67:68], 4, v[14:15]
	v_add_nc_u32_e32 v14, 7, v16
	s_waitcnt vmcnt(8)
	v_fma_f64 v[31:32], v[27:28], v[35:36], v[31:32]
	v_fma_f64 v[33:34], v[29:30], v[35:36], v[33:34]
	v_fma_f64 v[35:36], -v[29:30], v[37:38], v[31:32]
	v_fma_f64 v[37:38], v[27:28], v[37:38], v[33:34]
	global_load_dwordx4 v[27:30], v[65:66], off
	global_load_dwordx4 v[31:34], v[63:64], off
	v_add_co_u32 v63, vcc_lo, s2, v67
	v_add_co_ci_u32_e64 v64, null, s3, v68, vcc_lo
	s_waitcnt vmcnt(8)
	v_fma_f64 v[35:36], v[39:40], v[43:44], v[35:36]
	v_fma_f64 v[37:38], v[41:42], v[43:44], v[37:38]
	v_fma_f64 v[43:44], -v[41:42], v[45:46], v[35:36]
	v_fma_f64 v[45:46], v[39:40], v[45:46], v[37:38]
	global_load_dwordx4 v[35:38], v[63:64], off
	v_lshlrev_b64 v[65:66], 4, v[14:15]
	v_add_nc_u32_e32 v14, -6, v13
	v_add_co_u32 v65, vcc_lo, s4, v65
	v_add_co_ci_u32_e64 v66, null, s5, v66, vcc_lo
	v_lshlrev_b64 v[67:68], 4, v[14:15]
	v_add_nc_u32_e32 v14, 8, v16
	global_load_dwordx4 v[39:42], v[65:66], off
	v_lshlrev_b64 v[63:64], 4, v[14:15]
	v_add_co_u32 v65, vcc_lo, s2, v67
	s_waitcnt vmcnt(8)
	v_fma_f64 v[43:44], v[47:48], v[51:52], v[43:44]
	v_fma_f64 v[45:46], v[49:50], v[51:52], v[45:46]
	v_add_co_ci_u32_e64 v66, null, s3, v68, vcc_lo
	v_add_co_u32 v63, vcc_lo, s4, v63
	v_add_co_ci_u32_e64 v64, null, s5, v64, vcc_lo
	v_add_nc_u32_e32 v14, -5, v13
	v_lshlrev_b64 v[67:68], 4, v[14:15]
	v_add_nc_u32_e32 v14, 9, v16
	v_fma_f64 v[51:52], -v[49:50], v[53:54], v[43:44]
	v_fma_f64 v[53:54], v[47:48], v[53:54], v[45:46]
	global_load_dwordx4 v[43:46], v[65:66], off
	global_load_dwordx4 v[47:50], v[63:64], off
	v_lshlrev_b64 v[63:64], 4, v[14:15]
	v_add_co_u32 v65, vcc_lo, s2, v67
	v_add_co_ci_u32_e64 v66, null, s3, v68, vcc_lo
	v_add_nc_u32_e32 v14, -4, v13
	v_add_co_u32 v63, vcc_lo, s4, v63
	v_add_co_ci_u32_e64 v64, null, s5, v64, vcc_lo
	v_lshlrev_b64 v[67:68], 4, v[14:15]
	v_add_nc_u32_e32 v14, 10, v16
	s_waitcnt vmcnt(8)
	v_fma_f64 v[51:52], v[55:56], v[59:60], v[51:52]
	v_fma_f64 v[53:54], v[57:58], v[59:60], v[53:54]
	v_fma_f64 v[59:60], -v[57:58], v[61:62], v[51:52]
	v_fma_f64 v[61:62], v[55:56], v[61:62], v[53:54]
	global_load_dwordx4 v[51:54], v[65:66], off
	global_load_dwordx4 v[55:58], v[63:64], off
	v_lshlrev_b64 v[63:64], 4, v[14:15]
	v_add_co_u32 v65, vcc_lo, s2, v67
	v_add_co_ci_u32_e64 v66, null, s3, v68, vcc_lo
	v_add_nc_u32_e32 v14, -3, v13
	v_add_co_u32 v63, vcc_lo, s4, v63
	v_add_co_ci_u32_e64 v64, null, s5, v64, vcc_lo
	v_lshlrev_b64 v[67:68], 4, v[14:15]
	v_add_nc_u32_e32 v14, 11, v16
	s_waitcnt vmcnt(8)
	v_fma_f64 v[59:60], v[17:18], v[23:24], v[59:60]
	v_fma_f64 v[23:24], v[19:20], v[23:24], v[61:62]
	v_add_co_u32 v61, vcc_lo, s2, v67
	v_add_co_ci_u32_e64 v62, null, s3, v68, vcc_lo
	v_fma_f64 v[69:70], -v[19:20], v[25:26], v[59:60]
	v_fma_f64 v[71:72], v[17:18], v[25:26], v[23:24]
	global_load_dwordx4 v[17:20], v[65:66], off
	global_load_dwordx4 v[23:26], v[63:64], off
	v_lshlrev_b64 v[59:60], 4, v[14:15]
	v_add_nc_u32_e32 v14, -2, v13
	v_add_co_u32 v63, vcc_lo, s4, v59
	v_add_co_ci_u32_e64 v64, null, s5, v60, vcc_lo
	global_load_dwordx4 v[59:62], v[61:62], off
	s_waitcnt vmcnt(9)
	v_fma_f64 v[65:66], v[27:28], v[31:32], v[69:70]
	v_fma_f64 v[31:32], v[29:30], v[31:32], v[71:72]
	v_fma_f64 v[65:66], -v[29:30], v[33:34], v[65:66]
	v_fma_f64 v[67:68], v[27:28], v[33:34], v[31:32]
	global_load_dwordx4 v[27:30], v[63:64], off
	v_lshlrev_b64 v[31:32], 4, v[14:15]
	v_add_nc_u32_e32 v14, 12, v16
	v_lshlrev_b64 v[33:34], 4, v[14:15]
	v_add_co_u32 v31, vcc_lo, s2, v31
	v_add_co_ci_u32_e64 v32, null, s3, v32, vcc_lo
	v_add_nc_u32_e32 v14, -1, v13
	v_add_co_u32 v63, vcc_lo, s4, v33
	v_add_co_ci_u32_e64 v64, null, s5, v34, vcc_lo
	global_load_dwordx4 v[31:34], v[31:32], off
	s_waitcnt vmcnt(9)
	v_fma_f64 v[65:66], v[35:36], v[39:40], v[65:66]
	v_fma_f64 v[39:40], v[37:38], v[39:40], v[67:68]
	v_fma_f64 v[65:66], -v[37:38], v[41:42], v[65:66]
	v_fma_f64 v[67:68], v[35:36], v[41:42], v[39:40]
	global_load_dwordx4 v[35:38], v[63:64], off
	v_lshlrev_b64 v[39:40], 4, v[14:15]
	v_add_nc_u32_e32 v14, 13, v16
	v_lshlrev_b64 v[41:42], 4, v[14:15]
	v_add_co_u32 v39, vcc_lo, s2, v39
	v_add_co_ci_u32_e64 v40, null, s3, v40, vcc_lo
	v_mov_b32_e32 v14, v15
	v_add_co_u32 v63, vcc_lo, s4, v41
	v_add_co_ci_u32_e64 v64, null, s5, v42, vcc_lo
	global_load_dwordx4 v[39:42], v[39:40], off
	s_waitcnt vmcnt(9)
	v_fma_f64 v[65:66], v[43:44], v[47:48], v[65:66]
	v_fma_f64 v[47:48], v[45:46], v[47:48], v[67:68]
	v_fma_f64 v[67:68], -v[45:46], v[49:50], v[65:66]
	v_fma_f64 v[69:70], v[43:44], v[49:50], v[47:48]
	global_load_dwordx4 v[43:46], v[63:64], off
	v_lshlrev_b64 v[47:48], 4, v[13:14]
	v_add_nc_u32_e32 v14, 14, v16
	v_add_nc_u32_e32 v13, 60, v13
	v_lshlrev_b64 v[49:50], 4, v[14:15]
	v_add_co_u32 v47, vcc_lo, s2, v47
	v_add_co_ci_u32_e64 v48, null, s3, v48, vcc_lo
	v_add_co_u32 v63, vcc_lo, s4, v49
	v_add_co_ci_u32_e64 v64, null, s5, v50, vcc_lo
	global_load_dwordx4 v[47:50], v[47:48], off
	global_load_dwordx4 v[63:66], v[63:64], off
	s_waitcnt vmcnt(10)
	v_fma_f64 v[67:68], v[51:52], v[55:56], v[67:68]
	v_fma_f64 v[55:56], v[53:54], v[55:56], v[69:70]
	v_cmp_ge_i32_e32 vcc_lo, v11, v22
	s_or_b32 s10, vcc_lo, s10
	v_fma_f64 v[53:54], -v[53:54], v[57:58], v[67:68]
	v_fma_f64 v[51:52], v[51:52], v[57:58], v[55:56]
	s_waitcnt vmcnt(8)
	v_fma_f64 v[53:54], v[17:18], v[23:24], v[53:54]
	v_fma_f64 v[23:24], v[19:20], v[23:24], v[51:52]
	v_fma_f64 v[19:20], -v[19:20], v[25:26], v[53:54]
	v_fma_f64 v[16:17], v[17:18], v[25:26], v[23:24]
	s_waitcnt vmcnt(6)
	v_fma_f64 v[18:19], v[59:60], v[27:28], v[19:20]
	v_fma_f64 v[16:17], v[61:62], v[27:28], v[16:17]
	;; [unrolled: 5-line block ×5, first 2 shown]
	v_fma_f64 v[20:21], -v[49:50], v[65:66], v[18:19]
	v_fma_f64 v[18:19], v[47:48], v[65:66], v[16:17]
	s_andn2_b32 exec_lo, exec_lo, s10
	s_cbranch_execnz .LBB293_6
; %bb.7:
	s_or_b32 exec_lo, exec_lo, s10
.LBB293_8:
	s_or_b32 exec_lo, exec_lo, s9
	v_mbcnt_lo_u32_b32 v15, -1, 0
	v_xor_b32_e32 v11, 2, v15
	v_xor_b32_e32 v16, 1, v15
	v_cmp_gt_i32_e32 vcc_lo, 32, v11
	v_cndmask_b32_e32 v11, v15, v11, vcc_lo
	v_cmp_gt_i32_e32 vcc_lo, 32, v16
	v_lshlrev_b32_e32 v14, 2, v11
	v_cndmask_b32_e32 v15, v15, v16, vcc_lo
	v_cmp_eq_u32_e32 vcc_lo, 3, v0
	ds_bpermute_b32 v11, v14, v20
	ds_bpermute_b32 v12, v14, v21
	;; [unrolled: 1-line block ×4, first 2 shown]
	s_waitcnt lgkmcnt(2)
	v_add_f64 v[11:12], v[20:21], v[11:12]
	s_waitcnt lgkmcnt(0)
	v_add_f64 v[13:14], v[18:19], v[13:14]
	v_lshlrev_b32_e32 v18, 2, v15
	ds_bpermute_b32 v15, v18, v11
	ds_bpermute_b32 v16, v18, v12
	;; [unrolled: 1-line block ×4, first 2 shown]
	s_and_b32 exec_lo, exec_lo, vcc_lo
	s_cbranch_execz .LBB293_13
; %bb.9:
	s_waitcnt lgkmcnt(0)
	v_add_f64 v[13:14], v[13:14], v[17:18]
	v_add_f64 v[11:12], v[11:12], v[15:16]
	v_cmp_eq_f64_e32 vcc_lo, 0, v[1:2]
	v_cmp_eq_f64_e64 s0, 0, v[3:4]
	v_lshlrev_b64 v[9:10], 4, v[9:10]
	v_mul_f64 v[15:16], v[13:14], -v[7:8]
	v_mul_f64 v[13:14], v[5:6], v[13:14]
	s_and_b32 s0, vcc_lo, s0
	v_fma_f64 v[5:6], v[5:6], v[11:12], v[15:16]
	v_fma_f64 v[7:8], v[7:8], v[11:12], v[13:14]
	s_and_saveexec_b32 s1, s0
	s_xor_b32 s0, exec_lo, s1
	s_cbranch_execz .LBB293_11
; %bb.10:
	v_add_co_u32 v0, vcc_lo, s6, v9
	v_add_co_ci_u32_e64 v1, null, s7, v10, vcc_lo
                                        ; implicit-def: $vgpr9_vgpr10
	global_store_dwordx4 v[0:1], v[5:8], off
                                        ; implicit-def: $vgpr1_vgpr2
                                        ; implicit-def: $vgpr5_vgpr6
.LBB293_11:
	s_andn2_saveexec_b32 s0, s0
	s_cbranch_execz .LBB293_13
; %bb.12:
	v_add_co_u32 v13, vcc_lo, s6, v9
	v_add_co_ci_u32_e64 v14, null, s7, v10, vcc_lo
	global_load_dwordx4 v[9:12], v[13:14], off
	s_waitcnt vmcnt(0)
	v_fma_f64 v[5:6], v[1:2], v[9:10], v[5:6]
	v_fma_f64 v[7:8], v[3:4], v[9:10], v[7:8]
	v_fma_f64 v[3:4], -v[3:4], v[11:12], v[5:6]
	v_fma_f64 v[5:6], v[1:2], v[11:12], v[7:8]
	global_store_dwordx4 v[13:14], v[3:6], off
.LBB293_13:
	s_endpgm
	.section	.rodata,"a",@progbits
	.p2align	6, 0x0
	.amdhsa_kernel _ZN9rocsparseL19gebsrmvn_1xn_kernelILj128ELj15ELj4E21rocsparse_complex_numIdEEEvi20rocsparse_direction_NS_24const_host_device_scalarIT2_EEPKiS8_PKS5_SA_S6_PS5_21rocsparse_index_base_b
		.amdhsa_group_segment_fixed_size 0
		.amdhsa_private_segment_fixed_size 0
		.amdhsa_kernarg_size 88
		.amdhsa_user_sgpr_count 6
		.amdhsa_user_sgpr_private_segment_buffer 1
		.amdhsa_user_sgpr_dispatch_ptr 0
		.amdhsa_user_sgpr_queue_ptr 0
		.amdhsa_user_sgpr_kernarg_segment_ptr 1
		.amdhsa_user_sgpr_dispatch_id 0
		.amdhsa_user_sgpr_flat_scratch_init 0
		.amdhsa_user_sgpr_private_segment_size 0
		.amdhsa_wavefront_size32 1
		.amdhsa_uses_dynamic_stack 0
		.amdhsa_system_sgpr_private_segment_wavefront_offset 0
		.amdhsa_system_sgpr_workgroup_id_x 1
		.amdhsa_system_sgpr_workgroup_id_y 0
		.amdhsa_system_sgpr_workgroup_id_z 0
		.amdhsa_system_sgpr_workgroup_info 0
		.amdhsa_system_vgpr_workitem_id 0
		.amdhsa_next_free_vgpr 73
		.amdhsa_next_free_sgpr 13
		.amdhsa_reserve_vcc 1
		.amdhsa_reserve_flat_scratch 0
		.amdhsa_float_round_mode_32 0
		.amdhsa_float_round_mode_16_64 0
		.amdhsa_float_denorm_mode_32 3
		.amdhsa_float_denorm_mode_16_64 3
		.amdhsa_dx10_clamp 1
		.amdhsa_ieee_mode 1
		.amdhsa_fp16_overflow 0
		.amdhsa_workgroup_processor_mode 1
		.amdhsa_memory_ordered 1
		.amdhsa_forward_progress 1
		.amdhsa_shared_vgpr_count 0
		.amdhsa_exception_fp_ieee_invalid_op 0
		.amdhsa_exception_fp_denorm_src 0
		.amdhsa_exception_fp_ieee_div_zero 0
		.amdhsa_exception_fp_ieee_overflow 0
		.amdhsa_exception_fp_ieee_underflow 0
		.amdhsa_exception_fp_ieee_inexact 0
		.amdhsa_exception_int_div_zero 0
	.end_amdhsa_kernel
	.section	.text._ZN9rocsparseL19gebsrmvn_1xn_kernelILj128ELj15ELj4E21rocsparse_complex_numIdEEEvi20rocsparse_direction_NS_24const_host_device_scalarIT2_EEPKiS8_PKS5_SA_S6_PS5_21rocsparse_index_base_b,"axG",@progbits,_ZN9rocsparseL19gebsrmvn_1xn_kernelILj128ELj15ELj4E21rocsparse_complex_numIdEEEvi20rocsparse_direction_NS_24const_host_device_scalarIT2_EEPKiS8_PKS5_SA_S6_PS5_21rocsparse_index_base_b,comdat
.Lfunc_end293:
	.size	_ZN9rocsparseL19gebsrmvn_1xn_kernelILj128ELj15ELj4E21rocsparse_complex_numIdEEEvi20rocsparse_direction_NS_24const_host_device_scalarIT2_EEPKiS8_PKS5_SA_S6_PS5_21rocsparse_index_base_b, .Lfunc_end293-_ZN9rocsparseL19gebsrmvn_1xn_kernelILj128ELj15ELj4E21rocsparse_complex_numIdEEEvi20rocsparse_direction_NS_24const_host_device_scalarIT2_EEPKiS8_PKS5_SA_S6_PS5_21rocsparse_index_base_b
                                        ; -- End function
	.set _ZN9rocsparseL19gebsrmvn_1xn_kernelILj128ELj15ELj4E21rocsparse_complex_numIdEEEvi20rocsparse_direction_NS_24const_host_device_scalarIT2_EEPKiS8_PKS5_SA_S6_PS5_21rocsparse_index_base_b.num_vgpr, 73
	.set _ZN9rocsparseL19gebsrmvn_1xn_kernelILj128ELj15ELj4E21rocsparse_complex_numIdEEEvi20rocsparse_direction_NS_24const_host_device_scalarIT2_EEPKiS8_PKS5_SA_S6_PS5_21rocsparse_index_base_b.num_agpr, 0
	.set _ZN9rocsparseL19gebsrmvn_1xn_kernelILj128ELj15ELj4E21rocsparse_complex_numIdEEEvi20rocsparse_direction_NS_24const_host_device_scalarIT2_EEPKiS8_PKS5_SA_S6_PS5_21rocsparse_index_base_b.numbered_sgpr, 13
	.set _ZN9rocsparseL19gebsrmvn_1xn_kernelILj128ELj15ELj4E21rocsparse_complex_numIdEEEvi20rocsparse_direction_NS_24const_host_device_scalarIT2_EEPKiS8_PKS5_SA_S6_PS5_21rocsparse_index_base_b.num_named_barrier, 0
	.set _ZN9rocsparseL19gebsrmvn_1xn_kernelILj128ELj15ELj4E21rocsparse_complex_numIdEEEvi20rocsparse_direction_NS_24const_host_device_scalarIT2_EEPKiS8_PKS5_SA_S6_PS5_21rocsparse_index_base_b.private_seg_size, 0
	.set _ZN9rocsparseL19gebsrmvn_1xn_kernelILj128ELj15ELj4E21rocsparse_complex_numIdEEEvi20rocsparse_direction_NS_24const_host_device_scalarIT2_EEPKiS8_PKS5_SA_S6_PS5_21rocsparse_index_base_b.uses_vcc, 1
	.set _ZN9rocsparseL19gebsrmvn_1xn_kernelILj128ELj15ELj4E21rocsparse_complex_numIdEEEvi20rocsparse_direction_NS_24const_host_device_scalarIT2_EEPKiS8_PKS5_SA_S6_PS5_21rocsparse_index_base_b.uses_flat_scratch, 0
	.set _ZN9rocsparseL19gebsrmvn_1xn_kernelILj128ELj15ELj4E21rocsparse_complex_numIdEEEvi20rocsparse_direction_NS_24const_host_device_scalarIT2_EEPKiS8_PKS5_SA_S6_PS5_21rocsparse_index_base_b.has_dyn_sized_stack, 0
	.set _ZN9rocsparseL19gebsrmvn_1xn_kernelILj128ELj15ELj4E21rocsparse_complex_numIdEEEvi20rocsparse_direction_NS_24const_host_device_scalarIT2_EEPKiS8_PKS5_SA_S6_PS5_21rocsparse_index_base_b.has_recursion, 0
	.set _ZN9rocsparseL19gebsrmvn_1xn_kernelILj128ELj15ELj4E21rocsparse_complex_numIdEEEvi20rocsparse_direction_NS_24const_host_device_scalarIT2_EEPKiS8_PKS5_SA_S6_PS5_21rocsparse_index_base_b.has_indirect_call, 0
	.section	.AMDGPU.csdata,"",@progbits
; Kernel info:
; codeLenInByte = 2412
; TotalNumSgprs: 15
; NumVgprs: 73
; ScratchSize: 0
; MemoryBound: 0
; FloatMode: 240
; IeeeMode: 1
; LDSByteSize: 0 bytes/workgroup (compile time only)
; SGPRBlocks: 0
; VGPRBlocks: 9
; NumSGPRsForWavesPerEU: 15
; NumVGPRsForWavesPerEU: 73
; Occupancy: 12
; WaveLimiterHint : 1
; COMPUTE_PGM_RSRC2:SCRATCH_EN: 0
; COMPUTE_PGM_RSRC2:USER_SGPR: 6
; COMPUTE_PGM_RSRC2:TRAP_HANDLER: 0
; COMPUTE_PGM_RSRC2:TGID_X_EN: 1
; COMPUTE_PGM_RSRC2:TGID_Y_EN: 0
; COMPUTE_PGM_RSRC2:TGID_Z_EN: 0
; COMPUTE_PGM_RSRC2:TIDIG_COMP_CNT: 0
	.section	.text._ZN9rocsparseL19gebsrmvn_1xn_kernelILj128ELj15ELj8E21rocsparse_complex_numIdEEEvi20rocsparse_direction_NS_24const_host_device_scalarIT2_EEPKiS8_PKS5_SA_S6_PS5_21rocsparse_index_base_b,"axG",@progbits,_ZN9rocsparseL19gebsrmvn_1xn_kernelILj128ELj15ELj8E21rocsparse_complex_numIdEEEvi20rocsparse_direction_NS_24const_host_device_scalarIT2_EEPKiS8_PKS5_SA_S6_PS5_21rocsparse_index_base_b,comdat
	.globl	_ZN9rocsparseL19gebsrmvn_1xn_kernelILj128ELj15ELj8E21rocsparse_complex_numIdEEEvi20rocsparse_direction_NS_24const_host_device_scalarIT2_EEPKiS8_PKS5_SA_S6_PS5_21rocsparse_index_base_b ; -- Begin function _ZN9rocsparseL19gebsrmvn_1xn_kernelILj128ELj15ELj8E21rocsparse_complex_numIdEEEvi20rocsparse_direction_NS_24const_host_device_scalarIT2_EEPKiS8_PKS5_SA_S6_PS5_21rocsparse_index_base_b
	.p2align	8
	.type	_ZN9rocsparseL19gebsrmvn_1xn_kernelILj128ELj15ELj8E21rocsparse_complex_numIdEEEvi20rocsparse_direction_NS_24const_host_device_scalarIT2_EEPKiS8_PKS5_SA_S6_PS5_21rocsparse_index_base_b,@function
_ZN9rocsparseL19gebsrmvn_1xn_kernelILj128ELj15ELj8E21rocsparse_complex_numIdEEEvi20rocsparse_direction_NS_24const_host_device_scalarIT2_EEPKiS8_PKS5_SA_S6_PS5_21rocsparse_index_base_b: ; @_ZN9rocsparseL19gebsrmvn_1xn_kernelILj128ELj15ELj8E21rocsparse_complex_numIdEEEvi20rocsparse_direction_NS_24const_host_device_scalarIT2_EEPKiS8_PKS5_SA_S6_PS5_21rocsparse_index_base_b
; %bb.0:
	s_clause 0x1
	s_load_dwordx2 s[8:9], s[4:5], 0x50
	s_load_dwordx2 s[0:1], s[4:5], 0x8
	s_add_u32 s7, s4, 8
	s_addc_u32 s10, s5, 0
	s_add_u32 s11, s4, 56
	s_addc_u32 s12, s5, 0
	s_load_dwordx2 s[2:3], s[4:5], 0x38
	s_waitcnt lgkmcnt(0)
	s_bitcmp1_b32 s9, 0
	s_cselect_b32 s0, s7, s0
	s_cselect_b32 s1, s10, s1
	v_mov_b32_e32 v1, s0
	v_mov_b32_e32 v2, s1
	s_cselect_b32 s0, s11, s2
	s_cselect_b32 s1, s12, s3
	flat_load_dwordx4 v[5:8], v[1:2]
	v_mov_b32_e32 v1, s0
	v_mov_b32_e32 v2, s1
	flat_load_dwordx4 v[1:4], v[1:2]
	s_waitcnt vmcnt(1) lgkmcnt(1)
	v_cmp_eq_f64_e32 vcc_lo, 0, v[5:6]
	v_cmp_eq_f64_e64 s0, 0, v[7:8]
	s_and_b32 s2, vcc_lo, s0
	s_mov_b32 s0, -1
	s_and_saveexec_b32 s1, s2
	s_cbranch_execz .LBB294_2
; %bb.1:
	s_waitcnt vmcnt(0) lgkmcnt(0)
	v_cmp_neq_f64_e32 vcc_lo, 1.0, v[1:2]
	v_cmp_neq_f64_e64 s0, 0, v[3:4]
	s_or_b32 s0, vcc_lo, s0
	s_orn2_b32 s0, s0, exec_lo
.LBB294_2:
	s_or_b32 exec_lo, exec_lo, s1
	s_and_saveexec_b32 s1, s0
	s_cbranch_execz .LBB294_13
; %bb.3:
	s_load_dword s0, s[4:5], 0x0
	v_lshrrev_b32_e32 v9, 3, v0
	v_lshl_or_b32 v9, s6, 4, v9
	s_waitcnt lgkmcnt(0)
	v_cmp_gt_i32_e32 vcc_lo, s0, v9
	s_and_b32 exec_lo, exec_lo, vcc_lo
	s_cbranch_execz .LBB294_13
; %bb.4:
	s_clause 0x1
	s_load_dwordx2 s[0:1], s[4:5], 0x18
	s_load_dwordx2 s[6:7], s[4:5], 0x48
	v_ashrrev_i32_e32 v10, 31, v9
	v_and_b32_e32 v0, 7, v0
	v_mov_b32_e32 v18, 0
	v_mov_b32_e32 v20, 0
	;; [unrolled: 1-line block ×3, first 2 shown]
	v_lshlrev_b64 v[11:12], 2, v[9:10]
	v_subrev_nc_u32_e32 v13, s8, v0
	v_mov_b32_e32 v21, 0
	s_mov_b32 s9, exec_lo
	s_waitcnt lgkmcnt(0)
	v_add_co_u32 v11, vcc_lo, s0, v11
	v_add_co_ci_u32_e64 v12, null, s1, v12, vcc_lo
	global_load_dwordx2 v[11:12], v[11:12], off
	s_waitcnt vmcnt(0)
	v_subrev_nc_u32_e32 v22, s8, v12
	v_add_nc_u32_e32 v11, v11, v13
	v_cmpx_lt_i32_e64 v11, v22
	s_cbranch_execz .LBB294_8
; %bb.5:
	s_clause 0x1
	s_load_dwordx4 s[0:3], s[4:5], 0x20
	s_load_dwordx2 s[4:5], s[4:5], 0x30
	v_mad_u64_u32 v[13:14], null, v11, 15, 14
	v_mov_b32_e32 v18, 0
	v_mov_b32_e32 v20, 0
	;; [unrolled: 1-line block ×5, first 2 shown]
	s_mov_b32 s10, 0
.LBB294_6:                              ; =>This Inner Loop Header: Depth=1
	v_ashrrev_i32_e32 v12, 31, v11
	v_add_nc_u32_e32 v14, -14, v13
	v_lshlrev_b64 v[16:17], 2, v[11:12]
	v_lshlrev_b64 v[23:24], 4, v[14:15]
	v_add_nc_u32_e32 v14, -13, v13
	v_add_nc_u32_e32 v11, 8, v11
	s_waitcnt lgkmcnt(0)
	v_add_co_u32 v16, vcc_lo, s0, v16
	v_add_co_ci_u32_e64 v17, null, s1, v17, vcc_lo
	v_lshlrev_b64 v[25:26], 4, v[14:15]
	v_add_co_u32 v23, vcc_lo, s2, v23
	global_load_dword v12, v[16:17], off
	v_mov_b32_e32 v17, v15
	v_add_co_ci_u32_e64 v24, null, s3, v24, vcc_lo
	v_add_co_u32 v27, vcc_lo, s2, v25
	v_add_co_ci_u32_e64 v28, null, s3, v26, vcc_lo
	s_clause 0x1
	global_load_dwordx4 v[23:26], v[23:24], off
	global_load_dwordx4 v[27:30], v[27:28], off
	s_waitcnt vmcnt(2)
	v_subrev_nc_u32_e32 v12, s8, v12
	v_mul_lo_u32 v16, v12, 15
	v_lshlrev_b64 v[31:32], 4, v[16:17]
	v_add_nc_u32_e32 v14, 1, v16
	v_lshlrev_b64 v[35:36], 4, v[14:15]
	v_add_co_u32 v31, vcc_lo, s4, v31
	v_add_co_ci_u32_e64 v32, null, s5, v32, vcc_lo
	v_add_nc_u32_e32 v14, -12, v13
	v_add_co_u32 v35, vcc_lo, s4, v35
	global_load_dwordx4 v[31:34], v[31:32], off
	v_add_co_ci_u32_e64 v36, null, s5, v36, vcc_lo
	v_lshlrev_b64 v[39:40], 4, v[14:15]
	v_add_nc_u32_e32 v14, 2, v16
	global_load_dwordx4 v[35:38], v[35:36], off
	v_lshlrev_b64 v[41:42], 4, v[14:15]
	v_add_co_u32 v39, vcc_lo, s2, v39
	v_add_co_ci_u32_e64 v40, null, s3, v40, vcc_lo
	v_add_nc_u32_e32 v14, -11, v13
	v_add_co_u32 v43, vcc_lo, s4, v41
	v_add_co_ci_u32_e64 v44, null, s5, v42, vcc_lo
	global_load_dwordx4 v[39:42], v[39:40], off
	v_lshlrev_b64 v[47:48], 4, v[14:15]
	v_add_nc_u32_e32 v14, 3, v16
	global_load_dwordx4 v[43:46], v[43:44], off
	v_lshlrev_b64 v[49:50], 4, v[14:15]
	v_add_co_u32 v47, vcc_lo, s2, v47
	v_add_co_ci_u32_e64 v48, null, s3, v48, vcc_lo
	v_add_nc_u32_e32 v14, -10, v13
	v_add_co_u32 v51, vcc_lo, s4, v49
	v_add_co_ci_u32_e64 v52, null, s5, v50, vcc_lo
	global_load_dwordx4 v[47:50], v[47:48], off
	;; [unrolled: 10-line block ×3, first 2 shown]
	v_lshlrev_b64 v[63:64], 4, v[14:15]
	v_add_nc_u32_e32 v14, 5, v16
	global_load_dwordx4 v[59:62], v[59:60], off
	v_lshlrev_b64 v[65:66], 4, v[14:15]
	v_add_co_u32 v63, vcc_lo, s2, v63
	v_add_co_ci_u32_e64 v64, null, s3, v64, vcc_lo
	v_add_nc_u32_e32 v14, -8, v13
	v_add_co_u32 v65, vcc_lo, s4, v65
	v_add_co_ci_u32_e64 v66, null, s5, v66, vcc_lo
	v_lshlrev_b64 v[67:68], 4, v[14:15]
	v_add_nc_u32_e32 v14, 6, v16
	s_waitcnt vmcnt(7)
	v_fma_f64 v[20:21], v[23:24], v[31:32], v[20:21]
	v_fma_f64 v[17:18], v[25:26], v[31:32], v[18:19]
	v_fma_f64 v[31:32], -v[25:26], v[33:34], v[20:21]
	v_fma_f64 v[33:34], v[23:24], v[33:34], v[17:18]
	global_load_dwordx4 v[17:20], v[63:64], off
	global_load_dwordx4 v[23:26], v[65:66], off
	v_lshlrev_b64 v[63:64], 4, v[14:15]
	v_add_co_u32 v65, vcc_lo, s2, v67
	v_add_co_ci_u32_e64 v66, null, s3, v68, vcc_lo
	v_add_nc_u32_e32 v14, -7, v13
	v_add_co_u32 v63, vcc_lo, s4, v63
	v_add_co_ci_u32_e64 v64, null, s5, v64, vcc_lo
	v_lshlrev_b64 v[67:68], 4, v[14:15]
	v_add_nc_u32_e32 v14, 7, v16
	s_waitcnt vmcnt(8)
	v_fma_f64 v[31:32], v[27:28], v[35:36], v[31:32]
	v_fma_f64 v[33:34], v[29:30], v[35:36], v[33:34]
	v_fma_f64 v[35:36], -v[29:30], v[37:38], v[31:32]
	v_fma_f64 v[37:38], v[27:28], v[37:38], v[33:34]
	global_load_dwordx4 v[27:30], v[65:66], off
	global_load_dwordx4 v[31:34], v[63:64], off
	v_add_co_u32 v63, vcc_lo, s2, v67
	v_add_co_ci_u32_e64 v64, null, s3, v68, vcc_lo
	s_waitcnt vmcnt(8)
	v_fma_f64 v[35:36], v[39:40], v[43:44], v[35:36]
	v_fma_f64 v[37:38], v[41:42], v[43:44], v[37:38]
	v_fma_f64 v[43:44], -v[41:42], v[45:46], v[35:36]
	v_fma_f64 v[45:46], v[39:40], v[45:46], v[37:38]
	global_load_dwordx4 v[35:38], v[63:64], off
	v_lshlrev_b64 v[65:66], 4, v[14:15]
	v_add_nc_u32_e32 v14, -6, v13
	v_add_co_u32 v65, vcc_lo, s4, v65
	v_add_co_ci_u32_e64 v66, null, s5, v66, vcc_lo
	v_lshlrev_b64 v[67:68], 4, v[14:15]
	v_add_nc_u32_e32 v14, 8, v16
	global_load_dwordx4 v[39:42], v[65:66], off
	v_lshlrev_b64 v[63:64], 4, v[14:15]
	v_add_co_u32 v65, vcc_lo, s2, v67
	s_waitcnt vmcnt(8)
	v_fma_f64 v[43:44], v[47:48], v[51:52], v[43:44]
	v_fma_f64 v[45:46], v[49:50], v[51:52], v[45:46]
	v_add_co_ci_u32_e64 v66, null, s3, v68, vcc_lo
	v_add_co_u32 v63, vcc_lo, s4, v63
	v_add_co_ci_u32_e64 v64, null, s5, v64, vcc_lo
	v_add_nc_u32_e32 v14, -5, v13
	v_lshlrev_b64 v[67:68], 4, v[14:15]
	v_add_nc_u32_e32 v14, 9, v16
	v_fma_f64 v[51:52], -v[49:50], v[53:54], v[43:44]
	v_fma_f64 v[53:54], v[47:48], v[53:54], v[45:46]
	global_load_dwordx4 v[43:46], v[65:66], off
	global_load_dwordx4 v[47:50], v[63:64], off
	v_lshlrev_b64 v[63:64], 4, v[14:15]
	v_add_co_u32 v65, vcc_lo, s2, v67
	v_add_co_ci_u32_e64 v66, null, s3, v68, vcc_lo
	v_add_nc_u32_e32 v14, -4, v13
	v_add_co_u32 v63, vcc_lo, s4, v63
	v_add_co_ci_u32_e64 v64, null, s5, v64, vcc_lo
	v_lshlrev_b64 v[67:68], 4, v[14:15]
	v_add_nc_u32_e32 v14, 10, v16
	s_waitcnt vmcnt(8)
	v_fma_f64 v[51:52], v[55:56], v[59:60], v[51:52]
	v_fma_f64 v[53:54], v[57:58], v[59:60], v[53:54]
	v_fma_f64 v[59:60], -v[57:58], v[61:62], v[51:52]
	v_fma_f64 v[61:62], v[55:56], v[61:62], v[53:54]
	global_load_dwordx4 v[51:54], v[65:66], off
	global_load_dwordx4 v[55:58], v[63:64], off
	v_lshlrev_b64 v[63:64], 4, v[14:15]
	v_add_co_u32 v65, vcc_lo, s2, v67
	v_add_co_ci_u32_e64 v66, null, s3, v68, vcc_lo
	v_add_nc_u32_e32 v14, -3, v13
	v_add_co_u32 v63, vcc_lo, s4, v63
	v_add_co_ci_u32_e64 v64, null, s5, v64, vcc_lo
	v_lshlrev_b64 v[67:68], 4, v[14:15]
	v_add_nc_u32_e32 v14, 11, v16
	s_waitcnt vmcnt(8)
	v_fma_f64 v[59:60], v[17:18], v[23:24], v[59:60]
	v_fma_f64 v[23:24], v[19:20], v[23:24], v[61:62]
	v_add_co_u32 v61, vcc_lo, s2, v67
	v_add_co_ci_u32_e64 v62, null, s3, v68, vcc_lo
	v_fma_f64 v[69:70], -v[19:20], v[25:26], v[59:60]
	v_fma_f64 v[71:72], v[17:18], v[25:26], v[23:24]
	global_load_dwordx4 v[17:20], v[65:66], off
	global_load_dwordx4 v[23:26], v[63:64], off
	v_lshlrev_b64 v[59:60], 4, v[14:15]
	v_add_nc_u32_e32 v14, -2, v13
	v_add_co_u32 v63, vcc_lo, s4, v59
	v_add_co_ci_u32_e64 v64, null, s5, v60, vcc_lo
	global_load_dwordx4 v[59:62], v[61:62], off
	s_waitcnt vmcnt(9)
	v_fma_f64 v[65:66], v[27:28], v[31:32], v[69:70]
	v_fma_f64 v[31:32], v[29:30], v[31:32], v[71:72]
	v_fma_f64 v[65:66], -v[29:30], v[33:34], v[65:66]
	v_fma_f64 v[67:68], v[27:28], v[33:34], v[31:32]
	global_load_dwordx4 v[27:30], v[63:64], off
	v_lshlrev_b64 v[31:32], 4, v[14:15]
	v_add_nc_u32_e32 v14, 12, v16
	v_lshlrev_b64 v[33:34], 4, v[14:15]
	v_add_co_u32 v31, vcc_lo, s2, v31
	v_add_co_ci_u32_e64 v32, null, s3, v32, vcc_lo
	v_add_nc_u32_e32 v14, -1, v13
	v_add_co_u32 v63, vcc_lo, s4, v33
	v_add_co_ci_u32_e64 v64, null, s5, v34, vcc_lo
	global_load_dwordx4 v[31:34], v[31:32], off
	s_waitcnt vmcnt(9)
	v_fma_f64 v[65:66], v[35:36], v[39:40], v[65:66]
	v_fma_f64 v[39:40], v[37:38], v[39:40], v[67:68]
	v_fma_f64 v[65:66], -v[37:38], v[41:42], v[65:66]
	v_fma_f64 v[67:68], v[35:36], v[41:42], v[39:40]
	global_load_dwordx4 v[35:38], v[63:64], off
	v_lshlrev_b64 v[39:40], 4, v[14:15]
	v_add_nc_u32_e32 v14, 13, v16
	v_lshlrev_b64 v[41:42], 4, v[14:15]
	v_add_co_u32 v39, vcc_lo, s2, v39
	v_add_co_ci_u32_e64 v40, null, s3, v40, vcc_lo
	v_mov_b32_e32 v14, v15
	v_add_co_u32 v63, vcc_lo, s4, v41
	v_add_co_ci_u32_e64 v64, null, s5, v42, vcc_lo
	global_load_dwordx4 v[39:42], v[39:40], off
	s_waitcnt vmcnt(9)
	v_fma_f64 v[65:66], v[43:44], v[47:48], v[65:66]
	v_fma_f64 v[47:48], v[45:46], v[47:48], v[67:68]
	v_fma_f64 v[67:68], -v[45:46], v[49:50], v[65:66]
	v_fma_f64 v[69:70], v[43:44], v[49:50], v[47:48]
	global_load_dwordx4 v[43:46], v[63:64], off
	v_lshlrev_b64 v[47:48], 4, v[13:14]
	v_add_nc_u32_e32 v14, 14, v16
	v_add_nc_u32_e32 v13, 0x78, v13
	v_lshlrev_b64 v[49:50], 4, v[14:15]
	v_add_co_u32 v47, vcc_lo, s2, v47
	v_add_co_ci_u32_e64 v48, null, s3, v48, vcc_lo
	v_add_co_u32 v63, vcc_lo, s4, v49
	v_add_co_ci_u32_e64 v64, null, s5, v50, vcc_lo
	global_load_dwordx4 v[47:50], v[47:48], off
	global_load_dwordx4 v[63:66], v[63:64], off
	s_waitcnt vmcnt(10)
	v_fma_f64 v[67:68], v[51:52], v[55:56], v[67:68]
	v_fma_f64 v[55:56], v[53:54], v[55:56], v[69:70]
	v_cmp_ge_i32_e32 vcc_lo, v11, v22
	s_or_b32 s10, vcc_lo, s10
	v_fma_f64 v[53:54], -v[53:54], v[57:58], v[67:68]
	v_fma_f64 v[51:52], v[51:52], v[57:58], v[55:56]
	s_waitcnt vmcnt(8)
	v_fma_f64 v[53:54], v[17:18], v[23:24], v[53:54]
	v_fma_f64 v[23:24], v[19:20], v[23:24], v[51:52]
	v_fma_f64 v[19:20], -v[19:20], v[25:26], v[53:54]
	v_fma_f64 v[16:17], v[17:18], v[25:26], v[23:24]
	s_waitcnt vmcnt(6)
	v_fma_f64 v[18:19], v[59:60], v[27:28], v[19:20]
	v_fma_f64 v[16:17], v[61:62], v[27:28], v[16:17]
	;; [unrolled: 5-line block ×5, first 2 shown]
	v_fma_f64 v[20:21], -v[49:50], v[65:66], v[18:19]
	v_fma_f64 v[18:19], v[47:48], v[65:66], v[16:17]
	s_andn2_b32 exec_lo, exec_lo, s10
	s_cbranch_execnz .LBB294_6
; %bb.7:
	s_or_b32 exec_lo, exec_lo, s10
.LBB294_8:
	s_or_b32 exec_lo, exec_lo, s9
	v_mbcnt_lo_u32_b32 v22, -1, 0
	v_xor_b32_e32 v11, 4, v22
	v_xor_b32_e32 v15, 2, v22
	v_cmp_gt_i32_e32 vcc_lo, 32, v11
	v_cndmask_b32_e32 v11, v22, v11, vcc_lo
	v_cmp_gt_i32_e32 vcc_lo, 32, v15
	v_lshlrev_b32_e32 v14, 2, v11
	v_cndmask_b32_e32 v15, v22, v15, vcc_lo
	ds_bpermute_b32 v11, v14, v20
	ds_bpermute_b32 v12, v14, v21
	;; [unrolled: 1-line block ×4, first 2 shown]
	s_waitcnt lgkmcnt(2)
	v_add_f64 v[11:12], v[20:21], v[11:12]
	s_waitcnt lgkmcnt(0)
	v_add_f64 v[13:14], v[18:19], v[13:14]
	v_lshlrev_b32_e32 v18, 2, v15
	ds_bpermute_b32 v15, v18, v11
	ds_bpermute_b32 v16, v18, v12
	;; [unrolled: 1-line block ×4, first 2 shown]
	s_waitcnt lgkmcnt(2)
	v_add_f64 v[11:12], v[11:12], v[15:16]
	v_xor_b32_e32 v15, 1, v22
	s_waitcnt lgkmcnt(0)
	v_add_f64 v[13:14], v[13:14], v[17:18]
	v_cmp_gt_i32_e32 vcc_lo, 32, v15
	v_cndmask_b32_e32 v15, v22, v15, vcc_lo
	v_cmp_eq_u32_e32 vcc_lo, 7, v0
	v_lshlrev_b32_e32 v18, 2, v15
	ds_bpermute_b32 v15, v18, v11
	ds_bpermute_b32 v16, v18, v12
	ds_bpermute_b32 v17, v18, v13
	ds_bpermute_b32 v18, v18, v14
	s_and_b32 exec_lo, exec_lo, vcc_lo
	s_cbranch_execz .LBB294_13
; %bb.9:
	s_waitcnt lgkmcnt(0)
	v_add_f64 v[13:14], v[13:14], v[17:18]
	v_add_f64 v[11:12], v[11:12], v[15:16]
	v_cmp_eq_f64_e32 vcc_lo, 0, v[1:2]
	v_cmp_eq_f64_e64 s0, 0, v[3:4]
	v_lshlrev_b64 v[9:10], 4, v[9:10]
	v_mul_f64 v[15:16], v[13:14], -v[7:8]
	v_mul_f64 v[13:14], v[5:6], v[13:14]
	s_and_b32 s0, vcc_lo, s0
	v_fma_f64 v[5:6], v[5:6], v[11:12], v[15:16]
	v_fma_f64 v[7:8], v[7:8], v[11:12], v[13:14]
	s_and_saveexec_b32 s1, s0
	s_xor_b32 s0, exec_lo, s1
	s_cbranch_execz .LBB294_11
; %bb.10:
	v_add_co_u32 v0, vcc_lo, s6, v9
	v_add_co_ci_u32_e64 v1, null, s7, v10, vcc_lo
                                        ; implicit-def: $vgpr9_vgpr10
	global_store_dwordx4 v[0:1], v[5:8], off
                                        ; implicit-def: $vgpr1_vgpr2
                                        ; implicit-def: $vgpr5_vgpr6
.LBB294_11:
	s_andn2_saveexec_b32 s0, s0
	s_cbranch_execz .LBB294_13
; %bb.12:
	v_add_co_u32 v13, vcc_lo, s6, v9
	v_add_co_ci_u32_e64 v14, null, s7, v10, vcc_lo
	global_load_dwordx4 v[9:12], v[13:14], off
	s_waitcnt vmcnt(0)
	v_fma_f64 v[5:6], v[1:2], v[9:10], v[5:6]
	v_fma_f64 v[7:8], v[3:4], v[9:10], v[7:8]
	v_fma_f64 v[3:4], -v[3:4], v[11:12], v[5:6]
	v_fma_f64 v[5:6], v[1:2], v[11:12], v[7:8]
	global_store_dwordx4 v[13:14], v[3:6], off
.LBB294_13:
	s_endpgm
	.section	.rodata,"a",@progbits
	.p2align	6, 0x0
	.amdhsa_kernel _ZN9rocsparseL19gebsrmvn_1xn_kernelILj128ELj15ELj8E21rocsparse_complex_numIdEEEvi20rocsparse_direction_NS_24const_host_device_scalarIT2_EEPKiS8_PKS5_SA_S6_PS5_21rocsparse_index_base_b
		.amdhsa_group_segment_fixed_size 0
		.amdhsa_private_segment_fixed_size 0
		.amdhsa_kernarg_size 88
		.amdhsa_user_sgpr_count 6
		.amdhsa_user_sgpr_private_segment_buffer 1
		.amdhsa_user_sgpr_dispatch_ptr 0
		.amdhsa_user_sgpr_queue_ptr 0
		.amdhsa_user_sgpr_kernarg_segment_ptr 1
		.amdhsa_user_sgpr_dispatch_id 0
		.amdhsa_user_sgpr_flat_scratch_init 0
		.amdhsa_user_sgpr_private_segment_size 0
		.amdhsa_wavefront_size32 1
		.amdhsa_uses_dynamic_stack 0
		.amdhsa_system_sgpr_private_segment_wavefront_offset 0
		.amdhsa_system_sgpr_workgroup_id_x 1
		.amdhsa_system_sgpr_workgroup_id_y 0
		.amdhsa_system_sgpr_workgroup_id_z 0
		.amdhsa_system_sgpr_workgroup_info 0
		.amdhsa_system_vgpr_workitem_id 0
		.amdhsa_next_free_vgpr 73
		.amdhsa_next_free_sgpr 13
		.amdhsa_reserve_vcc 1
		.amdhsa_reserve_flat_scratch 0
		.amdhsa_float_round_mode_32 0
		.amdhsa_float_round_mode_16_64 0
		.amdhsa_float_denorm_mode_32 3
		.amdhsa_float_denorm_mode_16_64 3
		.amdhsa_dx10_clamp 1
		.amdhsa_ieee_mode 1
		.amdhsa_fp16_overflow 0
		.amdhsa_workgroup_processor_mode 1
		.amdhsa_memory_ordered 1
		.amdhsa_forward_progress 1
		.amdhsa_shared_vgpr_count 0
		.amdhsa_exception_fp_ieee_invalid_op 0
		.amdhsa_exception_fp_denorm_src 0
		.amdhsa_exception_fp_ieee_div_zero 0
		.amdhsa_exception_fp_ieee_overflow 0
		.amdhsa_exception_fp_ieee_underflow 0
		.amdhsa_exception_fp_ieee_inexact 0
		.amdhsa_exception_int_div_zero 0
	.end_amdhsa_kernel
	.section	.text._ZN9rocsparseL19gebsrmvn_1xn_kernelILj128ELj15ELj8E21rocsparse_complex_numIdEEEvi20rocsparse_direction_NS_24const_host_device_scalarIT2_EEPKiS8_PKS5_SA_S6_PS5_21rocsparse_index_base_b,"axG",@progbits,_ZN9rocsparseL19gebsrmvn_1xn_kernelILj128ELj15ELj8E21rocsparse_complex_numIdEEEvi20rocsparse_direction_NS_24const_host_device_scalarIT2_EEPKiS8_PKS5_SA_S6_PS5_21rocsparse_index_base_b,comdat
.Lfunc_end294:
	.size	_ZN9rocsparseL19gebsrmvn_1xn_kernelILj128ELj15ELj8E21rocsparse_complex_numIdEEEvi20rocsparse_direction_NS_24const_host_device_scalarIT2_EEPKiS8_PKS5_SA_S6_PS5_21rocsparse_index_base_b, .Lfunc_end294-_ZN9rocsparseL19gebsrmvn_1xn_kernelILj128ELj15ELj8E21rocsparse_complex_numIdEEEvi20rocsparse_direction_NS_24const_host_device_scalarIT2_EEPKiS8_PKS5_SA_S6_PS5_21rocsparse_index_base_b
                                        ; -- End function
	.set _ZN9rocsparseL19gebsrmvn_1xn_kernelILj128ELj15ELj8E21rocsparse_complex_numIdEEEvi20rocsparse_direction_NS_24const_host_device_scalarIT2_EEPKiS8_PKS5_SA_S6_PS5_21rocsparse_index_base_b.num_vgpr, 73
	.set _ZN9rocsparseL19gebsrmvn_1xn_kernelILj128ELj15ELj8E21rocsparse_complex_numIdEEEvi20rocsparse_direction_NS_24const_host_device_scalarIT2_EEPKiS8_PKS5_SA_S6_PS5_21rocsparse_index_base_b.num_agpr, 0
	.set _ZN9rocsparseL19gebsrmvn_1xn_kernelILj128ELj15ELj8E21rocsparse_complex_numIdEEEvi20rocsparse_direction_NS_24const_host_device_scalarIT2_EEPKiS8_PKS5_SA_S6_PS5_21rocsparse_index_base_b.numbered_sgpr, 13
	.set _ZN9rocsparseL19gebsrmvn_1xn_kernelILj128ELj15ELj8E21rocsparse_complex_numIdEEEvi20rocsparse_direction_NS_24const_host_device_scalarIT2_EEPKiS8_PKS5_SA_S6_PS5_21rocsparse_index_base_b.num_named_barrier, 0
	.set _ZN9rocsparseL19gebsrmvn_1xn_kernelILj128ELj15ELj8E21rocsparse_complex_numIdEEEvi20rocsparse_direction_NS_24const_host_device_scalarIT2_EEPKiS8_PKS5_SA_S6_PS5_21rocsparse_index_base_b.private_seg_size, 0
	.set _ZN9rocsparseL19gebsrmvn_1xn_kernelILj128ELj15ELj8E21rocsparse_complex_numIdEEEvi20rocsparse_direction_NS_24const_host_device_scalarIT2_EEPKiS8_PKS5_SA_S6_PS5_21rocsparse_index_base_b.uses_vcc, 1
	.set _ZN9rocsparseL19gebsrmvn_1xn_kernelILj128ELj15ELj8E21rocsparse_complex_numIdEEEvi20rocsparse_direction_NS_24const_host_device_scalarIT2_EEPKiS8_PKS5_SA_S6_PS5_21rocsparse_index_base_b.uses_flat_scratch, 0
	.set _ZN9rocsparseL19gebsrmvn_1xn_kernelILj128ELj15ELj8E21rocsparse_complex_numIdEEEvi20rocsparse_direction_NS_24const_host_device_scalarIT2_EEPKiS8_PKS5_SA_S6_PS5_21rocsparse_index_base_b.has_dyn_sized_stack, 0
	.set _ZN9rocsparseL19gebsrmvn_1xn_kernelILj128ELj15ELj8E21rocsparse_complex_numIdEEEvi20rocsparse_direction_NS_24const_host_device_scalarIT2_EEPKiS8_PKS5_SA_S6_PS5_21rocsparse_index_base_b.has_recursion, 0
	.set _ZN9rocsparseL19gebsrmvn_1xn_kernelILj128ELj15ELj8E21rocsparse_complex_numIdEEEvi20rocsparse_direction_NS_24const_host_device_scalarIT2_EEPKiS8_PKS5_SA_S6_PS5_21rocsparse_index_base_b.has_indirect_call, 0
	.section	.AMDGPU.csdata,"",@progbits
; Kernel info:
; codeLenInByte = 2488
; TotalNumSgprs: 15
; NumVgprs: 73
; ScratchSize: 0
; MemoryBound: 0
; FloatMode: 240
; IeeeMode: 1
; LDSByteSize: 0 bytes/workgroup (compile time only)
; SGPRBlocks: 0
; VGPRBlocks: 9
; NumSGPRsForWavesPerEU: 15
; NumVGPRsForWavesPerEU: 73
; Occupancy: 12
; WaveLimiterHint : 1
; COMPUTE_PGM_RSRC2:SCRATCH_EN: 0
; COMPUTE_PGM_RSRC2:USER_SGPR: 6
; COMPUTE_PGM_RSRC2:TRAP_HANDLER: 0
; COMPUTE_PGM_RSRC2:TGID_X_EN: 1
; COMPUTE_PGM_RSRC2:TGID_Y_EN: 0
; COMPUTE_PGM_RSRC2:TGID_Z_EN: 0
; COMPUTE_PGM_RSRC2:TIDIG_COMP_CNT: 0
	.section	.text._ZN9rocsparseL19gebsrmvn_1xn_kernelILj128ELj15ELj16E21rocsparse_complex_numIdEEEvi20rocsparse_direction_NS_24const_host_device_scalarIT2_EEPKiS8_PKS5_SA_S6_PS5_21rocsparse_index_base_b,"axG",@progbits,_ZN9rocsparseL19gebsrmvn_1xn_kernelILj128ELj15ELj16E21rocsparse_complex_numIdEEEvi20rocsparse_direction_NS_24const_host_device_scalarIT2_EEPKiS8_PKS5_SA_S6_PS5_21rocsparse_index_base_b,comdat
	.globl	_ZN9rocsparseL19gebsrmvn_1xn_kernelILj128ELj15ELj16E21rocsparse_complex_numIdEEEvi20rocsparse_direction_NS_24const_host_device_scalarIT2_EEPKiS8_PKS5_SA_S6_PS5_21rocsparse_index_base_b ; -- Begin function _ZN9rocsparseL19gebsrmvn_1xn_kernelILj128ELj15ELj16E21rocsparse_complex_numIdEEEvi20rocsparse_direction_NS_24const_host_device_scalarIT2_EEPKiS8_PKS5_SA_S6_PS5_21rocsparse_index_base_b
	.p2align	8
	.type	_ZN9rocsparseL19gebsrmvn_1xn_kernelILj128ELj15ELj16E21rocsparse_complex_numIdEEEvi20rocsparse_direction_NS_24const_host_device_scalarIT2_EEPKiS8_PKS5_SA_S6_PS5_21rocsparse_index_base_b,@function
_ZN9rocsparseL19gebsrmvn_1xn_kernelILj128ELj15ELj16E21rocsparse_complex_numIdEEEvi20rocsparse_direction_NS_24const_host_device_scalarIT2_EEPKiS8_PKS5_SA_S6_PS5_21rocsparse_index_base_b: ; @_ZN9rocsparseL19gebsrmvn_1xn_kernelILj128ELj15ELj16E21rocsparse_complex_numIdEEEvi20rocsparse_direction_NS_24const_host_device_scalarIT2_EEPKiS8_PKS5_SA_S6_PS5_21rocsparse_index_base_b
; %bb.0:
	s_clause 0x1
	s_load_dwordx2 s[8:9], s[4:5], 0x50
	s_load_dwordx2 s[0:1], s[4:5], 0x8
	s_add_u32 s7, s4, 8
	s_addc_u32 s10, s5, 0
	s_add_u32 s11, s4, 56
	s_addc_u32 s12, s5, 0
	s_load_dwordx2 s[2:3], s[4:5], 0x38
	s_waitcnt lgkmcnt(0)
	s_bitcmp1_b32 s9, 0
	s_cselect_b32 s0, s7, s0
	s_cselect_b32 s1, s10, s1
	v_mov_b32_e32 v1, s0
	v_mov_b32_e32 v2, s1
	s_cselect_b32 s0, s11, s2
	s_cselect_b32 s1, s12, s3
	flat_load_dwordx4 v[5:8], v[1:2]
	v_mov_b32_e32 v1, s0
	v_mov_b32_e32 v2, s1
	flat_load_dwordx4 v[1:4], v[1:2]
	s_waitcnt vmcnt(1) lgkmcnt(1)
	v_cmp_eq_f64_e32 vcc_lo, 0, v[5:6]
	v_cmp_eq_f64_e64 s0, 0, v[7:8]
	s_and_b32 s2, vcc_lo, s0
	s_mov_b32 s0, -1
	s_and_saveexec_b32 s1, s2
	s_cbranch_execz .LBB295_2
; %bb.1:
	s_waitcnt vmcnt(0) lgkmcnt(0)
	v_cmp_neq_f64_e32 vcc_lo, 1.0, v[1:2]
	v_cmp_neq_f64_e64 s0, 0, v[3:4]
	s_or_b32 s0, vcc_lo, s0
	s_orn2_b32 s0, s0, exec_lo
.LBB295_2:
	s_or_b32 exec_lo, exec_lo, s1
	s_and_saveexec_b32 s1, s0
	s_cbranch_execz .LBB295_13
; %bb.3:
	s_load_dword s0, s[4:5], 0x0
	v_lshrrev_b32_e32 v9, 4, v0
	v_lshl_or_b32 v9, s6, 3, v9
	s_waitcnt lgkmcnt(0)
	v_cmp_gt_i32_e32 vcc_lo, s0, v9
	s_and_b32 exec_lo, exec_lo, vcc_lo
	s_cbranch_execz .LBB295_13
; %bb.4:
	s_clause 0x1
	s_load_dwordx2 s[0:1], s[4:5], 0x18
	s_load_dwordx2 s[6:7], s[4:5], 0x48
	v_ashrrev_i32_e32 v10, 31, v9
	v_and_b32_e32 v0, 15, v0
	v_mov_b32_e32 v18, 0
	v_mov_b32_e32 v20, 0
	;; [unrolled: 1-line block ×3, first 2 shown]
	v_lshlrev_b64 v[11:12], 2, v[9:10]
	v_subrev_nc_u32_e32 v13, s8, v0
	v_mov_b32_e32 v21, 0
	s_mov_b32 s9, exec_lo
	s_waitcnt lgkmcnt(0)
	v_add_co_u32 v11, vcc_lo, s0, v11
	v_add_co_ci_u32_e64 v12, null, s1, v12, vcc_lo
	global_load_dwordx2 v[11:12], v[11:12], off
	s_waitcnt vmcnt(0)
	v_subrev_nc_u32_e32 v22, s8, v12
	v_add_nc_u32_e32 v11, v11, v13
	v_cmpx_lt_i32_e64 v11, v22
	s_cbranch_execz .LBB295_8
; %bb.5:
	s_clause 0x1
	s_load_dwordx4 s[0:3], s[4:5], 0x20
	s_load_dwordx2 s[4:5], s[4:5], 0x30
	v_mad_u64_u32 v[13:14], null, v11, 15, 14
	v_mov_b32_e32 v18, 0
	v_mov_b32_e32 v20, 0
	;; [unrolled: 1-line block ×5, first 2 shown]
	s_mov_b32 s10, 0
.LBB295_6:                              ; =>This Inner Loop Header: Depth=1
	v_ashrrev_i32_e32 v12, 31, v11
	v_add_nc_u32_e32 v14, -14, v13
	v_lshlrev_b64 v[16:17], 2, v[11:12]
	v_lshlrev_b64 v[23:24], 4, v[14:15]
	v_add_nc_u32_e32 v14, -13, v13
	v_add_nc_u32_e32 v11, 16, v11
	s_waitcnt lgkmcnt(0)
	v_add_co_u32 v16, vcc_lo, s0, v16
	v_add_co_ci_u32_e64 v17, null, s1, v17, vcc_lo
	v_lshlrev_b64 v[25:26], 4, v[14:15]
	v_add_co_u32 v23, vcc_lo, s2, v23
	global_load_dword v12, v[16:17], off
	v_mov_b32_e32 v17, v15
	v_add_co_ci_u32_e64 v24, null, s3, v24, vcc_lo
	v_add_co_u32 v27, vcc_lo, s2, v25
	v_add_co_ci_u32_e64 v28, null, s3, v26, vcc_lo
	s_clause 0x1
	global_load_dwordx4 v[23:26], v[23:24], off
	global_load_dwordx4 v[27:30], v[27:28], off
	s_waitcnt vmcnt(2)
	v_subrev_nc_u32_e32 v12, s8, v12
	v_mul_lo_u32 v16, v12, 15
	v_lshlrev_b64 v[31:32], 4, v[16:17]
	v_add_nc_u32_e32 v14, 1, v16
	v_lshlrev_b64 v[35:36], 4, v[14:15]
	v_add_co_u32 v31, vcc_lo, s4, v31
	v_add_co_ci_u32_e64 v32, null, s5, v32, vcc_lo
	v_add_nc_u32_e32 v14, -12, v13
	v_add_co_u32 v35, vcc_lo, s4, v35
	global_load_dwordx4 v[31:34], v[31:32], off
	v_add_co_ci_u32_e64 v36, null, s5, v36, vcc_lo
	v_lshlrev_b64 v[39:40], 4, v[14:15]
	v_add_nc_u32_e32 v14, 2, v16
	global_load_dwordx4 v[35:38], v[35:36], off
	v_lshlrev_b64 v[41:42], 4, v[14:15]
	v_add_co_u32 v39, vcc_lo, s2, v39
	v_add_co_ci_u32_e64 v40, null, s3, v40, vcc_lo
	v_add_nc_u32_e32 v14, -11, v13
	v_add_co_u32 v43, vcc_lo, s4, v41
	v_add_co_ci_u32_e64 v44, null, s5, v42, vcc_lo
	global_load_dwordx4 v[39:42], v[39:40], off
	v_lshlrev_b64 v[47:48], 4, v[14:15]
	v_add_nc_u32_e32 v14, 3, v16
	global_load_dwordx4 v[43:46], v[43:44], off
	v_lshlrev_b64 v[49:50], 4, v[14:15]
	v_add_co_u32 v47, vcc_lo, s2, v47
	v_add_co_ci_u32_e64 v48, null, s3, v48, vcc_lo
	v_add_nc_u32_e32 v14, -10, v13
	v_add_co_u32 v51, vcc_lo, s4, v49
	v_add_co_ci_u32_e64 v52, null, s5, v50, vcc_lo
	global_load_dwordx4 v[47:50], v[47:48], off
	;; [unrolled: 10-line block ×3, first 2 shown]
	v_lshlrev_b64 v[63:64], 4, v[14:15]
	v_add_nc_u32_e32 v14, 5, v16
	global_load_dwordx4 v[59:62], v[59:60], off
	v_lshlrev_b64 v[65:66], 4, v[14:15]
	v_add_co_u32 v63, vcc_lo, s2, v63
	v_add_co_ci_u32_e64 v64, null, s3, v64, vcc_lo
	v_add_nc_u32_e32 v14, -8, v13
	v_add_co_u32 v65, vcc_lo, s4, v65
	v_add_co_ci_u32_e64 v66, null, s5, v66, vcc_lo
	v_lshlrev_b64 v[67:68], 4, v[14:15]
	v_add_nc_u32_e32 v14, 6, v16
	s_waitcnt vmcnt(7)
	v_fma_f64 v[20:21], v[23:24], v[31:32], v[20:21]
	v_fma_f64 v[17:18], v[25:26], v[31:32], v[18:19]
	v_fma_f64 v[31:32], -v[25:26], v[33:34], v[20:21]
	v_fma_f64 v[33:34], v[23:24], v[33:34], v[17:18]
	global_load_dwordx4 v[17:20], v[63:64], off
	global_load_dwordx4 v[23:26], v[65:66], off
	v_lshlrev_b64 v[63:64], 4, v[14:15]
	v_add_co_u32 v65, vcc_lo, s2, v67
	v_add_co_ci_u32_e64 v66, null, s3, v68, vcc_lo
	v_add_nc_u32_e32 v14, -7, v13
	v_add_co_u32 v63, vcc_lo, s4, v63
	v_add_co_ci_u32_e64 v64, null, s5, v64, vcc_lo
	v_lshlrev_b64 v[67:68], 4, v[14:15]
	v_add_nc_u32_e32 v14, 7, v16
	s_waitcnt vmcnt(8)
	v_fma_f64 v[31:32], v[27:28], v[35:36], v[31:32]
	v_fma_f64 v[33:34], v[29:30], v[35:36], v[33:34]
	v_fma_f64 v[35:36], -v[29:30], v[37:38], v[31:32]
	v_fma_f64 v[37:38], v[27:28], v[37:38], v[33:34]
	global_load_dwordx4 v[27:30], v[65:66], off
	global_load_dwordx4 v[31:34], v[63:64], off
	v_add_co_u32 v63, vcc_lo, s2, v67
	v_add_co_ci_u32_e64 v64, null, s3, v68, vcc_lo
	s_waitcnt vmcnt(8)
	v_fma_f64 v[35:36], v[39:40], v[43:44], v[35:36]
	v_fma_f64 v[37:38], v[41:42], v[43:44], v[37:38]
	v_fma_f64 v[43:44], -v[41:42], v[45:46], v[35:36]
	v_fma_f64 v[45:46], v[39:40], v[45:46], v[37:38]
	global_load_dwordx4 v[35:38], v[63:64], off
	v_lshlrev_b64 v[65:66], 4, v[14:15]
	v_add_nc_u32_e32 v14, -6, v13
	v_add_co_u32 v65, vcc_lo, s4, v65
	v_add_co_ci_u32_e64 v66, null, s5, v66, vcc_lo
	v_lshlrev_b64 v[67:68], 4, v[14:15]
	v_add_nc_u32_e32 v14, 8, v16
	global_load_dwordx4 v[39:42], v[65:66], off
	v_lshlrev_b64 v[63:64], 4, v[14:15]
	v_add_co_u32 v65, vcc_lo, s2, v67
	s_waitcnt vmcnt(8)
	v_fma_f64 v[43:44], v[47:48], v[51:52], v[43:44]
	v_fma_f64 v[45:46], v[49:50], v[51:52], v[45:46]
	v_add_co_ci_u32_e64 v66, null, s3, v68, vcc_lo
	v_add_co_u32 v63, vcc_lo, s4, v63
	v_add_co_ci_u32_e64 v64, null, s5, v64, vcc_lo
	v_add_nc_u32_e32 v14, -5, v13
	v_lshlrev_b64 v[67:68], 4, v[14:15]
	v_add_nc_u32_e32 v14, 9, v16
	v_fma_f64 v[51:52], -v[49:50], v[53:54], v[43:44]
	v_fma_f64 v[53:54], v[47:48], v[53:54], v[45:46]
	global_load_dwordx4 v[43:46], v[65:66], off
	global_load_dwordx4 v[47:50], v[63:64], off
	v_lshlrev_b64 v[63:64], 4, v[14:15]
	v_add_co_u32 v65, vcc_lo, s2, v67
	v_add_co_ci_u32_e64 v66, null, s3, v68, vcc_lo
	v_add_nc_u32_e32 v14, -4, v13
	v_add_co_u32 v63, vcc_lo, s4, v63
	v_add_co_ci_u32_e64 v64, null, s5, v64, vcc_lo
	v_lshlrev_b64 v[67:68], 4, v[14:15]
	v_add_nc_u32_e32 v14, 10, v16
	s_waitcnt vmcnt(8)
	v_fma_f64 v[51:52], v[55:56], v[59:60], v[51:52]
	v_fma_f64 v[53:54], v[57:58], v[59:60], v[53:54]
	v_fma_f64 v[59:60], -v[57:58], v[61:62], v[51:52]
	v_fma_f64 v[61:62], v[55:56], v[61:62], v[53:54]
	global_load_dwordx4 v[51:54], v[65:66], off
	global_load_dwordx4 v[55:58], v[63:64], off
	v_lshlrev_b64 v[63:64], 4, v[14:15]
	v_add_co_u32 v65, vcc_lo, s2, v67
	v_add_co_ci_u32_e64 v66, null, s3, v68, vcc_lo
	v_add_nc_u32_e32 v14, -3, v13
	v_add_co_u32 v63, vcc_lo, s4, v63
	v_add_co_ci_u32_e64 v64, null, s5, v64, vcc_lo
	v_lshlrev_b64 v[67:68], 4, v[14:15]
	v_add_nc_u32_e32 v14, 11, v16
	s_waitcnt vmcnt(8)
	v_fma_f64 v[59:60], v[17:18], v[23:24], v[59:60]
	v_fma_f64 v[23:24], v[19:20], v[23:24], v[61:62]
	v_add_co_u32 v61, vcc_lo, s2, v67
	v_add_co_ci_u32_e64 v62, null, s3, v68, vcc_lo
	v_fma_f64 v[69:70], -v[19:20], v[25:26], v[59:60]
	v_fma_f64 v[71:72], v[17:18], v[25:26], v[23:24]
	global_load_dwordx4 v[17:20], v[65:66], off
	global_load_dwordx4 v[23:26], v[63:64], off
	v_lshlrev_b64 v[59:60], 4, v[14:15]
	v_add_nc_u32_e32 v14, -2, v13
	v_add_co_u32 v63, vcc_lo, s4, v59
	v_add_co_ci_u32_e64 v64, null, s5, v60, vcc_lo
	global_load_dwordx4 v[59:62], v[61:62], off
	s_waitcnt vmcnt(9)
	v_fma_f64 v[65:66], v[27:28], v[31:32], v[69:70]
	v_fma_f64 v[31:32], v[29:30], v[31:32], v[71:72]
	v_fma_f64 v[65:66], -v[29:30], v[33:34], v[65:66]
	v_fma_f64 v[67:68], v[27:28], v[33:34], v[31:32]
	global_load_dwordx4 v[27:30], v[63:64], off
	v_lshlrev_b64 v[31:32], 4, v[14:15]
	v_add_nc_u32_e32 v14, 12, v16
	v_lshlrev_b64 v[33:34], 4, v[14:15]
	v_add_co_u32 v31, vcc_lo, s2, v31
	v_add_co_ci_u32_e64 v32, null, s3, v32, vcc_lo
	v_add_nc_u32_e32 v14, -1, v13
	v_add_co_u32 v63, vcc_lo, s4, v33
	v_add_co_ci_u32_e64 v64, null, s5, v34, vcc_lo
	global_load_dwordx4 v[31:34], v[31:32], off
	s_waitcnt vmcnt(9)
	v_fma_f64 v[65:66], v[35:36], v[39:40], v[65:66]
	v_fma_f64 v[39:40], v[37:38], v[39:40], v[67:68]
	v_fma_f64 v[65:66], -v[37:38], v[41:42], v[65:66]
	v_fma_f64 v[67:68], v[35:36], v[41:42], v[39:40]
	global_load_dwordx4 v[35:38], v[63:64], off
	v_lshlrev_b64 v[39:40], 4, v[14:15]
	v_add_nc_u32_e32 v14, 13, v16
	v_lshlrev_b64 v[41:42], 4, v[14:15]
	v_add_co_u32 v39, vcc_lo, s2, v39
	v_add_co_ci_u32_e64 v40, null, s3, v40, vcc_lo
	v_mov_b32_e32 v14, v15
	v_add_co_u32 v63, vcc_lo, s4, v41
	v_add_co_ci_u32_e64 v64, null, s5, v42, vcc_lo
	global_load_dwordx4 v[39:42], v[39:40], off
	s_waitcnt vmcnt(9)
	v_fma_f64 v[65:66], v[43:44], v[47:48], v[65:66]
	v_fma_f64 v[47:48], v[45:46], v[47:48], v[67:68]
	v_fma_f64 v[67:68], -v[45:46], v[49:50], v[65:66]
	v_fma_f64 v[69:70], v[43:44], v[49:50], v[47:48]
	global_load_dwordx4 v[43:46], v[63:64], off
	v_lshlrev_b64 v[47:48], 4, v[13:14]
	v_add_nc_u32_e32 v14, 14, v16
	v_add_nc_u32_e32 v13, 0xf0, v13
	v_lshlrev_b64 v[49:50], 4, v[14:15]
	v_add_co_u32 v47, vcc_lo, s2, v47
	v_add_co_ci_u32_e64 v48, null, s3, v48, vcc_lo
	v_add_co_u32 v63, vcc_lo, s4, v49
	v_add_co_ci_u32_e64 v64, null, s5, v50, vcc_lo
	global_load_dwordx4 v[47:50], v[47:48], off
	global_load_dwordx4 v[63:66], v[63:64], off
	s_waitcnt vmcnt(10)
	v_fma_f64 v[67:68], v[51:52], v[55:56], v[67:68]
	v_fma_f64 v[55:56], v[53:54], v[55:56], v[69:70]
	v_cmp_ge_i32_e32 vcc_lo, v11, v22
	s_or_b32 s10, vcc_lo, s10
	v_fma_f64 v[53:54], -v[53:54], v[57:58], v[67:68]
	v_fma_f64 v[51:52], v[51:52], v[57:58], v[55:56]
	s_waitcnt vmcnt(8)
	v_fma_f64 v[53:54], v[17:18], v[23:24], v[53:54]
	v_fma_f64 v[23:24], v[19:20], v[23:24], v[51:52]
	v_fma_f64 v[19:20], -v[19:20], v[25:26], v[53:54]
	v_fma_f64 v[16:17], v[17:18], v[25:26], v[23:24]
	s_waitcnt vmcnt(6)
	v_fma_f64 v[18:19], v[59:60], v[27:28], v[19:20]
	v_fma_f64 v[16:17], v[61:62], v[27:28], v[16:17]
	;; [unrolled: 5-line block ×5, first 2 shown]
	v_fma_f64 v[20:21], -v[49:50], v[65:66], v[18:19]
	v_fma_f64 v[18:19], v[47:48], v[65:66], v[16:17]
	s_andn2_b32 exec_lo, exec_lo, s10
	s_cbranch_execnz .LBB295_6
; %bb.7:
	s_or_b32 exec_lo, exec_lo, s10
.LBB295_8:
	s_or_b32 exec_lo, exec_lo, s9
	v_mbcnt_lo_u32_b32 v22, -1, 0
	v_xor_b32_e32 v11, 8, v22
	v_xor_b32_e32 v15, 4, v22
	v_cmp_gt_i32_e32 vcc_lo, 32, v11
	v_cndmask_b32_e32 v11, v22, v11, vcc_lo
	v_cmp_gt_i32_e32 vcc_lo, 32, v15
	v_lshlrev_b32_e32 v14, 2, v11
	v_cndmask_b32_e32 v15, v22, v15, vcc_lo
	ds_bpermute_b32 v11, v14, v20
	ds_bpermute_b32 v12, v14, v21
	;; [unrolled: 1-line block ×4, first 2 shown]
	s_waitcnt lgkmcnt(2)
	v_add_f64 v[11:12], v[20:21], v[11:12]
	s_waitcnt lgkmcnt(0)
	v_add_f64 v[13:14], v[18:19], v[13:14]
	v_lshlrev_b32_e32 v18, 2, v15
	ds_bpermute_b32 v15, v18, v11
	ds_bpermute_b32 v16, v18, v12
	;; [unrolled: 1-line block ×4, first 2 shown]
	s_waitcnt lgkmcnt(2)
	v_add_f64 v[11:12], v[11:12], v[15:16]
	v_xor_b32_e32 v15, 2, v22
	s_waitcnt lgkmcnt(0)
	v_add_f64 v[13:14], v[13:14], v[17:18]
	v_cmp_gt_i32_e32 vcc_lo, 32, v15
	v_cndmask_b32_e32 v15, v22, v15, vcc_lo
	v_lshlrev_b32_e32 v18, 2, v15
	ds_bpermute_b32 v15, v18, v11
	ds_bpermute_b32 v16, v18, v12
	;; [unrolled: 1-line block ×4, first 2 shown]
	s_waitcnt lgkmcnt(2)
	v_add_f64 v[11:12], v[11:12], v[15:16]
	v_xor_b32_e32 v15, 1, v22
	s_waitcnt lgkmcnt(0)
	v_add_f64 v[13:14], v[13:14], v[17:18]
	v_cmp_gt_i32_e32 vcc_lo, 32, v15
	v_cndmask_b32_e32 v15, v22, v15, vcc_lo
	v_cmp_eq_u32_e32 vcc_lo, 15, v0
	v_lshlrev_b32_e32 v18, 2, v15
	ds_bpermute_b32 v15, v18, v11
	ds_bpermute_b32 v16, v18, v12
	;; [unrolled: 1-line block ×4, first 2 shown]
	s_and_b32 exec_lo, exec_lo, vcc_lo
	s_cbranch_execz .LBB295_13
; %bb.9:
	s_waitcnt lgkmcnt(0)
	v_add_f64 v[13:14], v[13:14], v[17:18]
	v_add_f64 v[11:12], v[11:12], v[15:16]
	v_cmp_eq_f64_e32 vcc_lo, 0, v[1:2]
	v_cmp_eq_f64_e64 s0, 0, v[3:4]
	v_lshlrev_b64 v[9:10], 4, v[9:10]
	v_mul_f64 v[15:16], v[13:14], -v[7:8]
	v_mul_f64 v[13:14], v[5:6], v[13:14]
	s_and_b32 s0, vcc_lo, s0
	v_fma_f64 v[5:6], v[5:6], v[11:12], v[15:16]
	v_fma_f64 v[7:8], v[7:8], v[11:12], v[13:14]
	s_and_saveexec_b32 s1, s0
	s_xor_b32 s0, exec_lo, s1
	s_cbranch_execz .LBB295_11
; %bb.10:
	v_add_co_u32 v0, vcc_lo, s6, v9
	v_add_co_ci_u32_e64 v1, null, s7, v10, vcc_lo
                                        ; implicit-def: $vgpr9_vgpr10
	global_store_dwordx4 v[0:1], v[5:8], off
                                        ; implicit-def: $vgpr1_vgpr2
                                        ; implicit-def: $vgpr5_vgpr6
.LBB295_11:
	s_andn2_saveexec_b32 s0, s0
	s_cbranch_execz .LBB295_13
; %bb.12:
	v_add_co_u32 v13, vcc_lo, s6, v9
	v_add_co_ci_u32_e64 v14, null, s7, v10, vcc_lo
	global_load_dwordx4 v[9:12], v[13:14], off
	s_waitcnt vmcnt(0)
	v_fma_f64 v[5:6], v[1:2], v[9:10], v[5:6]
	v_fma_f64 v[7:8], v[3:4], v[9:10], v[7:8]
	v_fma_f64 v[3:4], -v[3:4], v[11:12], v[5:6]
	v_fma_f64 v[5:6], v[1:2], v[11:12], v[7:8]
	global_store_dwordx4 v[13:14], v[3:6], off
.LBB295_13:
	s_endpgm
	.section	.rodata,"a",@progbits
	.p2align	6, 0x0
	.amdhsa_kernel _ZN9rocsparseL19gebsrmvn_1xn_kernelILj128ELj15ELj16E21rocsparse_complex_numIdEEEvi20rocsparse_direction_NS_24const_host_device_scalarIT2_EEPKiS8_PKS5_SA_S6_PS5_21rocsparse_index_base_b
		.amdhsa_group_segment_fixed_size 0
		.amdhsa_private_segment_fixed_size 0
		.amdhsa_kernarg_size 88
		.amdhsa_user_sgpr_count 6
		.amdhsa_user_sgpr_private_segment_buffer 1
		.amdhsa_user_sgpr_dispatch_ptr 0
		.amdhsa_user_sgpr_queue_ptr 0
		.amdhsa_user_sgpr_kernarg_segment_ptr 1
		.amdhsa_user_sgpr_dispatch_id 0
		.amdhsa_user_sgpr_flat_scratch_init 0
		.amdhsa_user_sgpr_private_segment_size 0
		.amdhsa_wavefront_size32 1
		.amdhsa_uses_dynamic_stack 0
		.amdhsa_system_sgpr_private_segment_wavefront_offset 0
		.amdhsa_system_sgpr_workgroup_id_x 1
		.amdhsa_system_sgpr_workgroup_id_y 0
		.amdhsa_system_sgpr_workgroup_id_z 0
		.amdhsa_system_sgpr_workgroup_info 0
		.amdhsa_system_vgpr_workitem_id 0
		.amdhsa_next_free_vgpr 73
		.amdhsa_next_free_sgpr 13
		.amdhsa_reserve_vcc 1
		.amdhsa_reserve_flat_scratch 0
		.amdhsa_float_round_mode_32 0
		.amdhsa_float_round_mode_16_64 0
		.amdhsa_float_denorm_mode_32 3
		.amdhsa_float_denorm_mode_16_64 3
		.amdhsa_dx10_clamp 1
		.amdhsa_ieee_mode 1
		.amdhsa_fp16_overflow 0
		.amdhsa_workgroup_processor_mode 1
		.amdhsa_memory_ordered 1
		.amdhsa_forward_progress 1
		.amdhsa_shared_vgpr_count 0
		.amdhsa_exception_fp_ieee_invalid_op 0
		.amdhsa_exception_fp_denorm_src 0
		.amdhsa_exception_fp_ieee_div_zero 0
		.amdhsa_exception_fp_ieee_overflow 0
		.amdhsa_exception_fp_ieee_underflow 0
		.amdhsa_exception_fp_ieee_inexact 0
		.amdhsa_exception_int_div_zero 0
	.end_amdhsa_kernel
	.section	.text._ZN9rocsparseL19gebsrmvn_1xn_kernelILj128ELj15ELj16E21rocsparse_complex_numIdEEEvi20rocsparse_direction_NS_24const_host_device_scalarIT2_EEPKiS8_PKS5_SA_S6_PS5_21rocsparse_index_base_b,"axG",@progbits,_ZN9rocsparseL19gebsrmvn_1xn_kernelILj128ELj15ELj16E21rocsparse_complex_numIdEEEvi20rocsparse_direction_NS_24const_host_device_scalarIT2_EEPKiS8_PKS5_SA_S6_PS5_21rocsparse_index_base_b,comdat
.Lfunc_end295:
	.size	_ZN9rocsparseL19gebsrmvn_1xn_kernelILj128ELj15ELj16E21rocsparse_complex_numIdEEEvi20rocsparse_direction_NS_24const_host_device_scalarIT2_EEPKiS8_PKS5_SA_S6_PS5_21rocsparse_index_base_b, .Lfunc_end295-_ZN9rocsparseL19gebsrmvn_1xn_kernelILj128ELj15ELj16E21rocsparse_complex_numIdEEEvi20rocsparse_direction_NS_24const_host_device_scalarIT2_EEPKiS8_PKS5_SA_S6_PS5_21rocsparse_index_base_b
                                        ; -- End function
	.set _ZN9rocsparseL19gebsrmvn_1xn_kernelILj128ELj15ELj16E21rocsparse_complex_numIdEEEvi20rocsparse_direction_NS_24const_host_device_scalarIT2_EEPKiS8_PKS5_SA_S6_PS5_21rocsparse_index_base_b.num_vgpr, 73
	.set _ZN9rocsparseL19gebsrmvn_1xn_kernelILj128ELj15ELj16E21rocsparse_complex_numIdEEEvi20rocsparse_direction_NS_24const_host_device_scalarIT2_EEPKiS8_PKS5_SA_S6_PS5_21rocsparse_index_base_b.num_agpr, 0
	.set _ZN9rocsparseL19gebsrmvn_1xn_kernelILj128ELj15ELj16E21rocsparse_complex_numIdEEEvi20rocsparse_direction_NS_24const_host_device_scalarIT2_EEPKiS8_PKS5_SA_S6_PS5_21rocsparse_index_base_b.numbered_sgpr, 13
	.set _ZN9rocsparseL19gebsrmvn_1xn_kernelILj128ELj15ELj16E21rocsparse_complex_numIdEEEvi20rocsparse_direction_NS_24const_host_device_scalarIT2_EEPKiS8_PKS5_SA_S6_PS5_21rocsparse_index_base_b.num_named_barrier, 0
	.set _ZN9rocsparseL19gebsrmvn_1xn_kernelILj128ELj15ELj16E21rocsparse_complex_numIdEEEvi20rocsparse_direction_NS_24const_host_device_scalarIT2_EEPKiS8_PKS5_SA_S6_PS5_21rocsparse_index_base_b.private_seg_size, 0
	.set _ZN9rocsparseL19gebsrmvn_1xn_kernelILj128ELj15ELj16E21rocsparse_complex_numIdEEEvi20rocsparse_direction_NS_24const_host_device_scalarIT2_EEPKiS8_PKS5_SA_S6_PS5_21rocsparse_index_base_b.uses_vcc, 1
	.set _ZN9rocsparseL19gebsrmvn_1xn_kernelILj128ELj15ELj16E21rocsparse_complex_numIdEEEvi20rocsparse_direction_NS_24const_host_device_scalarIT2_EEPKiS8_PKS5_SA_S6_PS5_21rocsparse_index_base_b.uses_flat_scratch, 0
	.set _ZN9rocsparseL19gebsrmvn_1xn_kernelILj128ELj15ELj16E21rocsparse_complex_numIdEEEvi20rocsparse_direction_NS_24const_host_device_scalarIT2_EEPKiS8_PKS5_SA_S6_PS5_21rocsparse_index_base_b.has_dyn_sized_stack, 0
	.set _ZN9rocsparseL19gebsrmvn_1xn_kernelILj128ELj15ELj16E21rocsparse_complex_numIdEEEvi20rocsparse_direction_NS_24const_host_device_scalarIT2_EEPKiS8_PKS5_SA_S6_PS5_21rocsparse_index_base_b.has_recursion, 0
	.set _ZN9rocsparseL19gebsrmvn_1xn_kernelILj128ELj15ELj16E21rocsparse_complex_numIdEEEvi20rocsparse_direction_NS_24const_host_device_scalarIT2_EEPKiS8_PKS5_SA_S6_PS5_21rocsparse_index_base_b.has_indirect_call, 0
	.section	.AMDGPU.csdata,"",@progbits
; Kernel info:
; codeLenInByte = 2560
; TotalNumSgprs: 15
; NumVgprs: 73
; ScratchSize: 0
; MemoryBound: 0
; FloatMode: 240
; IeeeMode: 1
; LDSByteSize: 0 bytes/workgroup (compile time only)
; SGPRBlocks: 0
; VGPRBlocks: 9
; NumSGPRsForWavesPerEU: 15
; NumVGPRsForWavesPerEU: 73
; Occupancy: 12
; WaveLimiterHint : 1
; COMPUTE_PGM_RSRC2:SCRATCH_EN: 0
; COMPUTE_PGM_RSRC2:USER_SGPR: 6
; COMPUTE_PGM_RSRC2:TRAP_HANDLER: 0
; COMPUTE_PGM_RSRC2:TGID_X_EN: 1
; COMPUTE_PGM_RSRC2:TGID_Y_EN: 0
; COMPUTE_PGM_RSRC2:TGID_Z_EN: 0
; COMPUTE_PGM_RSRC2:TIDIG_COMP_CNT: 0
	.section	.text._ZN9rocsparseL19gebsrmvn_1xn_kernelILj128ELj15ELj32E21rocsparse_complex_numIdEEEvi20rocsparse_direction_NS_24const_host_device_scalarIT2_EEPKiS8_PKS5_SA_S6_PS5_21rocsparse_index_base_b,"axG",@progbits,_ZN9rocsparseL19gebsrmvn_1xn_kernelILj128ELj15ELj32E21rocsparse_complex_numIdEEEvi20rocsparse_direction_NS_24const_host_device_scalarIT2_EEPKiS8_PKS5_SA_S6_PS5_21rocsparse_index_base_b,comdat
	.globl	_ZN9rocsparseL19gebsrmvn_1xn_kernelILj128ELj15ELj32E21rocsparse_complex_numIdEEEvi20rocsparse_direction_NS_24const_host_device_scalarIT2_EEPKiS8_PKS5_SA_S6_PS5_21rocsparse_index_base_b ; -- Begin function _ZN9rocsparseL19gebsrmvn_1xn_kernelILj128ELj15ELj32E21rocsparse_complex_numIdEEEvi20rocsparse_direction_NS_24const_host_device_scalarIT2_EEPKiS8_PKS5_SA_S6_PS5_21rocsparse_index_base_b
	.p2align	8
	.type	_ZN9rocsparseL19gebsrmvn_1xn_kernelILj128ELj15ELj32E21rocsparse_complex_numIdEEEvi20rocsparse_direction_NS_24const_host_device_scalarIT2_EEPKiS8_PKS5_SA_S6_PS5_21rocsparse_index_base_b,@function
_ZN9rocsparseL19gebsrmvn_1xn_kernelILj128ELj15ELj32E21rocsparse_complex_numIdEEEvi20rocsparse_direction_NS_24const_host_device_scalarIT2_EEPKiS8_PKS5_SA_S6_PS5_21rocsparse_index_base_b: ; @_ZN9rocsparseL19gebsrmvn_1xn_kernelILj128ELj15ELj32E21rocsparse_complex_numIdEEEvi20rocsparse_direction_NS_24const_host_device_scalarIT2_EEPKiS8_PKS5_SA_S6_PS5_21rocsparse_index_base_b
; %bb.0:
	s_clause 0x1
	s_load_dwordx2 s[8:9], s[4:5], 0x50
	s_load_dwordx2 s[0:1], s[4:5], 0x8
	s_add_u32 s7, s4, 8
	s_addc_u32 s10, s5, 0
	s_add_u32 s11, s4, 56
	s_addc_u32 s12, s5, 0
	s_load_dwordx2 s[2:3], s[4:5], 0x38
	s_waitcnt lgkmcnt(0)
	s_bitcmp1_b32 s9, 0
	s_cselect_b32 s0, s7, s0
	s_cselect_b32 s1, s10, s1
	v_mov_b32_e32 v1, s0
	v_mov_b32_e32 v2, s1
	s_cselect_b32 s0, s11, s2
	s_cselect_b32 s1, s12, s3
	flat_load_dwordx4 v[5:8], v[1:2]
	v_mov_b32_e32 v1, s0
	v_mov_b32_e32 v2, s1
	flat_load_dwordx4 v[1:4], v[1:2]
	s_waitcnt vmcnt(1) lgkmcnt(1)
	v_cmp_eq_f64_e32 vcc_lo, 0, v[5:6]
	v_cmp_eq_f64_e64 s0, 0, v[7:8]
	s_and_b32 s2, vcc_lo, s0
	s_mov_b32 s0, -1
	s_and_saveexec_b32 s1, s2
	s_cbranch_execz .LBB296_2
; %bb.1:
	s_waitcnt vmcnt(0) lgkmcnt(0)
	v_cmp_neq_f64_e32 vcc_lo, 1.0, v[1:2]
	v_cmp_neq_f64_e64 s0, 0, v[3:4]
	s_or_b32 s0, vcc_lo, s0
	s_orn2_b32 s0, s0, exec_lo
.LBB296_2:
	s_or_b32 exec_lo, exec_lo, s1
	s_and_saveexec_b32 s1, s0
	s_cbranch_execz .LBB296_13
; %bb.3:
	s_load_dword s0, s[4:5], 0x0
	v_lshrrev_b32_e32 v9, 5, v0
	v_lshl_or_b32 v9, s6, 2, v9
	s_waitcnt lgkmcnt(0)
	v_cmp_gt_i32_e32 vcc_lo, s0, v9
	s_and_b32 exec_lo, exec_lo, vcc_lo
	s_cbranch_execz .LBB296_13
; %bb.4:
	s_clause 0x1
	s_load_dwordx2 s[0:1], s[4:5], 0x18
	s_load_dwordx2 s[6:7], s[4:5], 0x48
	v_ashrrev_i32_e32 v10, 31, v9
	v_and_b32_e32 v0, 31, v0
	v_mov_b32_e32 v18, 0
	v_mov_b32_e32 v20, 0
	v_mov_b32_e32 v19, 0
	v_lshlrev_b64 v[11:12], 2, v[9:10]
	v_subrev_nc_u32_e32 v13, s8, v0
	v_mov_b32_e32 v21, 0
	s_mov_b32 s9, exec_lo
	s_waitcnt lgkmcnt(0)
	v_add_co_u32 v11, vcc_lo, s0, v11
	v_add_co_ci_u32_e64 v12, null, s1, v12, vcc_lo
	global_load_dwordx2 v[11:12], v[11:12], off
	s_waitcnt vmcnt(0)
	v_subrev_nc_u32_e32 v22, s8, v12
	v_add_nc_u32_e32 v11, v11, v13
	v_cmpx_lt_i32_e64 v11, v22
	s_cbranch_execz .LBB296_8
; %bb.5:
	s_clause 0x1
	s_load_dwordx4 s[0:3], s[4:5], 0x20
	s_load_dwordx2 s[4:5], s[4:5], 0x30
	v_mad_u64_u32 v[13:14], null, v11, 15, 14
	v_mov_b32_e32 v18, 0
	v_mov_b32_e32 v20, 0
	;; [unrolled: 1-line block ×5, first 2 shown]
	s_mov_b32 s10, 0
.LBB296_6:                              ; =>This Inner Loop Header: Depth=1
	v_ashrrev_i32_e32 v12, 31, v11
	v_add_nc_u32_e32 v14, -14, v13
	v_lshlrev_b64 v[16:17], 2, v[11:12]
	v_lshlrev_b64 v[23:24], 4, v[14:15]
	v_add_nc_u32_e32 v14, -13, v13
	v_add_nc_u32_e32 v11, 32, v11
	s_waitcnt lgkmcnt(0)
	v_add_co_u32 v16, vcc_lo, s0, v16
	v_add_co_ci_u32_e64 v17, null, s1, v17, vcc_lo
	v_lshlrev_b64 v[25:26], 4, v[14:15]
	v_add_co_u32 v23, vcc_lo, s2, v23
	global_load_dword v12, v[16:17], off
	v_mov_b32_e32 v17, v15
	v_add_co_ci_u32_e64 v24, null, s3, v24, vcc_lo
	v_add_co_u32 v27, vcc_lo, s2, v25
	v_add_co_ci_u32_e64 v28, null, s3, v26, vcc_lo
	s_clause 0x1
	global_load_dwordx4 v[23:26], v[23:24], off
	global_load_dwordx4 v[27:30], v[27:28], off
	s_waitcnt vmcnt(2)
	v_subrev_nc_u32_e32 v12, s8, v12
	v_mul_lo_u32 v16, v12, 15
	v_lshlrev_b64 v[31:32], 4, v[16:17]
	v_add_nc_u32_e32 v14, 1, v16
	v_lshlrev_b64 v[35:36], 4, v[14:15]
	v_add_co_u32 v31, vcc_lo, s4, v31
	v_add_co_ci_u32_e64 v32, null, s5, v32, vcc_lo
	v_add_nc_u32_e32 v14, -12, v13
	v_add_co_u32 v35, vcc_lo, s4, v35
	global_load_dwordx4 v[31:34], v[31:32], off
	v_add_co_ci_u32_e64 v36, null, s5, v36, vcc_lo
	v_lshlrev_b64 v[39:40], 4, v[14:15]
	v_add_nc_u32_e32 v14, 2, v16
	global_load_dwordx4 v[35:38], v[35:36], off
	v_lshlrev_b64 v[41:42], 4, v[14:15]
	v_add_co_u32 v39, vcc_lo, s2, v39
	v_add_co_ci_u32_e64 v40, null, s3, v40, vcc_lo
	v_add_nc_u32_e32 v14, -11, v13
	v_add_co_u32 v43, vcc_lo, s4, v41
	v_add_co_ci_u32_e64 v44, null, s5, v42, vcc_lo
	global_load_dwordx4 v[39:42], v[39:40], off
	v_lshlrev_b64 v[47:48], 4, v[14:15]
	v_add_nc_u32_e32 v14, 3, v16
	global_load_dwordx4 v[43:46], v[43:44], off
	v_lshlrev_b64 v[49:50], 4, v[14:15]
	v_add_co_u32 v47, vcc_lo, s2, v47
	v_add_co_ci_u32_e64 v48, null, s3, v48, vcc_lo
	v_add_nc_u32_e32 v14, -10, v13
	v_add_co_u32 v51, vcc_lo, s4, v49
	v_add_co_ci_u32_e64 v52, null, s5, v50, vcc_lo
	global_load_dwordx4 v[47:50], v[47:48], off
	;; [unrolled: 10-line block ×3, first 2 shown]
	v_lshlrev_b64 v[63:64], 4, v[14:15]
	v_add_nc_u32_e32 v14, 5, v16
	global_load_dwordx4 v[59:62], v[59:60], off
	v_lshlrev_b64 v[65:66], 4, v[14:15]
	v_add_co_u32 v63, vcc_lo, s2, v63
	v_add_co_ci_u32_e64 v64, null, s3, v64, vcc_lo
	v_add_nc_u32_e32 v14, -8, v13
	v_add_co_u32 v65, vcc_lo, s4, v65
	v_add_co_ci_u32_e64 v66, null, s5, v66, vcc_lo
	v_lshlrev_b64 v[67:68], 4, v[14:15]
	v_add_nc_u32_e32 v14, 6, v16
	s_waitcnt vmcnt(7)
	v_fma_f64 v[20:21], v[23:24], v[31:32], v[20:21]
	v_fma_f64 v[17:18], v[25:26], v[31:32], v[18:19]
	v_fma_f64 v[31:32], -v[25:26], v[33:34], v[20:21]
	v_fma_f64 v[33:34], v[23:24], v[33:34], v[17:18]
	global_load_dwordx4 v[17:20], v[63:64], off
	global_load_dwordx4 v[23:26], v[65:66], off
	v_lshlrev_b64 v[63:64], 4, v[14:15]
	v_add_co_u32 v65, vcc_lo, s2, v67
	v_add_co_ci_u32_e64 v66, null, s3, v68, vcc_lo
	v_add_nc_u32_e32 v14, -7, v13
	v_add_co_u32 v63, vcc_lo, s4, v63
	v_add_co_ci_u32_e64 v64, null, s5, v64, vcc_lo
	v_lshlrev_b64 v[67:68], 4, v[14:15]
	v_add_nc_u32_e32 v14, 7, v16
	s_waitcnt vmcnt(8)
	v_fma_f64 v[31:32], v[27:28], v[35:36], v[31:32]
	v_fma_f64 v[33:34], v[29:30], v[35:36], v[33:34]
	v_fma_f64 v[35:36], -v[29:30], v[37:38], v[31:32]
	v_fma_f64 v[37:38], v[27:28], v[37:38], v[33:34]
	global_load_dwordx4 v[27:30], v[65:66], off
	global_load_dwordx4 v[31:34], v[63:64], off
	v_add_co_u32 v63, vcc_lo, s2, v67
	v_add_co_ci_u32_e64 v64, null, s3, v68, vcc_lo
	s_waitcnt vmcnt(8)
	v_fma_f64 v[35:36], v[39:40], v[43:44], v[35:36]
	v_fma_f64 v[37:38], v[41:42], v[43:44], v[37:38]
	v_fma_f64 v[43:44], -v[41:42], v[45:46], v[35:36]
	v_fma_f64 v[45:46], v[39:40], v[45:46], v[37:38]
	global_load_dwordx4 v[35:38], v[63:64], off
	v_lshlrev_b64 v[65:66], 4, v[14:15]
	v_add_nc_u32_e32 v14, -6, v13
	v_add_co_u32 v65, vcc_lo, s4, v65
	v_add_co_ci_u32_e64 v66, null, s5, v66, vcc_lo
	v_lshlrev_b64 v[67:68], 4, v[14:15]
	v_add_nc_u32_e32 v14, 8, v16
	global_load_dwordx4 v[39:42], v[65:66], off
	v_lshlrev_b64 v[63:64], 4, v[14:15]
	v_add_co_u32 v65, vcc_lo, s2, v67
	s_waitcnt vmcnt(8)
	v_fma_f64 v[43:44], v[47:48], v[51:52], v[43:44]
	v_fma_f64 v[45:46], v[49:50], v[51:52], v[45:46]
	v_add_co_ci_u32_e64 v66, null, s3, v68, vcc_lo
	v_add_co_u32 v63, vcc_lo, s4, v63
	v_add_co_ci_u32_e64 v64, null, s5, v64, vcc_lo
	v_add_nc_u32_e32 v14, -5, v13
	v_lshlrev_b64 v[67:68], 4, v[14:15]
	v_add_nc_u32_e32 v14, 9, v16
	v_fma_f64 v[51:52], -v[49:50], v[53:54], v[43:44]
	v_fma_f64 v[53:54], v[47:48], v[53:54], v[45:46]
	global_load_dwordx4 v[43:46], v[65:66], off
	global_load_dwordx4 v[47:50], v[63:64], off
	v_lshlrev_b64 v[63:64], 4, v[14:15]
	v_add_co_u32 v65, vcc_lo, s2, v67
	v_add_co_ci_u32_e64 v66, null, s3, v68, vcc_lo
	v_add_nc_u32_e32 v14, -4, v13
	v_add_co_u32 v63, vcc_lo, s4, v63
	v_add_co_ci_u32_e64 v64, null, s5, v64, vcc_lo
	v_lshlrev_b64 v[67:68], 4, v[14:15]
	v_add_nc_u32_e32 v14, 10, v16
	s_waitcnt vmcnt(8)
	v_fma_f64 v[51:52], v[55:56], v[59:60], v[51:52]
	v_fma_f64 v[53:54], v[57:58], v[59:60], v[53:54]
	v_fma_f64 v[59:60], -v[57:58], v[61:62], v[51:52]
	v_fma_f64 v[61:62], v[55:56], v[61:62], v[53:54]
	global_load_dwordx4 v[51:54], v[65:66], off
	global_load_dwordx4 v[55:58], v[63:64], off
	v_lshlrev_b64 v[63:64], 4, v[14:15]
	v_add_co_u32 v65, vcc_lo, s2, v67
	v_add_co_ci_u32_e64 v66, null, s3, v68, vcc_lo
	v_add_nc_u32_e32 v14, -3, v13
	v_add_co_u32 v63, vcc_lo, s4, v63
	v_add_co_ci_u32_e64 v64, null, s5, v64, vcc_lo
	v_lshlrev_b64 v[67:68], 4, v[14:15]
	v_add_nc_u32_e32 v14, 11, v16
	s_waitcnt vmcnt(8)
	v_fma_f64 v[59:60], v[17:18], v[23:24], v[59:60]
	v_fma_f64 v[23:24], v[19:20], v[23:24], v[61:62]
	v_add_co_u32 v61, vcc_lo, s2, v67
	v_add_co_ci_u32_e64 v62, null, s3, v68, vcc_lo
	v_fma_f64 v[69:70], -v[19:20], v[25:26], v[59:60]
	v_fma_f64 v[71:72], v[17:18], v[25:26], v[23:24]
	global_load_dwordx4 v[17:20], v[65:66], off
	global_load_dwordx4 v[23:26], v[63:64], off
	v_lshlrev_b64 v[59:60], 4, v[14:15]
	v_add_nc_u32_e32 v14, -2, v13
	v_add_co_u32 v63, vcc_lo, s4, v59
	v_add_co_ci_u32_e64 v64, null, s5, v60, vcc_lo
	global_load_dwordx4 v[59:62], v[61:62], off
	s_waitcnt vmcnt(9)
	v_fma_f64 v[65:66], v[27:28], v[31:32], v[69:70]
	v_fma_f64 v[31:32], v[29:30], v[31:32], v[71:72]
	v_fma_f64 v[65:66], -v[29:30], v[33:34], v[65:66]
	v_fma_f64 v[67:68], v[27:28], v[33:34], v[31:32]
	global_load_dwordx4 v[27:30], v[63:64], off
	v_lshlrev_b64 v[31:32], 4, v[14:15]
	v_add_nc_u32_e32 v14, 12, v16
	v_lshlrev_b64 v[33:34], 4, v[14:15]
	v_add_co_u32 v31, vcc_lo, s2, v31
	v_add_co_ci_u32_e64 v32, null, s3, v32, vcc_lo
	v_add_nc_u32_e32 v14, -1, v13
	v_add_co_u32 v63, vcc_lo, s4, v33
	v_add_co_ci_u32_e64 v64, null, s5, v34, vcc_lo
	global_load_dwordx4 v[31:34], v[31:32], off
	s_waitcnt vmcnt(9)
	v_fma_f64 v[65:66], v[35:36], v[39:40], v[65:66]
	v_fma_f64 v[39:40], v[37:38], v[39:40], v[67:68]
	v_fma_f64 v[65:66], -v[37:38], v[41:42], v[65:66]
	v_fma_f64 v[67:68], v[35:36], v[41:42], v[39:40]
	global_load_dwordx4 v[35:38], v[63:64], off
	v_lshlrev_b64 v[39:40], 4, v[14:15]
	v_add_nc_u32_e32 v14, 13, v16
	v_lshlrev_b64 v[41:42], 4, v[14:15]
	v_add_co_u32 v39, vcc_lo, s2, v39
	v_add_co_ci_u32_e64 v40, null, s3, v40, vcc_lo
	v_mov_b32_e32 v14, v15
	v_add_co_u32 v63, vcc_lo, s4, v41
	v_add_co_ci_u32_e64 v64, null, s5, v42, vcc_lo
	global_load_dwordx4 v[39:42], v[39:40], off
	s_waitcnt vmcnt(9)
	v_fma_f64 v[65:66], v[43:44], v[47:48], v[65:66]
	v_fma_f64 v[47:48], v[45:46], v[47:48], v[67:68]
	v_fma_f64 v[67:68], -v[45:46], v[49:50], v[65:66]
	v_fma_f64 v[69:70], v[43:44], v[49:50], v[47:48]
	global_load_dwordx4 v[43:46], v[63:64], off
	v_lshlrev_b64 v[47:48], 4, v[13:14]
	v_add_nc_u32_e32 v14, 14, v16
	v_add_nc_u32_e32 v13, 0x1e0, v13
	v_lshlrev_b64 v[49:50], 4, v[14:15]
	v_add_co_u32 v47, vcc_lo, s2, v47
	v_add_co_ci_u32_e64 v48, null, s3, v48, vcc_lo
	v_add_co_u32 v63, vcc_lo, s4, v49
	v_add_co_ci_u32_e64 v64, null, s5, v50, vcc_lo
	global_load_dwordx4 v[47:50], v[47:48], off
	global_load_dwordx4 v[63:66], v[63:64], off
	s_waitcnt vmcnt(10)
	v_fma_f64 v[67:68], v[51:52], v[55:56], v[67:68]
	v_fma_f64 v[55:56], v[53:54], v[55:56], v[69:70]
	v_cmp_ge_i32_e32 vcc_lo, v11, v22
	s_or_b32 s10, vcc_lo, s10
	v_fma_f64 v[53:54], -v[53:54], v[57:58], v[67:68]
	v_fma_f64 v[51:52], v[51:52], v[57:58], v[55:56]
	s_waitcnt vmcnt(8)
	v_fma_f64 v[53:54], v[17:18], v[23:24], v[53:54]
	v_fma_f64 v[23:24], v[19:20], v[23:24], v[51:52]
	v_fma_f64 v[19:20], -v[19:20], v[25:26], v[53:54]
	v_fma_f64 v[16:17], v[17:18], v[25:26], v[23:24]
	s_waitcnt vmcnt(6)
	v_fma_f64 v[18:19], v[59:60], v[27:28], v[19:20]
	v_fma_f64 v[16:17], v[61:62], v[27:28], v[16:17]
	;; [unrolled: 5-line block ×5, first 2 shown]
	v_fma_f64 v[20:21], -v[49:50], v[65:66], v[18:19]
	v_fma_f64 v[18:19], v[47:48], v[65:66], v[16:17]
	s_andn2_b32 exec_lo, exec_lo, s10
	s_cbranch_execnz .LBB296_6
; %bb.7:
	s_or_b32 exec_lo, exec_lo, s10
.LBB296_8:
	s_or_b32 exec_lo, exec_lo, s9
	v_mbcnt_lo_u32_b32 v22, -1, 0
	v_xor_b32_e32 v11, 16, v22
	v_xor_b32_e32 v15, 8, v22
	v_cmp_gt_i32_e32 vcc_lo, 32, v11
	v_cndmask_b32_e32 v11, v22, v11, vcc_lo
	v_cmp_gt_i32_e32 vcc_lo, 32, v15
	v_lshlrev_b32_e32 v14, 2, v11
	v_cndmask_b32_e32 v15, v22, v15, vcc_lo
	ds_bpermute_b32 v11, v14, v20
	ds_bpermute_b32 v12, v14, v21
	;; [unrolled: 1-line block ×4, first 2 shown]
	s_waitcnt lgkmcnt(2)
	v_add_f64 v[11:12], v[20:21], v[11:12]
	s_waitcnt lgkmcnt(0)
	v_add_f64 v[13:14], v[18:19], v[13:14]
	v_lshlrev_b32_e32 v18, 2, v15
	ds_bpermute_b32 v15, v18, v11
	ds_bpermute_b32 v16, v18, v12
	ds_bpermute_b32 v17, v18, v13
	ds_bpermute_b32 v18, v18, v14
	s_waitcnt lgkmcnt(2)
	v_add_f64 v[11:12], v[11:12], v[15:16]
	v_xor_b32_e32 v15, 4, v22
	s_waitcnt lgkmcnt(0)
	v_add_f64 v[13:14], v[13:14], v[17:18]
	v_cmp_gt_i32_e32 vcc_lo, 32, v15
	v_cndmask_b32_e32 v15, v22, v15, vcc_lo
	v_lshlrev_b32_e32 v18, 2, v15
	ds_bpermute_b32 v15, v18, v11
	ds_bpermute_b32 v16, v18, v12
	ds_bpermute_b32 v17, v18, v13
	ds_bpermute_b32 v18, v18, v14
	s_waitcnt lgkmcnt(2)
	v_add_f64 v[11:12], v[11:12], v[15:16]
	v_xor_b32_e32 v15, 2, v22
	s_waitcnt lgkmcnt(0)
	v_add_f64 v[13:14], v[13:14], v[17:18]
	v_cmp_gt_i32_e32 vcc_lo, 32, v15
	v_cndmask_b32_e32 v15, v22, v15, vcc_lo
	;; [unrolled: 12-line block ×3, first 2 shown]
	v_cmp_eq_u32_e32 vcc_lo, 31, v0
	v_lshlrev_b32_e32 v18, 2, v15
	ds_bpermute_b32 v15, v18, v11
	ds_bpermute_b32 v16, v18, v12
	;; [unrolled: 1-line block ×4, first 2 shown]
	s_and_b32 exec_lo, exec_lo, vcc_lo
	s_cbranch_execz .LBB296_13
; %bb.9:
	s_waitcnt lgkmcnt(0)
	v_add_f64 v[13:14], v[13:14], v[17:18]
	v_add_f64 v[11:12], v[11:12], v[15:16]
	v_cmp_eq_f64_e32 vcc_lo, 0, v[1:2]
	v_cmp_eq_f64_e64 s0, 0, v[3:4]
	v_lshlrev_b64 v[9:10], 4, v[9:10]
	v_mul_f64 v[15:16], v[13:14], -v[7:8]
	v_mul_f64 v[13:14], v[5:6], v[13:14]
	s_and_b32 s0, vcc_lo, s0
	v_fma_f64 v[5:6], v[5:6], v[11:12], v[15:16]
	v_fma_f64 v[7:8], v[7:8], v[11:12], v[13:14]
	s_and_saveexec_b32 s1, s0
	s_xor_b32 s0, exec_lo, s1
	s_cbranch_execz .LBB296_11
; %bb.10:
	v_add_co_u32 v0, vcc_lo, s6, v9
	v_add_co_ci_u32_e64 v1, null, s7, v10, vcc_lo
                                        ; implicit-def: $vgpr9_vgpr10
	global_store_dwordx4 v[0:1], v[5:8], off
                                        ; implicit-def: $vgpr1_vgpr2
                                        ; implicit-def: $vgpr5_vgpr6
.LBB296_11:
	s_andn2_saveexec_b32 s0, s0
	s_cbranch_execz .LBB296_13
; %bb.12:
	v_add_co_u32 v13, vcc_lo, s6, v9
	v_add_co_ci_u32_e64 v14, null, s7, v10, vcc_lo
	global_load_dwordx4 v[9:12], v[13:14], off
	s_waitcnt vmcnt(0)
	v_fma_f64 v[5:6], v[1:2], v[9:10], v[5:6]
	v_fma_f64 v[7:8], v[3:4], v[9:10], v[7:8]
	v_fma_f64 v[3:4], -v[3:4], v[11:12], v[5:6]
	v_fma_f64 v[5:6], v[1:2], v[11:12], v[7:8]
	global_store_dwordx4 v[13:14], v[3:6], off
.LBB296_13:
	s_endpgm
	.section	.rodata,"a",@progbits
	.p2align	6, 0x0
	.amdhsa_kernel _ZN9rocsparseL19gebsrmvn_1xn_kernelILj128ELj15ELj32E21rocsparse_complex_numIdEEEvi20rocsparse_direction_NS_24const_host_device_scalarIT2_EEPKiS8_PKS5_SA_S6_PS5_21rocsparse_index_base_b
		.amdhsa_group_segment_fixed_size 0
		.amdhsa_private_segment_fixed_size 0
		.amdhsa_kernarg_size 88
		.amdhsa_user_sgpr_count 6
		.amdhsa_user_sgpr_private_segment_buffer 1
		.amdhsa_user_sgpr_dispatch_ptr 0
		.amdhsa_user_sgpr_queue_ptr 0
		.amdhsa_user_sgpr_kernarg_segment_ptr 1
		.amdhsa_user_sgpr_dispatch_id 0
		.amdhsa_user_sgpr_flat_scratch_init 0
		.amdhsa_user_sgpr_private_segment_size 0
		.amdhsa_wavefront_size32 1
		.amdhsa_uses_dynamic_stack 0
		.amdhsa_system_sgpr_private_segment_wavefront_offset 0
		.amdhsa_system_sgpr_workgroup_id_x 1
		.amdhsa_system_sgpr_workgroup_id_y 0
		.amdhsa_system_sgpr_workgroup_id_z 0
		.amdhsa_system_sgpr_workgroup_info 0
		.amdhsa_system_vgpr_workitem_id 0
		.amdhsa_next_free_vgpr 73
		.amdhsa_next_free_sgpr 13
		.amdhsa_reserve_vcc 1
		.amdhsa_reserve_flat_scratch 0
		.amdhsa_float_round_mode_32 0
		.amdhsa_float_round_mode_16_64 0
		.amdhsa_float_denorm_mode_32 3
		.amdhsa_float_denorm_mode_16_64 3
		.amdhsa_dx10_clamp 1
		.amdhsa_ieee_mode 1
		.amdhsa_fp16_overflow 0
		.amdhsa_workgroup_processor_mode 1
		.amdhsa_memory_ordered 1
		.amdhsa_forward_progress 1
		.amdhsa_shared_vgpr_count 0
		.amdhsa_exception_fp_ieee_invalid_op 0
		.amdhsa_exception_fp_denorm_src 0
		.amdhsa_exception_fp_ieee_div_zero 0
		.amdhsa_exception_fp_ieee_overflow 0
		.amdhsa_exception_fp_ieee_underflow 0
		.amdhsa_exception_fp_ieee_inexact 0
		.amdhsa_exception_int_div_zero 0
	.end_amdhsa_kernel
	.section	.text._ZN9rocsparseL19gebsrmvn_1xn_kernelILj128ELj15ELj32E21rocsparse_complex_numIdEEEvi20rocsparse_direction_NS_24const_host_device_scalarIT2_EEPKiS8_PKS5_SA_S6_PS5_21rocsparse_index_base_b,"axG",@progbits,_ZN9rocsparseL19gebsrmvn_1xn_kernelILj128ELj15ELj32E21rocsparse_complex_numIdEEEvi20rocsparse_direction_NS_24const_host_device_scalarIT2_EEPKiS8_PKS5_SA_S6_PS5_21rocsparse_index_base_b,comdat
.Lfunc_end296:
	.size	_ZN9rocsparseL19gebsrmvn_1xn_kernelILj128ELj15ELj32E21rocsparse_complex_numIdEEEvi20rocsparse_direction_NS_24const_host_device_scalarIT2_EEPKiS8_PKS5_SA_S6_PS5_21rocsparse_index_base_b, .Lfunc_end296-_ZN9rocsparseL19gebsrmvn_1xn_kernelILj128ELj15ELj32E21rocsparse_complex_numIdEEEvi20rocsparse_direction_NS_24const_host_device_scalarIT2_EEPKiS8_PKS5_SA_S6_PS5_21rocsparse_index_base_b
                                        ; -- End function
	.set _ZN9rocsparseL19gebsrmvn_1xn_kernelILj128ELj15ELj32E21rocsparse_complex_numIdEEEvi20rocsparse_direction_NS_24const_host_device_scalarIT2_EEPKiS8_PKS5_SA_S6_PS5_21rocsparse_index_base_b.num_vgpr, 73
	.set _ZN9rocsparseL19gebsrmvn_1xn_kernelILj128ELj15ELj32E21rocsparse_complex_numIdEEEvi20rocsparse_direction_NS_24const_host_device_scalarIT2_EEPKiS8_PKS5_SA_S6_PS5_21rocsparse_index_base_b.num_agpr, 0
	.set _ZN9rocsparseL19gebsrmvn_1xn_kernelILj128ELj15ELj32E21rocsparse_complex_numIdEEEvi20rocsparse_direction_NS_24const_host_device_scalarIT2_EEPKiS8_PKS5_SA_S6_PS5_21rocsparse_index_base_b.numbered_sgpr, 13
	.set _ZN9rocsparseL19gebsrmvn_1xn_kernelILj128ELj15ELj32E21rocsparse_complex_numIdEEEvi20rocsparse_direction_NS_24const_host_device_scalarIT2_EEPKiS8_PKS5_SA_S6_PS5_21rocsparse_index_base_b.num_named_barrier, 0
	.set _ZN9rocsparseL19gebsrmvn_1xn_kernelILj128ELj15ELj32E21rocsparse_complex_numIdEEEvi20rocsparse_direction_NS_24const_host_device_scalarIT2_EEPKiS8_PKS5_SA_S6_PS5_21rocsparse_index_base_b.private_seg_size, 0
	.set _ZN9rocsparseL19gebsrmvn_1xn_kernelILj128ELj15ELj32E21rocsparse_complex_numIdEEEvi20rocsparse_direction_NS_24const_host_device_scalarIT2_EEPKiS8_PKS5_SA_S6_PS5_21rocsparse_index_base_b.uses_vcc, 1
	.set _ZN9rocsparseL19gebsrmvn_1xn_kernelILj128ELj15ELj32E21rocsparse_complex_numIdEEEvi20rocsparse_direction_NS_24const_host_device_scalarIT2_EEPKiS8_PKS5_SA_S6_PS5_21rocsparse_index_base_b.uses_flat_scratch, 0
	.set _ZN9rocsparseL19gebsrmvn_1xn_kernelILj128ELj15ELj32E21rocsparse_complex_numIdEEEvi20rocsparse_direction_NS_24const_host_device_scalarIT2_EEPKiS8_PKS5_SA_S6_PS5_21rocsparse_index_base_b.has_dyn_sized_stack, 0
	.set _ZN9rocsparseL19gebsrmvn_1xn_kernelILj128ELj15ELj32E21rocsparse_complex_numIdEEEvi20rocsparse_direction_NS_24const_host_device_scalarIT2_EEPKiS8_PKS5_SA_S6_PS5_21rocsparse_index_base_b.has_recursion, 0
	.set _ZN9rocsparseL19gebsrmvn_1xn_kernelILj128ELj15ELj32E21rocsparse_complex_numIdEEEvi20rocsparse_direction_NS_24const_host_device_scalarIT2_EEPKiS8_PKS5_SA_S6_PS5_21rocsparse_index_base_b.has_indirect_call, 0
	.section	.AMDGPU.csdata,"",@progbits
; Kernel info:
; codeLenInByte = 2632
; TotalNumSgprs: 15
; NumVgprs: 73
; ScratchSize: 0
; MemoryBound: 0
; FloatMode: 240
; IeeeMode: 1
; LDSByteSize: 0 bytes/workgroup (compile time only)
; SGPRBlocks: 0
; VGPRBlocks: 9
; NumSGPRsForWavesPerEU: 15
; NumVGPRsForWavesPerEU: 73
; Occupancy: 12
; WaveLimiterHint : 1
; COMPUTE_PGM_RSRC2:SCRATCH_EN: 0
; COMPUTE_PGM_RSRC2:USER_SGPR: 6
; COMPUTE_PGM_RSRC2:TRAP_HANDLER: 0
; COMPUTE_PGM_RSRC2:TGID_X_EN: 1
; COMPUTE_PGM_RSRC2:TGID_Y_EN: 0
; COMPUTE_PGM_RSRC2:TGID_Z_EN: 0
; COMPUTE_PGM_RSRC2:TIDIG_COMP_CNT: 0
	.section	.text._ZN9rocsparseL19gebsrmvn_1xn_kernelILj128ELj15ELj64E21rocsparse_complex_numIdEEEvi20rocsparse_direction_NS_24const_host_device_scalarIT2_EEPKiS8_PKS5_SA_S6_PS5_21rocsparse_index_base_b,"axG",@progbits,_ZN9rocsparseL19gebsrmvn_1xn_kernelILj128ELj15ELj64E21rocsparse_complex_numIdEEEvi20rocsparse_direction_NS_24const_host_device_scalarIT2_EEPKiS8_PKS5_SA_S6_PS5_21rocsparse_index_base_b,comdat
	.globl	_ZN9rocsparseL19gebsrmvn_1xn_kernelILj128ELj15ELj64E21rocsparse_complex_numIdEEEvi20rocsparse_direction_NS_24const_host_device_scalarIT2_EEPKiS8_PKS5_SA_S6_PS5_21rocsparse_index_base_b ; -- Begin function _ZN9rocsparseL19gebsrmvn_1xn_kernelILj128ELj15ELj64E21rocsparse_complex_numIdEEEvi20rocsparse_direction_NS_24const_host_device_scalarIT2_EEPKiS8_PKS5_SA_S6_PS5_21rocsparse_index_base_b
	.p2align	8
	.type	_ZN9rocsparseL19gebsrmvn_1xn_kernelILj128ELj15ELj64E21rocsparse_complex_numIdEEEvi20rocsparse_direction_NS_24const_host_device_scalarIT2_EEPKiS8_PKS5_SA_S6_PS5_21rocsparse_index_base_b,@function
_ZN9rocsparseL19gebsrmvn_1xn_kernelILj128ELj15ELj64E21rocsparse_complex_numIdEEEvi20rocsparse_direction_NS_24const_host_device_scalarIT2_EEPKiS8_PKS5_SA_S6_PS5_21rocsparse_index_base_b: ; @_ZN9rocsparseL19gebsrmvn_1xn_kernelILj128ELj15ELj64E21rocsparse_complex_numIdEEEvi20rocsparse_direction_NS_24const_host_device_scalarIT2_EEPKiS8_PKS5_SA_S6_PS5_21rocsparse_index_base_b
; %bb.0:
	s_clause 0x1
	s_load_dwordx2 s[8:9], s[4:5], 0x50
	s_load_dwordx2 s[0:1], s[4:5], 0x8
	s_add_u32 s7, s4, 8
	s_addc_u32 s10, s5, 0
	s_add_u32 s11, s4, 56
	s_addc_u32 s12, s5, 0
	s_load_dwordx2 s[2:3], s[4:5], 0x38
	s_waitcnt lgkmcnt(0)
	s_bitcmp1_b32 s9, 0
	s_cselect_b32 s0, s7, s0
	s_cselect_b32 s1, s10, s1
	v_mov_b32_e32 v1, s0
	v_mov_b32_e32 v2, s1
	s_cselect_b32 s0, s11, s2
	s_cselect_b32 s1, s12, s3
	flat_load_dwordx4 v[5:8], v[1:2]
	v_mov_b32_e32 v1, s0
	v_mov_b32_e32 v2, s1
	flat_load_dwordx4 v[1:4], v[1:2]
	s_waitcnt vmcnt(1) lgkmcnt(1)
	v_cmp_eq_f64_e32 vcc_lo, 0, v[5:6]
	v_cmp_eq_f64_e64 s0, 0, v[7:8]
	s_and_b32 s2, vcc_lo, s0
	s_mov_b32 s0, -1
	s_and_saveexec_b32 s1, s2
	s_cbranch_execz .LBB297_2
; %bb.1:
	s_waitcnt vmcnt(0) lgkmcnt(0)
	v_cmp_neq_f64_e32 vcc_lo, 1.0, v[1:2]
	v_cmp_neq_f64_e64 s0, 0, v[3:4]
	s_or_b32 s0, vcc_lo, s0
	s_orn2_b32 s0, s0, exec_lo
.LBB297_2:
	s_or_b32 exec_lo, exec_lo, s1
	s_and_saveexec_b32 s1, s0
	s_cbranch_execz .LBB297_13
; %bb.3:
	s_load_dword s0, s[4:5], 0x0
	v_lshrrev_b32_e32 v9, 6, v0
	v_lshl_or_b32 v9, s6, 1, v9
	s_waitcnt lgkmcnt(0)
	v_cmp_gt_i32_e32 vcc_lo, s0, v9
	s_and_b32 exec_lo, exec_lo, vcc_lo
	s_cbranch_execz .LBB297_13
; %bb.4:
	s_clause 0x1
	s_load_dwordx2 s[0:1], s[4:5], 0x18
	s_load_dwordx2 s[6:7], s[4:5], 0x48
	v_ashrrev_i32_e32 v10, 31, v9
	v_and_b32_e32 v0, 63, v0
	v_mov_b32_e32 v18, 0
	v_mov_b32_e32 v20, 0
	;; [unrolled: 1-line block ×3, first 2 shown]
	v_lshlrev_b64 v[11:12], 2, v[9:10]
	v_subrev_nc_u32_e32 v13, s8, v0
	v_mov_b32_e32 v21, 0
	s_mov_b32 s9, exec_lo
	s_waitcnt lgkmcnt(0)
	v_add_co_u32 v11, vcc_lo, s0, v11
	v_add_co_ci_u32_e64 v12, null, s1, v12, vcc_lo
	global_load_dwordx2 v[11:12], v[11:12], off
	s_waitcnt vmcnt(0)
	v_subrev_nc_u32_e32 v22, s8, v12
	v_add_nc_u32_e32 v11, v11, v13
	v_cmpx_lt_i32_e64 v11, v22
	s_cbranch_execz .LBB297_8
; %bb.5:
	s_clause 0x1
	s_load_dwordx4 s[0:3], s[4:5], 0x20
	s_load_dwordx2 s[4:5], s[4:5], 0x30
	v_mad_u64_u32 v[13:14], null, v11, 15, 14
	v_mov_b32_e32 v18, 0
	v_mov_b32_e32 v20, 0
	v_mov_b32_e32 v19, 0
	v_mov_b32_e32 v21, 0
	v_mov_b32_e32 v15, 0
	s_mov_b32 s10, 0
.LBB297_6:                              ; =>This Inner Loop Header: Depth=1
	v_ashrrev_i32_e32 v12, 31, v11
	v_add_nc_u32_e32 v14, -14, v13
	v_lshlrev_b64 v[16:17], 2, v[11:12]
	v_lshlrev_b64 v[23:24], 4, v[14:15]
	v_add_nc_u32_e32 v14, -13, v13
	v_add_nc_u32_e32 v11, 64, v11
	s_waitcnt lgkmcnt(0)
	v_add_co_u32 v16, vcc_lo, s0, v16
	v_add_co_ci_u32_e64 v17, null, s1, v17, vcc_lo
	v_lshlrev_b64 v[25:26], 4, v[14:15]
	v_add_co_u32 v23, vcc_lo, s2, v23
	global_load_dword v12, v[16:17], off
	v_mov_b32_e32 v17, v15
	v_add_co_ci_u32_e64 v24, null, s3, v24, vcc_lo
	v_add_co_u32 v27, vcc_lo, s2, v25
	v_add_co_ci_u32_e64 v28, null, s3, v26, vcc_lo
	s_clause 0x1
	global_load_dwordx4 v[23:26], v[23:24], off
	global_load_dwordx4 v[27:30], v[27:28], off
	s_waitcnt vmcnt(2)
	v_subrev_nc_u32_e32 v12, s8, v12
	v_mul_lo_u32 v16, v12, 15
	v_lshlrev_b64 v[31:32], 4, v[16:17]
	v_add_nc_u32_e32 v14, 1, v16
	v_lshlrev_b64 v[35:36], 4, v[14:15]
	v_add_co_u32 v31, vcc_lo, s4, v31
	v_add_co_ci_u32_e64 v32, null, s5, v32, vcc_lo
	v_add_nc_u32_e32 v14, -12, v13
	v_add_co_u32 v35, vcc_lo, s4, v35
	global_load_dwordx4 v[31:34], v[31:32], off
	v_add_co_ci_u32_e64 v36, null, s5, v36, vcc_lo
	v_lshlrev_b64 v[39:40], 4, v[14:15]
	v_add_nc_u32_e32 v14, 2, v16
	global_load_dwordx4 v[35:38], v[35:36], off
	v_lshlrev_b64 v[41:42], 4, v[14:15]
	v_add_co_u32 v39, vcc_lo, s2, v39
	v_add_co_ci_u32_e64 v40, null, s3, v40, vcc_lo
	v_add_nc_u32_e32 v14, -11, v13
	v_add_co_u32 v43, vcc_lo, s4, v41
	v_add_co_ci_u32_e64 v44, null, s5, v42, vcc_lo
	global_load_dwordx4 v[39:42], v[39:40], off
	v_lshlrev_b64 v[47:48], 4, v[14:15]
	v_add_nc_u32_e32 v14, 3, v16
	global_load_dwordx4 v[43:46], v[43:44], off
	v_lshlrev_b64 v[49:50], 4, v[14:15]
	v_add_co_u32 v47, vcc_lo, s2, v47
	v_add_co_ci_u32_e64 v48, null, s3, v48, vcc_lo
	v_add_nc_u32_e32 v14, -10, v13
	v_add_co_u32 v51, vcc_lo, s4, v49
	v_add_co_ci_u32_e64 v52, null, s5, v50, vcc_lo
	global_load_dwordx4 v[47:50], v[47:48], off
	;; [unrolled: 10-line block ×3, first 2 shown]
	v_lshlrev_b64 v[63:64], 4, v[14:15]
	v_add_nc_u32_e32 v14, 5, v16
	global_load_dwordx4 v[59:62], v[59:60], off
	v_lshlrev_b64 v[65:66], 4, v[14:15]
	v_add_co_u32 v63, vcc_lo, s2, v63
	v_add_co_ci_u32_e64 v64, null, s3, v64, vcc_lo
	v_add_nc_u32_e32 v14, -8, v13
	v_add_co_u32 v65, vcc_lo, s4, v65
	v_add_co_ci_u32_e64 v66, null, s5, v66, vcc_lo
	v_lshlrev_b64 v[67:68], 4, v[14:15]
	v_add_nc_u32_e32 v14, 6, v16
	s_waitcnt vmcnt(7)
	v_fma_f64 v[20:21], v[23:24], v[31:32], v[20:21]
	v_fma_f64 v[17:18], v[25:26], v[31:32], v[18:19]
	v_fma_f64 v[31:32], -v[25:26], v[33:34], v[20:21]
	v_fma_f64 v[33:34], v[23:24], v[33:34], v[17:18]
	global_load_dwordx4 v[17:20], v[63:64], off
	global_load_dwordx4 v[23:26], v[65:66], off
	v_lshlrev_b64 v[63:64], 4, v[14:15]
	v_add_co_u32 v65, vcc_lo, s2, v67
	v_add_co_ci_u32_e64 v66, null, s3, v68, vcc_lo
	v_add_nc_u32_e32 v14, -7, v13
	v_add_co_u32 v63, vcc_lo, s4, v63
	v_add_co_ci_u32_e64 v64, null, s5, v64, vcc_lo
	v_lshlrev_b64 v[67:68], 4, v[14:15]
	v_add_nc_u32_e32 v14, 7, v16
	s_waitcnt vmcnt(8)
	v_fma_f64 v[31:32], v[27:28], v[35:36], v[31:32]
	v_fma_f64 v[33:34], v[29:30], v[35:36], v[33:34]
	v_fma_f64 v[35:36], -v[29:30], v[37:38], v[31:32]
	v_fma_f64 v[37:38], v[27:28], v[37:38], v[33:34]
	global_load_dwordx4 v[27:30], v[65:66], off
	global_load_dwordx4 v[31:34], v[63:64], off
	v_add_co_u32 v63, vcc_lo, s2, v67
	v_add_co_ci_u32_e64 v64, null, s3, v68, vcc_lo
	s_waitcnt vmcnt(8)
	v_fma_f64 v[35:36], v[39:40], v[43:44], v[35:36]
	v_fma_f64 v[37:38], v[41:42], v[43:44], v[37:38]
	v_fma_f64 v[43:44], -v[41:42], v[45:46], v[35:36]
	v_fma_f64 v[45:46], v[39:40], v[45:46], v[37:38]
	global_load_dwordx4 v[35:38], v[63:64], off
	v_lshlrev_b64 v[65:66], 4, v[14:15]
	v_add_nc_u32_e32 v14, -6, v13
	v_add_co_u32 v65, vcc_lo, s4, v65
	v_add_co_ci_u32_e64 v66, null, s5, v66, vcc_lo
	v_lshlrev_b64 v[67:68], 4, v[14:15]
	v_add_nc_u32_e32 v14, 8, v16
	global_load_dwordx4 v[39:42], v[65:66], off
	v_lshlrev_b64 v[63:64], 4, v[14:15]
	v_add_co_u32 v65, vcc_lo, s2, v67
	s_waitcnt vmcnt(8)
	v_fma_f64 v[43:44], v[47:48], v[51:52], v[43:44]
	v_fma_f64 v[45:46], v[49:50], v[51:52], v[45:46]
	v_add_co_ci_u32_e64 v66, null, s3, v68, vcc_lo
	v_add_co_u32 v63, vcc_lo, s4, v63
	v_add_co_ci_u32_e64 v64, null, s5, v64, vcc_lo
	v_add_nc_u32_e32 v14, -5, v13
	v_lshlrev_b64 v[67:68], 4, v[14:15]
	v_add_nc_u32_e32 v14, 9, v16
	v_fma_f64 v[51:52], -v[49:50], v[53:54], v[43:44]
	v_fma_f64 v[53:54], v[47:48], v[53:54], v[45:46]
	global_load_dwordx4 v[43:46], v[65:66], off
	global_load_dwordx4 v[47:50], v[63:64], off
	v_lshlrev_b64 v[63:64], 4, v[14:15]
	v_add_co_u32 v65, vcc_lo, s2, v67
	v_add_co_ci_u32_e64 v66, null, s3, v68, vcc_lo
	v_add_nc_u32_e32 v14, -4, v13
	v_add_co_u32 v63, vcc_lo, s4, v63
	v_add_co_ci_u32_e64 v64, null, s5, v64, vcc_lo
	v_lshlrev_b64 v[67:68], 4, v[14:15]
	v_add_nc_u32_e32 v14, 10, v16
	s_waitcnt vmcnt(8)
	v_fma_f64 v[51:52], v[55:56], v[59:60], v[51:52]
	v_fma_f64 v[53:54], v[57:58], v[59:60], v[53:54]
	v_fma_f64 v[59:60], -v[57:58], v[61:62], v[51:52]
	v_fma_f64 v[61:62], v[55:56], v[61:62], v[53:54]
	global_load_dwordx4 v[51:54], v[65:66], off
	global_load_dwordx4 v[55:58], v[63:64], off
	v_lshlrev_b64 v[63:64], 4, v[14:15]
	v_add_co_u32 v65, vcc_lo, s2, v67
	v_add_co_ci_u32_e64 v66, null, s3, v68, vcc_lo
	v_add_nc_u32_e32 v14, -3, v13
	v_add_co_u32 v63, vcc_lo, s4, v63
	v_add_co_ci_u32_e64 v64, null, s5, v64, vcc_lo
	v_lshlrev_b64 v[67:68], 4, v[14:15]
	v_add_nc_u32_e32 v14, 11, v16
	s_waitcnt vmcnt(8)
	v_fma_f64 v[59:60], v[17:18], v[23:24], v[59:60]
	v_fma_f64 v[23:24], v[19:20], v[23:24], v[61:62]
	v_add_co_u32 v61, vcc_lo, s2, v67
	v_add_co_ci_u32_e64 v62, null, s3, v68, vcc_lo
	v_fma_f64 v[69:70], -v[19:20], v[25:26], v[59:60]
	v_fma_f64 v[71:72], v[17:18], v[25:26], v[23:24]
	global_load_dwordx4 v[17:20], v[65:66], off
	global_load_dwordx4 v[23:26], v[63:64], off
	v_lshlrev_b64 v[59:60], 4, v[14:15]
	v_add_nc_u32_e32 v14, -2, v13
	v_add_co_u32 v63, vcc_lo, s4, v59
	v_add_co_ci_u32_e64 v64, null, s5, v60, vcc_lo
	global_load_dwordx4 v[59:62], v[61:62], off
	s_waitcnt vmcnt(9)
	v_fma_f64 v[65:66], v[27:28], v[31:32], v[69:70]
	v_fma_f64 v[31:32], v[29:30], v[31:32], v[71:72]
	v_fma_f64 v[65:66], -v[29:30], v[33:34], v[65:66]
	v_fma_f64 v[67:68], v[27:28], v[33:34], v[31:32]
	global_load_dwordx4 v[27:30], v[63:64], off
	v_lshlrev_b64 v[31:32], 4, v[14:15]
	v_add_nc_u32_e32 v14, 12, v16
	v_lshlrev_b64 v[33:34], 4, v[14:15]
	v_add_co_u32 v31, vcc_lo, s2, v31
	v_add_co_ci_u32_e64 v32, null, s3, v32, vcc_lo
	v_add_nc_u32_e32 v14, -1, v13
	v_add_co_u32 v63, vcc_lo, s4, v33
	v_add_co_ci_u32_e64 v64, null, s5, v34, vcc_lo
	global_load_dwordx4 v[31:34], v[31:32], off
	s_waitcnt vmcnt(9)
	v_fma_f64 v[65:66], v[35:36], v[39:40], v[65:66]
	v_fma_f64 v[39:40], v[37:38], v[39:40], v[67:68]
	v_fma_f64 v[65:66], -v[37:38], v[41:42], v[65:66]
	v_fma_f64 v[67:68], v[35:36], v[41:42], v[39:40]
	global_load_dwordx4 v[35:38], v[63:64], off
	v_lshlrev_b64 v[39:40], 4, v[14:15]
	v_add_nc_u32_e32 v14, 13, v16
	v_lshlrev_b64 v[41:42], 4, v[14:15]
	v_add_co_u32 v39, vcc_lo, s2, v39
	v_add_co_ci_u32_e64 v40, null, s3, v40, vcc_lo
	v_mov_b32_e32 v14, v15
	v_add_co_u32 v63, vcc_lo, s4, v41
	v_add_co_ci_u32_e64 v64, null, s5, v42, vcc_lo
	global_load_dwordx4 v[39:42], v[39:40], off
	s_waitcnt vmcnt(9)
	v_fma_f64 v[65:66], v[43:44], v[47:48], v[65:66]
	v_fma_f64 v[47:48], v[45:46], v[47:48], v[67:68]
	v_fma_f64 v[67:68], -v[45:46], v[49:50], v[65:66]
	v_fma_f64 v[69:70], v[43:44], v[49:50], v[47:48]
	global_load_dwordx4 v[43:46], v[63:64], off
	v_lshlrev_b64 v[47:48], 4, v[13:14]
	v_add_nc_u32_e32 v14, 14, v16
	v_add_nc_u32_e32 v13, 0x3c0, v13
	v_lshlrev_b64 v[49:50], 4, v[14:15]
	v_add_co_u32 v47, vcc_lo, s2, v47
	v_add_co_ci_u32_e64 v48, null, s3, v48, vcc_lo
	v_add_co_u32 v63, vcc_lo, s4, v49
	v_add_co_ci_u32_e64 v64, null, s5, v50, vcc_lo
	global_load_dwordx4 v[47:50], v[47:48], off
	global_load_dwordx4 v[63:66], v[63:64], off
	s_waitcnt vmcnt(10)
	v_fma_f64 v[67:68], v[51:52], v[55:56], v[67:68]
	v_fma_f64 v[55:56], v[53:54], v[55:56], v[69:70]
	v_cmp_ge_i32_e32 vcc_lo, v11, v22
	s_or_b32 s10, vcc_lo, s10
	v_fma_f64 v[53:54], -v[53:54], v[57:58], v[67:68]
	v_fma_f64 v[51:52], v[51:52], v[57:58], v[55:56]
	s_waitcnt vmcnt(8)
	v_fma_f64 v[53:54], v[17:18], v[23:24], v[53:54]
	v_fma_f64 v[23:24], v[19:20], v[23:24], v[51:52]
	v_fma_f64 v[19:20], -v[19:20], v[25:26], v[53:54]
	v_fma_f64 v[16:17], v[17:18], v[25:26], v[23:24]
	s_waitcnt vmcnt(6)
	v_fma_f64 v[18:19], v[59:60], v[27:28], v[19:20]
	v_fma_f64 v[16:17], v[61:62], v[27:28], v[16:17]
	;; [unrolled: 5-line block ×5, first 2 shown]
	v_fma_f64 v[20:21], -v[49:50], v[65:66], v[18:19]
	v_fma_f64 v[18:19], v[47:48], v[65:66], v[16:17]
	s_andn2_b32 exec_lo, exec_lo, s10
	s_cbranch_execnz .LBB297_6
; %bb.7:
	s_or_b32 exec_lo, exec_lo, s10
.LBB297_8:
	s_or_b32 exec_lo, exec_lo, s9
	v_mbcnt_lo_u32_b32 v22, -1, 0
	v_or_b32_e32 v11, 32, v22
	v_xor_b32_e32 v15, 16, v22
	v_cmp_gt_i32_e32 vcc_lo, 32, v11
	v_cndmask_b32_e32 v11, v22, v11, vcc_lo
	v_cmp_gt_i32_e32 vcc_lo, 32, v15
	v_lshlrev_b32_e32 v14, 2, v11
	v_cndmask_b32_e32 v15, v22, v15, vcc_lo
	ds_bpermute_b32 v11, v14, v20
	ds_bpermute_b32 v12, v14, v21
	;; [unrolled: 1-line block ×4, first 2 shown]
	s_waitcnt lgkmcnt(2)
	v_add_f64 v[11:12], v[20:21], v[11:12]
	s_waitcnt lgkmcnt(0)
	v_add_f64 v[13:14], v[18:19], v[13:14]
	v_lshlrev_b32_e32 v18, 2, v15
	ds_bpermute_b32 v15, v18, v11
	ds_bpermute_b32 v16, v18, v12
	ds_bpermute_b32 v17, v18, v13
	ds_bpermute_b32 v18, v18, v14
	s_waitcnt lgkmcnt(2)
	v_add_f64 v[11:12], v[11:12], v[15:16]
	v_xor_b32_e32 v15, 8, v22
	s_waitcnt lgkmcnt(0)
	v_add_f64 v[13:14], v[13:14], v[17:18]
	v_cmp_gt_i32_e32 vcc_lo, 32, v15
	v_cndmask_b32_e32 v15, v22, v15, vcc_lo
	v_lshlrev_b32_e32 v18, 2, v15
	ds_bpermute_b32 v15, v18, v11
	ds_bpermute_b32 v16, v18, v12
	ds_bpermute_b32 v17, v18, v13
	ds_bpermute_b32 v18, v18, v14
	s_waitcnt lgkmcnt(2)
	v_add_f64 v[11:12], v[11:12], v[15:16]
	v_xor_b32_e32 v15, 4, v22
	s_waitcnt lgkmcnt(0)
	v_add_f64 v[13:14], v[13:14], v[17:18]
	v_cmp_gt_i32_e32 vcc_lo, 32, v15
	v_cndmask_b32_e32 v15, v22, v15, vcc_lo
	;; [unrolled: 12-line block ×4, first 2 shown]
	v_cmp_eq_u32_e32 vcc_lo, 63, v0
	v_lshlrev_b32_e32 v18, 2, v15
	ds_bpermute_b32 v15, v18, v11
	ds_bpermute_b32 v16, v18, v12
	ds_bpermute_b32 v17, v18, v13
	ds_bpermute_b32 v18, v18, v14
	s_and_b32 exec_lo, exec_lo, vcc_lo
	s_cbranch_execz .LBB297_13
; %bb.9:
	s_waitcnt lgkmcnt(0)
	v_add_f64 v[13:14], v[13:14], v[17:18]
	v_add_f64 v[11:12], v[11:12], v[15:16]
	v_cmp_eq_f64_e32 vcc_lo, 0, v[1:2]
	v_cmp_eq_f64_e64 s0, 0, v[3:4]
	v_lshlrev_b64 v[9:10], 4, v[9:10]
	v_mul_f64 v[15:16], v[13:14], -v[7:8]
	v_mul_f64 v[13:14], v[5:6], v[13:14]
	s_and_b32 s0, vcc_lo, s0
	v_fma_f64 v[5:6], v[5:6], v[11:12], v[15:16]
	v_fma_f64 v[7:8], v[7:8], v[11:12], v[13:14]
	s_and_saveexec_b32 s1, s0
	s_xor_b32 s0, exec_lo, s1
	s_cbranch_execz .LBB297_11
; %bb.10:
	v_add_co_u32 v0, vcc_lo, s6, v9
	v_add_co_ci_u32_e64 v1, null, s7, v10, vcc_lo
                                        ; implicit-def: $vgpr9_vgpr10
	global_store_dwordx4 v[0:1], v[5:8], off
                                        ; implicit-def: $vgpr1_vgpr2
                                        ; implicit-def: $vgpr5_vgpr6
.LBB297_11:
	s_andn2_saveexec_b32 s0, s0
	s_cbranch_execz .LBB297_13
; %bb.12:
	v_add_co_u32 v13, vcc_lo, s6, v9
	v_add_co_ci_u32_e64 v14, null, s7, v10, vcc_lo
	global_load_dwordx4 v[9:12], v[13:14], off
	s_waitcnt vmcnt(0)
	v_fma_f64 v[5:6], v[1:2], v[9:10], v[5:6]
	v_fma_f64 v[7:8], v[3:4], v[9:10], v[7:8]
	v_fma_f64 v[3:4], -v[3:4], v[11:12], v[5:6]
	v_fma_f64 v[5:6], v[1:2], v[11:12], v[7:8]
	global_store_dwordx4 v[13:14], v[3:6], off
.LBB297_13:
	s_endpgm
	.section	.rodata,"a",@progbits
	.p2align	6, 0x0
	.amdhsa_kernel _ZN9rocsparseL19gebsrmvn_1xn_kernelILj128ELj15ELj64E21rocsparse_complex_numIdEEEvi20rocsparse_direction_NS_24const_host_device_scalarIT2_EEPKiS8_PKS5_SA_S6_PS5_21rocsparse_index_base_b
		.amdhsa_group_segment_fixed_size 0
		.amdhsa_private_segment_fixed_size 0
		.amdhsa_kernarg_size 88
		.amdhsa_user_sgpr_count 6
		.amdhsa_user_sgpr_private_segment_buffer 1
		.amdhsa_user_sgpr_dispatch_ptr 0
		.amdhsa_user_sgpr_queue_ptr 0
		.amdhsa_user_sgpr_kernarg_segment_ptr 1
		.amdhsa_user_sgpr_dispatch_id 0
		.amdhsa_user_sgpr_flat_scratch_init 0
		.amdhsa_user_sgpr_private_segment_size 0
		.amdhsa_wavefront_size32 1
		.amdhsa_uses_dynamic_stack 0
		.amdhsa_system_sgpr_private_segment_wavefront_offset 0
		.amdhsa_system_sgpr_workgroup_id_x 1
		.amdhsa_system_sgpr_workgroup_id_y 0
		.amdhsa_system_sgpr_workgroup_id_z 0
		.amdhsa_system_sgpr_workgroup_info 0
		.amdhsa_system_vgpr_workitem_id 0
		.amdhsa_next_free_vgpr 73
		.amdhsa_next_free_sgpr 13
		.amdhsa_reserve_vcc 1
		.amdhsa_reserve_flat_scratch 0
		.amdhsa_float_round_mode_32 0
		.amdhsa_float_round_mode_16_64 0
		.amdhsa_float_denorm_mode_32 3
		.amdhsa_float_denorm_mode_16_64 3
		.amdhsa_dx10_clamp 1
		.amdhsa_ieee_mode 1
		.amdhsa_fp16_overflow 0
		.amdhsa_workgroup_processor_mode 1
		.amdhsa_memory_ordered 1
		.amdhsa_forward_progress 1
		.amdhsa_shared_vgpr_count 0
		.amdhsa_exception_fp_ieee_invalid_op 0
		.amdhsa_exception_fp_denorm_src 0
		.amdhsa_exception_fp_ieee_div_zero 0
		.amdhsa_exception_fp_ieee_overflow 0
		.amdhsa_exception_fp_ieee_underflow 0
		.amdhsa_exception_fp_ieee_inexact 0
		.amdhsa_exception_int_div_zero 0
	.end_amdhsa_kernel
	.section	.text._ZN9rocsparseL19gebsrmvn_1xn_kernelILj128ELj15ELj64E21rocsparse_complex_numIdEEEvi20rocsparse_direction_NS_24const_host_device_scalarIT2_EEPKiS8_PKS5_SA_S6_PS5_21rocsparse_index_base_b,"axG",@progbits,_ZN9rocsparseL19gebsrmvn_1xn_kernelILj128ELj15ELj64E21rocsparse_complex_numIdEEEvi20rocsparse_direction_NS_24const_host_device_scalarIT2_EEPKiS8_PKS5_SA_S6_PS5_21rocsparse_index_base_b,comdat
.Lfunc_end297:
	.size	_ZN9rocsparseL19gebsrmvn_1xn_kernelILj128ELj15ELj64E21rocsparse_complex_numIdEEEvi20rocsparse_direction_NS_24const_host_device_scalarIT2_EEPKiS8_PKS5_SA_S6_PS5_21rocsparse_index_base_b, .Lfunc_end297-_ZN9rocsparseL19gebsrmvn_1xn_kernelILj128ELj15ELj64E21rocsparse_complex_numIdEEEvi20rocsparse_direction_NS_24const_host_device_scalarIT2_EEPKiS8_PKS5_SA_S6_PS5_21rocsparse_index_base_b
                                        ; -- End function
	.set _ZN9rocsparseL19gebsrmvn_1xn_kernelILj128ELj15ELj64E21rocsparse_complex_numIdEEEvi20rocsparse_direction_NS_24const_host_device_scalarIT2_EEPKiS8_PKS5_SA_S6_PS5_21rocsparse_index_base_b.num_vgpr, 73
	.set _ZN9rocsparseL19gebsrmvn_1xn_kernelILj128ELj15ELj64E21rocsparse_complex_numIdEEEvi20rocsparse_direction_NS_24const_host_device_scalarIT2_EEPKiS8_PKS5_SA_S6_PS5_21rocsparse_index_base_b.num_agpr, 0
	.set _ZN9rocsparseL19gebsrmvn_1xn_kernelILj128ELj15ELj64E21rocsparse_complex_numIdEEEvi20rocsparse_direction_NS_24const_host_device_scalarIT2_EEPKiS8_PKS5_SA_S6_PS5_21rocsparse_index_base_b.numbered_sgpr, 13
	.set _ZN9rocsparseL19gebsrmvn_1xn_kernelILj128ELj15ELj64E21rocsparse_complex_numIdEEEvi20rocsparse_direction_NS_24const_host_device_scalarIT2_EEPKiS8_PKS5_SA_S6_PS5_21rocsparse_index_base_b.num_named_barrier, 0
	.set _ZN9rocsparseL19gebsrmvn_1xn_kernelILj128ELj15ELj64E21rocsparse_complex_numIdEEEvi20rocsparse_direction_NS_24const_host_device_scalarIT2_EEPKiS8_PKS5_SA_S6_PS5_21rocsparse_index_base_b.private_seg_size, 0
	.set _ZN9rocsparseL19gebsrmvn_1xn_kernelILj128ELj15ELj64E21rocsparse_complex_numIdEEEvi20rocsparse_direction_NS_24const_host_device_scalarIT2_EEPKiS8_PKS5_SA_S6_PS5_21rocsparse_index_base_b.uses_vcc, 1
	.set _ZN9rocsparseL19gebsrmvn_1xn_kernelILj128ELj15ELj64E21rocsparse_complex_numIdEEEvi20rocsparse_direction_NS_24const_host_device_scalarIT2_EEPKiS8_PKS5_SA_S6_PS5_21rocsparse_index_base_b.uses_flat_scratch, 0
	.set _ZN9rocsparseL19gebsrmvn_1xn_kernelILj128ELj15ELj64E21rocsparse_complex_numIdEEEvi20rocsparse_direction_NS_24const_host_device_scalarIT2_EEPKiS8_PKS5_SA_S6_PS5_21rocsparse_index_base_b.has_dyn_sized_stack, 0
	.set _ZN9rocsparseL19gebsrmvn_1xn_kernelILj128ELj15ELj64E21rocsparse_complex_numIdEEEvi20rocsparse_direction_NS_24const_host_device_scalarIT2_EEPKiS8_PKS5_SA_S6_PS5_21rocsparse_index_base_b.has_recursion, 0
	.set _ZN9rocsparseL19gebsrmvn_1xn_kernelILj128ELj15ELj64E21rocsparse_complex_numIdEEEvi20rocsparse_direction_NS_24const_host_device_scalarIT2_EEPKiS8_PKS5_SA_S6_PS5_21rocsparse_index_base_b.has_indirect_call, 0
	.section	.AMDGPU.csdata,"",@progbits
; Kernel info:
; codeLenInByte = 2704
; TotalNumSgprs: 15
; NumVgprs: 73
; ScratchSize: 0
; MemoryBound: 0
; FloatMode: 240
; IeeeMode: 1
; LDSByteSize: 0 bytes/workgroup (compile time only)
; SGPRBlocks: 0
; VGPRBlocks: 9
; NumSGPRsForWavesPerEU: 15
; NumVGPRsForWavesPerEU: 73
; Occupancy: 12
; WaveLimiterHint : 1
; COMPUTE_PGM_RSRC2:SCRATCH_EN: 0
; COMPUTE_PGM_RSRC2:USER_SGPR: 6
; COMPUTE_PGM_RSRC2:TRAP_HANDLER: 0
; COMPUTE_PGM_RSRC2:TGID_X_EN: 1
; COMPUTE_PGM_RSRC2:TGID_Y_EN: 0
; COMPUTE_PGM_RSRC2:TGID_Z_EN: 0
; COMPUTE_PGM_RSRC2:TIDIG_COMP_CNT: 0
	.section	.text._ZN9rocsparseL19gebsrmvn_1xn_kernelILj128ELj16ELj4E21rocsparse_complex_numIdEEEvi20rocsparse_direction_NS_24const_host_device_scalarIT2_EEPKiS8_PKS5_SA_S6_PS5_21rocsparse_index_base_b,"axG",@progbits,_ZN9rocsparseL19gebsrmvn_1xn_kernelILj128ELj16ELj4E21rocsparse_complex_numIdEEEvi20rocsparse_direction_NS_24const_host_device_scalarIT2_EEPKiS8_PKS5_SA_S6_PS5_21rocsparse_index_base_b,comdat
	.globl	_ZN9rocsparseL19gebsrmvn_1xn_kernelILj128ELj16ELj4E21rocsparse_complex_numIdEEEvi20rocsparse_direction_NS_24const_host_device_scalarIT2_EEPKiS8_PKS5_SA_S6_PS5_21rocsparse_index_base_b ; -- Begin function _ZN9rocsparseL19gebsrmvn_1xn_kernelILj128ELj16ELj4E21rocsparse_complex_numIdEEEvi20rocsparse_direction_NS_24const_host_device_scalarIT2_EEPKiS8_PKS5_SA_S6_PS5_21rocsparse_index_base_b
	.p2align	8
	.type	_ZN9rocsparseL19gebsrmvn_1xn_kernelILj128ELj16ELj4E21rocsparse_complex_numIdEEEvi20rocsparse_direction_NS_24const_host_device_scalarIT2_EEPKiS8_PKS5_SA_S6_PS5_21rocsparse_index_base_b,@function
_ZN9rocsparseL19gebsrmvn_1xn_kernelILj128ELj16ELj4E21rocsparse_complex_numIdEEEvi20rocsparse_direction_NS_24const_host_device_scalarIT2_EEPKiS8_PKS5_SA_S6_PS5_21rocsparse_index_base_b: ; @_ZN9rocsparseL19gebsrmvn_1xn_kernelILj128ELj16ELj4E21rocsparse_complex_numIdEEEvi20rocsparse_direction_NS_24const_host_device_scalarIT2_EEPKiS8_PKS5_SA_S6_PS5_21rocsparse_index_base_b
; %bb.0:
	s_clause 0x1
	s_load_dwordx2 s[8:9], s[4:5], 0x50
	s_load_dwordx2 s[0:1], s[4:5], 0x8
	s_add_u32 s7, s4, 8
	s_addc_u32 s10, s5, 0
	s_add_u32 s11, s4, 56
	s_addc_u32 s12, s5, 0
	s_load_dwordx2 s[2:3], s[4:5], 0x38
	s_waitcnt lgkmcnt(0)
	s_bitcmp1_b32 s9, 0
	s_cselect_b32 s0, s7, s0
	s_cselect_b32 s1, s10, s1
	v_mov_b32_e32 v1, s0
	v_mov_b32_e32 v2, s1
	s_cselect_b32 s0, s11, s2
	s_cselect_b32 s1, s12, s3
	flat_load_dwordx4 v[5:8], v[1:2]
	v_mov_b32_e32 v1, s0
	v_mov_b32_e32 v2, s1
	flat_load_dwordx4 v[1:4], v[1:2]
	s_waitcnt vmcnt(1) lgkmcnt(1)
	v_cmp_eq_f64_e32 vcc_lo, 0, v[5:6]
	v_cmp_eq_f64_e64 s0, 0, v[7:8]
	s_and_b32 s2, vcc_lo, s0
	s_mov_b32 s0, -1
	s_and_saveexec_b32 s1, s2
	s_cbranch_execz .LBB298_2
; %bb.1:
	s_waitcnt vmcnt(0) lgkmcnt(0)
	v_cmp_neq_f64_e32 vcc_lo, 1.0, v[1:2]
	v_cmp_neq_f64_e64 s0, 0, v[3:4]
	s_or_b32 s0, vcc_lo, s0
	s_orn2_b32 s0, s0, exec_lo
.LBB298_2:
	s_or_b32 exec_lo, exec_lo, s1
	s_and_saveexec_b32 s1, s0
	s_cbranch_execz .LBB298_13
; %bb.3:
	s_load_dword s0, s[4:5], 0x0
	v_lshrrev_b32_e32 v9, 2, v0
	v_lshl_or_b32 v9, s6, 5, v9
	s_waitcnt lgkmcnt(0)
	v_cmp_gt_i32_e32 vcc_lo, s0, v9
	s_and_b32 exec_lo, exec_lo, vcc_lo
	s_cbranch_execz .LBB298_13
; %bb.4:
	s_clause 0x1
	s_load_dwordx2 s[0:1], s[4:5], 0x18
	s_load_dwordx2 s[6:7], s[4:5], 0x48
	v_ashrrev_i32_e32 v10, 31, v9
	v_and_b32_e32 v0, 3, v0
	v_mov_b32_e32 v15, 0
	v_mov_b32_e32 v17, 0
	;; [unrolled: 1-line block ×3, first 2 shown]
	v_lshlrev_b64 v[11:12], 2, v[9:10]
	v_subrev_nc_u32_e32 v13, s8, v0
	v_mov_b32_e32 v18, 0
	s_mov_b32 s9, exec_lo
	s_waitcnt lgkmcnt(0)
	v_add_co_u32 v11, vcc_lo, s0, v11
	v_add_co_ci_u32_e64 v12, null, s1, v12, vcc_lo
	global_load_dwordx2 v[11:12], v[11:12], off
	s_waitcnt vmcnt(0)
	v_subrev_nc_u32_e32 v19, s8, v12
	v_add_nc_u32_e32 v11, v11, v13
	v_cmpx_lt_i32_e64 v11, v19
	s_cbranch_execz .LBB298_8
; %bb.5:
	s_clause 0x1
	s_load_dwordx4 s[0:3], s[4:5], 0x20
	s_load_dwordx2 s[4:5], s[4:5], 0x30
	v_mov_b32_e32 v15, 0
	v_mov_b32_e32 v17, 0
	v_lshlrev_b32_e32 v13, 4, v11
	v_mov_b32_e32 v16, 0
	v_mov_b32_e32 v18, 0
	;; [unrolled: 1-line block ×3, first 2 shown]
	s_mov_b32 s10, 0
.LBB298_6:                              ; =>This Inner Loop Header: Depth=1
	v_ashrrev_i32_e32 v12, 31, v11
	v_mov_b32_e32 v29, v14
	v_lshlrev_b64 v[20:21], 2, v[11:12]
	v_add_nc_u32_e32 v11, 4, v11
	s_waitcnt lgkmcnt(0)
	v_add_co_u32 v20, vcc_lo, s0, v20
	v_add_co_ci_u32_e64 v21, null, s1, v21, vcc_lo
	global_load_dword v12, v[20:21], off
	v_lshlrev_b64 v[20:21], 4, v[13:14]
	v_add_nc_u32_e32 v13, 64, v13
	v_add_co_u32 v80, vcc_lo, s2, v20
	v_add_co_ci_u32_e64 v81, null, s3, v21, vcc_lo
	s_clause 0x1
	global_load_dwordx4 v[20:23], v[80:81], off offset:16
	global_load_dwordx4 v[24:27], v[80:81], off
	s_waitcnt vmcnt(2)
	v_subrev_nc_u32_e32 v12, s8, v12
	v_lshlrev_b32_e32 v28, 4, v12
	v_lshlrev_b64 v[28:29], 4, v[28:29]
	v_add_co_u32 v82, vcc_lo, s4, v28
	v_add_co_ci_u32_e64 v83, null, s5, v29, vcc_lo
	v_cmp_ge_i32_e32 vcc_lo, v11, v19
	s_clause 0x1
	global_load_dwordx4 v[28:31], v[82:83], off
	global_load_dwordx4 v[32:35], v[82:83], off offset:16
	s_clause 0x1
	global_load_dwordx4 v[36:39], v[80:81], off offset:48
	global_load_dwordx4 v[40:43], v[80:81], off offset:32
	s_clause 0x1
	global_load_dwordx4 v[44:47], v[82:83], off offset:32
	;; [unrolled: 3-line block ×5, first 2 shown]
	global_load_dwordx4 v[72:75], v[80:81], off offset:96
	global_load_dwordx4 v[76:79], v[82:83], off offset:96
	s_or_b32 s10, vcc_lo, s10
	s_waitcnt vmcnt(12)
	v_fma_f64 v[17:18], v[24:25], v[28:29], v[17:18]
	v_fma_f64 v[15:16], v[26:27], v[28:29], v[15:16]
	v_fma_f64 v[28:29], -v[26:27], v[30:31], v[17:18]
	v_fma_f64 v[30:31], v[24:25], v[30:31], v[15:16]
	global_load_dwordx4 v[15:18], v[82:83], off offset:112
	global_load_dwordx4 v[24:27], v[80:81], off offset:144
	s_waitcnt vmcnt(13)
	v_fma_f64 v[28:29], v[20:21], v[32:33], v[28:29]
	v_fma_f64 v[30:31], v[22:23], v[32:33], v[30:31]
	v_fma_f64 v[32:33], -v[22:23], v[34:35], v[28:29]
	v_fma_f64 v[34:35], v[20:21], v[34:35], v[30:31]
	global_load_dwordx4 v[20:23], v[80:81], off offset:128
	global_load_dwordx4 v[28:31], v[82:83], off offset:128
	;; [unrolled: 7-line block ×8, first 2 shown]
	global_load_dwordx4 v[76:79], v[82:83], off offset:240
	s_waitcnt vmcnt(13)
	v_fma_f64 v[80:81], v[20:21], v[28:29], v[84:85]
	v_fma_f64 v[28:29], v[22:23], v[28:29], v[86:87]
	v_fma_f64 v[22:23], -v[22:23], v[30:31], v[80:81]
	v_fma_f64 v[20:21], v[20:21], v[30:31], v[28:29]
	s_waitcnt vmcnt(12)
	v_fma_f64 v[22:23], v[24:25], v[32:33], v[22:23]
	v_fma_f64 v[20:21], v[26:27], v[32:33], v[20:21]
	v_fma_f64 v[22:23], -v[26:27], v[34:35], v[22:23]
	v_fma_f64 v[20:21], v[24:25], v[34:35], v[20:21]
	;; [unrolled: 5-line block ×8, first 2 shown]
	s_andn2_b32 exec_lo, exec_lo, s10
	s_cbranch_execnz .LBB298_6
; %bb.7:
	s_or_b32 exec_lo, exec_lo, s10
.LBB298_8:
	s_or_b32 exec_lo, exec_lo, s9
	v_mbcnt_lo_u32_b32 v19, -1, 0
	v_xor_b32_e32 v11, 2, v19
	v_cmp_gt_i32_e32 vcc_lo, 32, v11
	v_cndmask_b32_e32 v11, v19, v11, vcc_lo
	v_lshlrev_b32_e32 v14, 2, v11
	ds_bpermute_b32 v11, v14, v17
	ds_bpermute_b32 v12, v14, v18
	;; [unrolled: 1-line block ×4, first 2 shown]
	s_waitcnt lgkmcnt(2)
	v_add_f64 v[11:12], v[17:18], v[11:12]
	s_waitcnt lgkmcnt(0)
	v_add_f64 v[13:14], v[15:16], v[13:14]
	v_xor_b32_e32 v15, 1, v19
	v_cmp_gt_i32_e32 vcc_lo, 32, v15
	v_cndmask_b32_e32 v15, v19, v15, vcc_lo
	v_cmp_eq_u32_e32 vcc_lo, 3, v0
	v_lshlrev_b32_e32 v18, 2, v15
	ds_bpermute_b32 v15, v18, v11
	ds_bpermute_b32 v16, v18, v12
	;; [unrolled: 1-line block ×4, first 2 shown]
	s_and_b32 exec_lo, exec_lo, vcc_lo
	s_cbranch_execz .LBB298_13
; %bb.9:
	s_waitcnt lgkmcnt(0)
	v_add_f64 v[13:14], v[13:14], v[17:18]
	v_add_f64 v[11:12], v[11:12], v[15:16]
	v_cmp_eq_f64_e32 vcc_lo, 0, v[1:2]
	v_cmp_eq_f64_e64 s0, 0, v[3:4]
	v_lshlrev_b64 v[9:10], 4, v[9:10]
	v_mul_f64 v[15:16], v[13:14], -v[7:8]
	v_mul_f64 v[13:14], v[5:6], v[13:14]
	s_and_b32 s0, vcc_lo, s0
	v_fma_f64 v[5:6], v[5:6], v[11:12], v[15:16]
	v_fma_f64 v[7:8], v[7:8], v[11:12], v[13:14]
	s_and_saveexec_b32 s1, s0
	s_xor_b32 s0, exec_lo, s1
	s_cbranch_execz .LBB298_11
; %bb.10:
	v_add_co_u32 v0, vcc_lo, s6, v9
	v_add_co_ci_u32_e64 v1, null, s7, v10, vcc_lo
                                        ; implicit-def: $vgpr9_vgpr10
	global_store_dwordx4 v[0:1], v[5:8], off
                                        ; implicit-def: $vgpr1_vgpr2
                                        ; implicit-def: $vgpr5_vgpr6
.LBB298_11:
	s_andn2_saveexec_b32 s0, s0
	s_cbranch_execz .LBB298_13
; %bb.12:
	v_add_co_u32 v13, vcc_lo, s6, v9
	v_add_co_ci_u32_e64 v14, null, s7, v10, vcc_lo
	global_load_dwordx4 v[9:12], v[13:14], off
	s_waitcnt vmcnt(0)
	v_fma_f64 v[5:6], v[1:2], v[9:10], v[5:6]
	v_fma_f64 v[7:8], v[3:4], v[9:10], v[7:8]
	v_fma_f64 v[3:4], -v[3:4], v[11:12], v[5:6]
	v_fma_f64 v[5:6], v[1:2], v[11:12], v[7:8]
	global_store_dwordx4 v[13:14], v[3:6], off
.LBB298_13:
	s_endpgm
	.section	.rodata,"a",@progbits
	.p2align	6, 0x0
	.amdhsa_kernel _ZN9rocsparseL19gebsrmvn_1xn_kernelILj128ELj16ELj4E21rocsparse_complex_numIdEEEvi20rocsparse_direction_NS_24const_host_device_scalarIT2_EEPKiS8_PKS5_SA_S6_PS5_21rocsparse_index_base_b
		.amdhsa_group_segment_fixed_size 0
		.amdhsa_private_segment_fixed_size 0
		.amdhsa_kernarg_size 88
		.amdhsa_user_sgpr_count 6
		.amdhsa_user_sgpr_private_segment_buffer 1
		.amdhsa_user_sgpr_dispatch_ptr 0
		.amdhsa_user_sgpr_queue_ptr 0
		.amdhsa_user_sgpr_kernarg_segment_ptr 1
		.amdhsa_user_sgpr_dispatch_id 0
		.amdhsa_user_sgpr_flat_scratch_init 0
		.amdhsa_user_sgpr_private_segment_size 0
		.amdhsa_wavefront_size32 1
		.amdhsa_uses_dynamic_stack 0
		.amdhsa_system_sgpr_private_segment_wavefront_offset 0
		.amdhsa_system_sgpr_workgroup_id_x 1
		.amdhsa_system_sgpr_workgroup_id_y 0
		.amdhsa_system_sgpr_workgroup_id_z 0
		.amdhsa_system_sgpr_workgroup_info 0
		.amdhsa_system_vgpr_workitem_id 0
		.amdhsa_next_free_vgpr 88
		.amdhsa_next_free_sgpr 13
		.amdhsa_reserve_vcc 1
		.amdhsa_reserve_flat_scratch 0
		.amdhsa_float_round_mode_32 0
		.amdhsa_float_round_mode_16_64 0
		.amdhsa_float_denorm_mode_32 3
		.amdhsa_float_denorm_mode_16_64 3
		.amdhsa_dx10_clamp 1
		.amdhsa_ieee_mode 1
		.amdhsa_fp16_overflow 0
		.amdhsa_workgroup_processor_mode 1
		.amdhsa_memory_ordered 1
		.amdhsa_forward_progress 1
		.amdhsa_shared_vgpr_count 0
		.amdhsa_exception_fp_ieee_invalid_op 0
		.amdhsa_exception_fp_denorm_src 0
		.amdhsa_exception_fp_ieee_div_zero 0
		.amdhsa_exception_fp_ieee_overflow 0
		.amdhsa_exception_fp_ieee_underflow 0
		.amdhsa_exception_fp_ieee_inexact 0
		.amdhsa_exception_int_div_zero 0
	.end_amdhsa_kernel
	.section	.text._ZN9rocsparseL19gebsrmvn_1xn_kernelILj128ELj16ELj4E21rocsparse_complex_numIdEEEvi20rocsparse_direction_NS_24const_host_device_scalarIT2_EEPKiS8_PKS5_SA_S6_PS5_21rocsparse_index_base_b,"axG",@progbits,_ZN9rocsparseL19gebsrmvn_1xn_kernelILj128ELj16ELj4E21rocsparse_complex_numIdEEEvi20rocsparse_direction_NS_24const_host_device_scalarIT2_EEPKiS8_PKS5_SA_S6_PS5_21rocsparse_index_base_b,comdat
.Lfunc_end298:
	.size	_ZN9rocsparseL19gebsrmvn_1xn_kernelILj128ELj16ELj4E21rocsparse_complex_numIdEEEvi20rocsparse_direction_NS_24const_host_device_scalarIT2_EEPKiS8_PKS5_SA_S6_PS5_21rocsparse_index_base_b, .Lfunc_end298-_ZN9rocsparseL19gebsrmvn_1xn_kernelILj128ELj16ELj4E21rocsparse_complex_numIdEEEvi20rocsparse_direction_NS_24const_host_device_scalarIT2_EEPKiS8_PKS5_SA_S6_PS5_21rocsparse_index_base_b
                                        ; -- End function
	.set _ZN9rocsparseL19gebsrmvn_1xn_kernelILj128ELj16ELj4E21rocsparse_complex_numIdEEEvi20rocsparse_direction_NS_24const_host_device_scalarIT2_EEPKiS8_PKS5_SA_S6_PS5_21rocsparse_index_base_b.num_vgpr, 88
	.set _ZN9rocsparseL19gebsrmvn_1xn_kernelILj128ELj16ELj4E21rocsparse_complex_numIdEEEvi20rocsparse_direction_NS_24const_host_device_scalarIT2_EEPKiS8_PKS5_SA_S6_PS5_21rocsparse_index_base_b.num_agpr, 0
	.set _ZN9rocsparseL19gebsrmvn_1xn_kernelILj128ELj16ELj4E21rocsparse_complex_numIdEEEvi20rocsparse_direction_NS_24const_host_device_scalarIT2_EEPKiS8_PKS5_SA_S6_PS5_21rocsparse_index_base_b.numbered_sgpr, 13
	.set _ZN9rocsparseL19gebsrmvn_1xn_kernelILj128ELj16ELj4E21rocsparse_complex_numIdEEEvi20rocsparse_direction_NS_24const_host_device_scalarIT2_EEPKiS8_PKS5_SA_S6_PS5_21rocsparse_index_base_b.num_named_barrier, 0
	.set _ZN9rocsparseL19gebsrmvn_1xn_kernelILj128ELj16ELj4E21rocsparse_complex_numIdEEEvi20rocsparse_direction_NS_24const_host_device_scalarIT2_EEPKiS8_PKS5_SA_S6_PS5_21rocsparse_index_base_b.private_seg_size, 0
	.set _ZN9rocsparseL19gebsrmvn_1xn_kernelILj128ELj16ELj4E21rocsparse_complex_numIdEEEvi20rocsparse_direction_NS_24const_host_device_scalarIT2_EEPKiS8_PKS5_SA_S6_PS5_21rocsparse_index_base_b.uses_vcc, 1
	.set _ZN9rocsparseL19gebsrmvn_1xn_kernelILj128ELj16ELj4E21rocsparse_complex_numIdEEEvi20rocsparse_direction_NS_24const_host_device_scalarIT2_EEPKiS8_PKS5_SA_S6_PS5_21rocsparse_index_base_b.uses_flat_scratch, 0
	.set _ZN9rocsparseL19gebsrmvn_1xn_kernelILj128ELj16ELj4E21rocsparse_complex_numIdEEEvi20rocsparse_direction_NS_24const_host_device_scalarIT2_EEPKiS8_PKS5_SA_S6_PS5_21rocsparse_index_base_b.has_dyn_sized_stack, 0
	.set _ZN9rocsparseL19gebsrmvn_1xn_kernelILj128ELj16ELj4E21rocsparse_complex_numIdEEEvi20rocsparse_direction_NS_24const_host_device_scalarIT2_EEPKiS8_PKS5_SA_S6_PS5_21rocsparse_index_base_b.has_recursion, 0
	.set _ZN9rocsparseL19gebsrmvn_1xn_kernelILj128ELj16ELj4E21rocsparse_complex_numIdEEEvi20rocsparse_direction_NS_24const_host_device_scalarIT2_EEPKiS8_PKS5_SA_S6_PS5_21rocsparse_index_base_b.has_indirect_call, 0
	.section	.AMDGPU.csdata,"",@progbits
; Kernel info:
; codeLenInByte = 1692
; TotalNumSgprs: 15
; NumVgprs: 88
; ScratchSize: 0
; MemoryBound: 1
; FloatMode: 240
; IeeeMode: 1
; LDSByteSize: 0 bytes/workgroup (compile time only)
; SGPRBlocks: 0
; VGPRBlocks: 10
; NumSGPRsForWavesPerEU: 15
; NumVGPRsForWavesPerEU: 88
; Occupancy: 10
; WaveLimiterHint : 1
; COMPUTE_PGM_RSRC2:SCRATCH_EN: 0
; COMPUTE_PGM_RSRC2:USER_SGPR: 6
; COMPUTE_PGM_RSRC2:TRAP_HANDLER: 0
; COMPUTE_PGM_RSRC2:TGID_X_EN: 1
; COMPUTE_PGM_RSRC2:TGID_Y_EN: 0
; COMPUTE_PGM_RSRC2:TGID_Z_EN: 0
; COMPUTE_PGM_RSRC2:TIDIG_COMP_CNT: 0
	.section	.text._ZN9rocsparseL19gebsrmvn_1xn_kernelILj128ELj16ELj8E21rocsparse_complex_numIdEEEvi20rocsparse_direction_NS_24const_host_device_scalarIT2_EEPKiS8_PKS5_SA_S6_PS5_21rocsparse_index_base_b,"axG",@progbits,_ZN9rocsparseL19gebsrmvn_1xn_kernelILj128ELj16ELj8E21rocsparse_complex_numIdEEEvi20rocsparse_direction_NS_24const_host_device_scalarIT2_EEPKiS8_PKS5_SA_S6_PS5_21rocsparse_index_base_b,comdat
	.globl	_ZN9rocsparseL19gebsrmvn_1xn_kernelILj128ELj16ELj8E21rocsparse_complex_numIdEEEvi20rocsparse_direction_NS_24const_host_device_scalarIT2_EEPKiS8_PKS5_SA_S6_PS5_21rocsparse_index_base_b ; -- Begin function _ZN9rocsparseL19gebsrmvn_1xn_kernelILj128ELj16ELj8E21rocsparse_complex_numIdEEEvi20rocsparse_direction_NS_24const_host_device_scalarIT2_EEPKiS8_PKS5_SA_S6_PS5_21rocsparse_index_base_b
	.p2align	8
	.type	_ZN9rocsparseL19gebsrmvn_1xn_kernelILj128ELj16ELj8E21rocsparse_complex_numIdEEEvi20rocsparse_direction_NS_24const_host_device_scalarIT2_EEPKiS8_PKS5_SA_S6_PS5_21rocsparse_index_base_b,@function
_ZN9rocsparseL19gebsrmvn_1xn_kernelILj128ELj16ELj8E21rocsparse_complex_numIdEEEvi20rocsparse_direction_NS_24const_host_device_scalarIT2_EEPKiS8_PKS5_SA_S6_PS5_21rocsparse_index_base_b: ; @_ZN9rocsparseL19gebsrmvn_1xn_kernelILj128ELj16ELj8E21rocsparse_complex_numIdEEEvi20rocsparse_direction_NS_24const_host_device_scalarIT2_EEPKiS8_PKS5_SA_S6_PS5_21rocsparse_index_base_b
; %bb.0:
	s_clause 0x1
	s_load_dwordx2 s[8:9], s[4:5], 0x50
	s_load_dwordx2 s[0:1], s[4:5], 0x8
	s_add_u32 s7, s4, 8
	s_addc_u32 s10, s5, 0
	s_add_u32 s11, s4, 56
	s_addc_u32 s12, s5, 0
	s_load_dwordx2 s[2:3], s[4:5], 0x38
	s_waitcnt lgkmcnt(0)
	s_bitcmp1_b32 s9, 0
	s_cselect_b32 s0, s7, s0
	s_cselect_b32 s1, s10, s1
	v_mov_b32_e32 v1, s0
	v_mov_b32_e32 v2, s1
	s_cselect_b32 s0, s11, s2
	s_cselect_b32 s1, s12, s3
	flat_load_dwordx4 v[5:8], v[1:2]
	v_mov_b32_e32 v1, s0
	v_mov_b32_e32 v2, s1
	flat_load_dwordx4 v[1:4], v[1:2]
	s_waitcnt vmcnt(1) lgkmcnt(1)
	v_cmp_eq_f64_e32 vcc_lo, 0, v[5:6]
	v_cmp_eq_f64_e64 s0, 0, v[7:8]
	s_and_b32 s2, vcc_lo, s0
	s_mov_b32 s0, -1
	s_and_saveexec_b32 s1, s2
	s_cbranch_execz .LBB299_2
; %bb.1:
	s_waitcnt vmcnt(0) lgkmcnt(0)
	v_cmp_neq_f64_e32 vcc_lo, 1.0, v[1:2]
	v_cmp_neq_f64_e64 s0, 0, v[3:4]
	s_or_b32 s0, vcc_lo, s0
	s_orn2_b32 s0, s0, exec_lo
.LBB299_2:
	s_or_b32 exec_lo, exec_lo, s1
	s_and_saveexec_b32 s1, s0
	s_cbranch_execz .LBB299_13
; %bb.3:
	s_load_dword s0, s[4:5], 0x0
	v_lshrrev_b32_e32 v9, 3, v0
	v_lshl_or_b32 v9, s6, 4, v9
	s_waitcnt lgkmcnt(0)
	v_cmp_gt_i32_e32 vcc_lo, s0, v9
	s_and_b32 exec_lo, exec_lo, vcc_lo
	s_cbranch_execz .LBB299_13
; %bb.4:
	s_clause 0x1
	s_load_dwordx2 s[0:1], s[4:5], 0x18
	s_load_dwordx2 s[6:7], s[4:5], 0x48
	v_ashrrev_i32_e32 v10, 31, v9
	v_and_b32_e32 v0, 7, v0
	v_mov_b32_e32 v15, 0
	v_mov_b32_e32 v17, 0
	v_mov_b32_e32 v16, 0
	v_lshlrev_b64 v[11:12], 2, v[9:10]
	v_subrev_nc_u32_e32 v13, s8, v0
	v_mov_b32_e32 v18, 0
	s_mov_b32 s9, exec_lo
	s_waitcnt lgkmcnt(0)
	v_add_co_u32 v11, vcc_lo, s0, v11
	v_add_co_ci_u32_e64 v12, null, s1, v12, vcc_lo
	global_load_dwordx2 v[11:12], v[11:12], off
	s_waitcnt vmcnt(0)
	v_subrev_nc_u32_e32 v19, s8, v12
	v_add_nc_u32_e32 v11, v11, v13
	v_cmpx_lt_i32_e64 v11, v19
	s_cbranch_execz .LBB299_8
; %bb.5:
	s_clause 0x1
	s_load_dwordx4 s[0:3], s[4:5], 0x20
	s_load_dwordx2 s[4:5], s[4:5], 0x30
	v_mov_b32_e32 v15, 0
	v_mov_b32_e32 v17, 0
	v_lshlrev_b32_e32 v13, 4, v11
	v_mov_b32_e32 v16, 0
	v_mov_b32_e32 v18, 0
	;; [unrolled: 1-line block ×3, first 2 shown]
	s_mov_b32 s10, 0
.LBB299_6:                              ; =>This Inner Loop Header: Depth=1
	v_ashrrev_i32_e32 v12, 31, v11
	v_mov_b32_e32 v29, v14
	v_lshlrev_b64 v[20:21], 2, v[11:12]
	v_add_nc_u32_e32 v11, 8, v11
	s_waitcnt lgkmcnt(0)
	v_add_co_u32 v20, vcc_lo, s0, v20
	v_add_co_ci_u32_e64 v21, null, s1, v21, vcc_lo
	global_load_dword v12, v[20:21], off
	v_lshlrev_b64 v[20:21], 4, v[13:14]
	v_add_nc_u32_e32 v13, 0x80, v13
	v_add_co_u32 v80, vcc_lo, s2, v20
	v_add_co_ci_u32_e64 v81, null, s3, v21, vcc_lo
	s_clause 0x1
	global_load_dwordx4 v[20:23], v[80:81], off offset:16
	global_load_dwordx4 v[24:27], v[80:81], off
	s_waitcnt vmcnt(2)
	v_subrev_nc_u32_e32 v12, s8, v12
	v_lshlrev_b32_e32 v28, 4, v12
	v_lshlrev_b64 v[28:29], 4, v[28:29]
	v_add_co_u32 v82, vcc_lo, s4, v28
	v_add_co_ci_u32_e64 v83, null, s5, v29, vcc_lo
	v_cmp_ge_i32_e32 vcc_lo, v11, v19
	s_clause 0x1
	global_load_dwordx4 v[28:31], v[82:83], off
	global_load_dwordx4 v[32:35], v[82:83], off offset:16
	s_clause 0x1
	global_load_dwordx4 v[36:39], v[80:81], off offset:48
	global_load_dwordx4 v[40:43], v[80:81], off offset:32
	s_clause 0x1
	global_load_dwordx4 v[44:47], v[82:83], off offset:32
	;; [unrolled: 3-line block ×5, first 2 shown]
	global_load_dwordx4 v[72:75], v[80:81], off offset:96
	global_load_dwordx4 v[76:79], v[82:83], off offset:96
	s_or_b32 s10, vcc_lo, s10
	s_waitcnt vmcnt(12)
	v_fma_f64 v[17:18], v[24:25], v[28:29], v[17:18]
	v_fma_f64 v[15:16], v[26:27], v[28:29], v[15:16]
	v_fma_f64 v[28:29], -v[26:27], v[30:31], v[17:18]
	v_fma_f64 v[30:31], v[24:25], v[30:31], v[15:16]
	global_load_dwordx4 v[15:18], v[82:83], off offset:112
	global_load_dwordx4 v[24:27], v[80:81], off offset:144
	s_waitcnt vmcnt(13)
	v_fma_f64 v[28:29], v[20:21], v[32:33], v[28:29]
	v_fma_f64 v[30:31], v[22:23], v[32:33], v[30:31]
	v_fma_f64 v[32:33], -v[22:23], v[34:35], v[28:29]
	v_fma_f64 v[34:35], v[20:21], v[34:35], v[30:31]
	global_load_dwordx4 v[20:23], v[80:81], off offset:128
	global_load_dwordx4 v[28:31], v[82:83], off offset:128
	;; [unrolled: 7-line block ×8, first 2 shown]
	global_load_dwordx4 v[76:79], v[82:83], off offset:240
	s_waitcnt vmcnt(13)
	v_fma_f64 v[80:81], v[20:21], v[28:29], v[84:85]
	v_fma_f64 v[28:29], v[22:23], v[28:29], v[86:87]
	v_fma_f64 v[22:23], -v[22:23], v[30:31], v[80:81]
	v_fma_f64 v[20:21], v[20:21], v[30:31], v[28:29]
	s_waitcnt vmcnt(12)
	v_fma_f64 v[22:23], v[24:25], v[32:33], v[22:23]
	v_fma_f64 v[20:21], v[26:27], v[32:33], v[20:21]
	v_fma_f64 v[22:23], -v[26:27], v[34:35], v[22:23]
	v_fma_f64 v[20:21], v[24:25], v[34:35], v[20:21]
	;; [unrolled: 5-line block ×8, first 2 shown]
	s_andn2_b32 exec_lo, exec_lo, s10
	s_cbranch_execnz .LBB299_6
; %bb.7:
	s_or_b32 exec_lo, exec_lo, s10
.LBB299_8:
	s_or_b32 exec_lo, exec_lo, s9
	v_mbcnt_lo_u32_b32 v19, -1, 0
	v_xor_b32_e32 v11, 4, v19
	v_cmp_gt_i32_e32 vcc_lo, 32, v11
	v_cndmask_b32_e32 v11, v19, v11, vcc_lo
	v_lshlrev_b32_e32 v14, 2, v11
	ds_bpermute_b32 v11, v14, v17
	ds_bpermute_b32 v12, v14, v18
	;; [unrolled: 1-line block ×4, first 2 shown]
	s_waitcnt lgkmcnt(2)
	v_add_f64 v[11:12], v[17:18], v[11:12]
	s_waitcnt lgkmcnt(0)
	v_add_f64 v[13:14], v[15:16], v[13:14]
	v_xor_b32_e32 v15, 2, v19
	v_cmp_gt_i32_e32 vcc_lo, 32, v15
	v_cndmask_b32_e32 v15, v19, v15, vcc_lo
	v_lshlrev_b32_e32 v18, 2, v15
	ds_bpermute_b32 v15, v18, v11
	ds_bpermute_b32 v16, v18, v12
	;; [unrolled: 1-line block ×4, first 2 shown]
	s_waitcnt lgkmcnt(2)
	v_add_f64 v[11:12], v[11:12], v[15:16]
	v_xor_b32_e32 v15, 1, v19
	s_waitcnt lgkmcnt(0)
	v_add_f64 v[13:14], v[13:14], v[17:18]
	v_cmp_gt_i32_e32 vcc_lo, 32, v15
	v_cndmask_b32_e32 v15, v19, v15, vcc_lo
	v_cmp_eq_u32_e32 vcc_lo, 7, v0
	v_lshlrev_b32_e32 v18, 2, v15
	ds_bpermute_b32 v15, v18, v11
	ds_bpermute_b32 v16, v18, v12
	;; [unrolled: 1-line block ×4, first 2 shown]
	s_and_b32 exec_lo, exec_lo, vcc_lo
	s_cbranch_execz .LBB299_13
; %bb.9:
	s_waitcnt lgkmcnt(0)
	v_add_f64 v[13:14], v[13:14], v[17:18]
	v_add_f64 v[11:12], v[11:12], v[15:16]
	v_cmp_eq_f64_e32 vcc_lo, 0, v[1:2]
	v_cmp_eq_f64_e64 s0, 0, v[3:4]
	v_lshlrev_b64 v[9:10], 4, v[9:10]
	v_mul_f64 v[15:16], v[13:14], -v[7:8]
	v_mul_f64 v[13:14], v[5:6], v[13:14]
	s_and_b32 s0, vcc_lo, s0
	v_fma_f64 v[5:6], v[5:6], v[11:12], v[15:16]
	v_fma_f64 v[7:8], v[7:8], v[11:12], v[13:14]
	s_and_saveexec_b32 s1, s0
	s_xor_b32 s0, exec_lo, s1
	s_cbranch_execz .LBB299_11
; %bb.10:
	v_add_co_u32 v0, vcc_lo, s6, v9
	v_add_co_ci_u32_e64 v1, null, s7, v10, vcc_lo
                                        ; implicit-def: $vgpr9_vgpr10
	global_store_dwordx4 v[0:1], v[5:8], off
                                        ; implicit-def: $vgpr1_vgpr2
                                        ; implicit-def: $vgpr5_vgpr6
.LBB299_11:
	s_andn2_saveexec_b32 s0, s0
	s_cbranch_execz .LBB299_13
; %bb.12:
	v_add_co_u32 v13, vcc_lo, s6, v9
	v_add_co_ci_u32_e64 v14, null, s7, v10, vcc_lo
	global_load_dwordx4 v[9:12], v[13:14], off
	s_waitcnt vmcnt(0)
	v_fma_f64 v[5:6], v[1:2], v[9:10], v[5:6]
	v_fma_f64 v[7:8], v[3:4], v[9:10], v[7:8]
	v_fma_f64 v[3:4], -v[3:4], v[11:12], v[5:6]
	v_fma_f64 v[5:6], v[1:2], v[11:12], v[7:8]
	global_store_dwordx4 v[13:14], v[3:6], off
.LBB299_13:
	s_endpgm
	.section	.rodata,"a",@progbits
	.p2align	6, 0x0
	.amdhsa_kernel _ZN9rocsparseL19gebsrmvn_1xn_kernelILj128ELj16ELj8E21rocsparse_complex_numIdEEEvi20rocsparse_direction_NS_24const_host_device_scalarIT2_EEPKiS8_PKS5_SA_S6_PS5_21rocsparse_index_base_b
		.amdhsa_group_segment_fixed_size 0
		.amdhsa_private_segment_fixed_size 0
		.amdhsa_kernarg_size 88
		.amdhsa_user_sgpr_count 6
		.amdhsa_user_sgpr_private_segment_buffer 1
		.amdhsa_user_sgpr_dispatch_ptr 0
		.amdhsa_user_sgpr_queue_ptr 0
		.amdhsa_user_sgpr_kernarg_segment_ptr 1
		.amdhsa_user_sgpr_dispatch_id 0
		.amdhsa_user_sgpr_flat_scratch_init 0
		.amdhsa_user_sgpr_private_segment_size 0
		.amdhsa_wavefront_size32 1
		.amdhsa_uses_dynamic_stack 0
		.amdhsa_system_sgpr_private_segment_wavefront_offset 0
		.amdhsa_system_sgpr_workgroup_id_x 1
		.amdhsa_system_sgpr_workgroup_id_y 0
		.amdhsa_system_sgpr_workgroup_id_z 0
		.amdhsa_system_sgpr_workgroup_info 0
		.amdhsa_system_vgpr_workitem_id 0
		.amdhsa_next_free_vgpr 88
		.amdhsa_next_free_sgpr 13
		.amdhsa_reserve_vcc 1
		.amdhsa_reserve_flat_scratch 0
		.amdhsa_float_round_mode_32 0
		.amdhsa_float_round_mode_16_64 0
		.amdhsa_float_denorm_mode_32 3
		.amdhsa_float_denorm_mode_16_64 3
		.amdhsa_dx10_clamp 1
		.amdhsa_ieee_mode 1
		.amdhsa_fp16_overflow 0
		.amdhsa_workgroup_processor_mode 1
		.amdhsa_memory_ordered 1
		.amdhsa_forward_progress 1
		.amdhsa_shared_vgpr_count 0
		.amdhsa_exception_fp_ieee_invalid_op 0
		.amdhsa_exception_fp_denorm_src 0
		.amdhsa_exception_fp_ieee_div_zero 0
		.amdhsa_exception_fp_ieee_overflow 0
		.amdhsa_exception_fp_ieee_underflow 0
		.amdhsa_exception_fp_ieee_inexact 0
		.amdhsa_exception_int_div_zero 0
	.end_amdhsa_kernel
	.section	.text._ZN9rocsparseL19gebsrmvn_1xn_kernelILj128ELj16ELj8E21rocsparse_complex_numIdEEEvi20rocsparse_direction_NS_24const_host_device_scalarIT2_EEPKiS8_PKS5_SA_S6_PS5_21rocsparse_index_base_b,"axG",@progbits,_ZN9rocsparseL19gebsrmvn_1xn_kernelILj128ELj16ELj8E21rocsparse_complex_numIdEEEvi20rocsparse_direction_NS_24const_host_device_scalarIT2_EEPKiS8_PKS5_SA_S6_PS5_21rocsparse_index_base_b,comdat
.Lfunc_end299:
	.size	_ZN9rocsparseL19gebsrmvn_1xn_kernelILj128ELj16ELj8E21rocsparse_complex_numIdEEEvi20rocsparse_direction_NS_24const_host_device_scalarIT2_EEPKiS8_PKS5_SA_S6_PS5_21rocsparse_index_base_b, .Lfunc_end299-_ZN9rocsparseL19gebsrmvn_1xn_kernelILj128ELj16ELj8E21rocsparse_complex_numIdEEEvi20rocsparse_direction_NS_24const_host_device_scalarIT2_EEPKiS8_PKS5_SA_S6_PS5_21rocsparse_index_base_b
                                        ; -- End function
	.set _ZN9rocsparseL19gebsrmvn_1xn_kernelILj128ELj16ELj8E21rocsparse_complex_numIdEEEvi20rocsparse_direction_NS_24const_host_device_scalarIT2_EEPKiS8_PKS5_SA_S6_PS5_21rocsparse_index_base_b.num_vgpr, 88
	.set _ZN9rocsparseL19gebsrmvn_1xn_kernelILj128ELj16ELj8E21rocsparse_complex_numIdEEEvi20rocsparse_direction_NS_24const_host_device_scalarIT2_EEPKiS8_PKS5_SA_S6_PS5_21rocsparse_index_base_b.num_agpr, 0
	.set _ZN9rocsparseL19gebsrmvn_1xn_kernelILj128ELj16ELj8E21rocsparse_complex_numIdEEEvi20rocsparse_direction_NS_24const_host_device_scalarIT2_EEPKiS8_PKS5_SA_S6_PS5_21rocsparse_index_base_b.numbered_sgpr, 13
	.set _ZN9rocsparseL19gebsrmvn_1xn_kernelILj128ELj16ELj8E21rocsparse_complex_numIdEEEvi20rocsparse_direction_NS_24const_host_device_scalarIT2_EEPKiS8_PKS5_SA_S6_PS5_21rocsparse_index_base_b.num_named_barrier, 0
	.set _ZN9rocsparseL19gebsrmvn_1xn_kernelILj128ELj16ELj8E21rocsparse_complex_numIdEEEvi20rocsparse_direction_NS_24const_host_device_scalarIT2_EEPKiS8_PKS5_SA_S6_PS5_21rocsparse_index_base_b.private_seg_size, 0
	.set _ZN9rocsparseL19gebsrmvn_1xn_kernelILj128ELj16ELj8E21rocsparse_complex_numIdEEEvi20rocsparse_direction_NS_24const_host_device_scalarIT2_EEPKiS8_PKS5_SA_S6_PS5_21rocsparse_index_base_b.uses_vcc, 1
	.set _ZN9rocsparseL19gebsrmvn_1xn_kernelILj128ELj16ELj8E21rocsparse_complex_numIdEEEvi20rocsparse_direction_NS_24const_host_device_scalarIT2_EEPKiS8_PKS5_SA_S6_PS5_21rocsparse_index_base_b.uses_flat_scratch, 0
	.set _ZN9rocsparseL19gebsrmvn_1xn_kernelILj128ELj16ELj8E21rocsparse_complex_numIdEEEvi20rocsparse_direction_NS_24const_host_device_scalarIT2_EEPKiS8_PKS5_SA_S6_PS5_21rocsparse_index_base_b.has_dyn_sized_stack, 0
	.set _ZN9rocsparseL19gebsrmvn_1xn_kernelILj128ELj16ELj8E21rocsparse_complex_numIdEEEvi20rocsparse_direction_NS_24const_host_device_scalarIT2_EEPKiS8_PKS5_SA_S6_PS5_21rocsparse_index_base_b.has_recursion, 0
	.set _ZN9rocsparseL19gebsrmvn_1xn_kernelILj128ELj16ELj8E21rocsparse_complex_numIdEEEvi20rocsparse_direction_NS_24const_host_device_scalarIT2_EEPKiS8_PKS5_SA_S6_PS5_21rocsparse_index_base_b.has_indirect_call, 0
	.section	.AMDGPU.csdata,"",@progbits
; Kernel info:
; codeLenInByte = 1768
; TotalNumSgprs: 15
; NumVgprs: 88
; ScratchSize: 0
; MemoryBound: 1
; FloatMode: 240
; IeeeMode: 1
; LDSByteSize: 0 bytes/workgroup (compile time only)
; SGPRBlocks: 0
; VGPRBlocks: 10
; NumSGPRsForWavesPerEU: 15
; NumVGPRsForWavesPerEU: 88
; Occupancy: 10
; WaveLimiterHint : 1
; COMPUTE_PGM_RSRC2:SCRATCH_EN: 0
; COMPUTE_PGM_RSRC2:USER_SGPR: 6
; COMPUTE_PGM_RSRC2:TRAP_HANDLER: 0
; COMPUTE_PGM_RSRC2:TGID_X_EN: 1
; COMPUTE_PGM_RSRC2:TGID_Y_EN: 0
; COMPUTE_PGM_RSRC2:TGID_Z_EN: 0
; COMPUTE_PGM_RSRC2:TIDIG_COMP_CNT: 0
	.section	.text._ZN9rocsparseL19gebsrmvn_1xn_kernelILj128ELj16ELj16E21rocsparse_complex_numIdEEEvi20rocsparse_direction_NS_24const_host_device_scalarIT2_EEPKiS8_PKS5_SA_S6_PS5_21rocsparse_index_base_b,"axG",@progbits,_ZN9rocsparseL19gebsrmvn_1xn_kernelILj128ELj16ELj16E21rocsparse_complex_numIdEEEvi20rocsparse_direction_NS_24const_host_device_scalarIT2_EEPKiS8_PKS5_SA_S6_PS5_21rocsparse_index_base_b,comdat
	.globl	_ZN9rocsparseL19gebsrmvn_1xn_kernelILj128ELj16ELj16E21rocsparse_complex_numIdEEEvi20rocsparse_direction_NS_24const_host_device_scalarIT2_EEPKiS8_PKS5_SA_S6_PS5_21rocsparse_index_base_b ; -- Begin function _ZN9rocsparseL19gebsrmvn_1xn_kernelILj128ELj16ELj16E21rocsparse_complex_numIdEEEvi20rocsparse_direction_NS_24const_host_device_scalarIT2_EEPKiS8_PKS5_SA_S6_PS5_21rocsparse_index_base_b
	.p2align	8
	.type	_ZN9rocsparseL19gebsrmvn_1xn_kernelILj128ELj16ELj16E21rocsparse_complex_numIdEEEvi20rocsparse_direction_NS_24const_host_device_scalarIT2_EEPKiS8_PKS5_SA_S6_PS5_21rocsparse_index_base_b,@function
_ZN9rocsparseL19gebsrmvn_1xn_kernelILj128ELj16ELj16E21rocsparse_complex_numIdEEEvi20rocsparse_direction_NS_24const_host_device_scalarIT2_EEPKiS8_PKS5_SA_S6_PS5_21rocsparse_index_base_b: ; @_ZN9rocsparseL19gebsrmvn_1xn_kernelILj128ELj16ELj16E21rocsparse_complex_numIdEEEvi20rocsparse_direction_NS_24const_host_device_scalarIT2_EEPKiS8_PKS5_SA_S6_PS5_21rocsparse_index_base_b
; %bb.0:
	s_clause 0x1
	s_load_dwordx2 s[8:9], s[4:5], 0x50
	s_load_dwordx2 s[0:1], s[4:5], 0x8
	s_add_u32 s7, s4, 8
	s_addc_u32 s10, s5, 0
	s_add_u32 s11, s4, 56
	s_addc_u32 s12, s5, 0
	s_load_dwordx2 s[2:3], s[4:5], 0x38
	s_waitcnt lgkmcnt(0)
	s_bitcmp1_b32 s9, 0
	s_cselect_b32 s0, s7, s0
	s_cselect_b32 s1, s10, s1
	v_mov_b32_e32 v1, s0
	v_mov_b32_e32 v2, s1
	s_cselect_b32 s0, s11, s2
	s_cselect_b32 s1, s12, s3
	flat_load_dwordx4 v[5:8], v[1:2]
	v_mov_b32_e32 v1, s0
	v_mov_b32_e32 v2, s1
	flat_load_dwordx4 v[1:4], v[1:2]
	s_waitcnt vmcnt(1) lgkmcnt(1)
	v_cmp_eq_f64_e32 vcc_lo, 0, v[5:6]
	v_cmp_eq_f64_e64 s0, 0, v[7:8]
	s_and_b32 s2, vcc_lo, s0
	s_mov_b32 s0, -1
	s_and_saveexec_b32 s1, s2
	s_cbranch_execz .LBB300_2
; %bb.1:
	s_waitcnt vmcnt(0) lgkmcnt(0)
	v_cmp_neq_f64_e32 vcc_lo, 1.0, v[1:2]
	v_cmp_neq_f64_e64 s0, 0, v[3:4]
	s_or_b32 s0, vcc_lo, s0
	s_orn2_b32 s0, s0, exec_lo
.LBB300_2:
	s_or_b32 exec_lo, exec_lo, s1
	s_and_saveexec_b32 s1, s0
	s_cbranch_execz .LBB300_13
; %bb.3:
	s_load_dword s0, s[4:5], 0x0
	v_lshrrev_b32_e32 v9, 4, v0
	v_lshl_or_b32 v9, s6, 3, v9
	s_waitcnt lgkmcnt(0)
	v_cmp_gt_i32_e32 vcc_lo, s0, v9
	s_and_b32 exec_lo, exec_lo, vcc_lo
	s_cbranch_execz .LBB300_13
; %bb.4:
	s_clause 0x1
	s_load_dwordx2 s[0:1], s[4:5], 0x18
	s_load_dwordx2 s[6:7], s[4:5], 0x48
	v_ashrrev_i32_e32 v10, 31, v9
	v_and_b32_e32 v0, 15, v0
	v_mov_b32_e32 v15, 0
	v_mov_b32_e32 v17, 0
	;; [unrolled: 1-line block ×3, first 2 shown]
	v_lshlrev_b64 v[11:12], 2, v[9:10]
	v_subrev_nc_u32_e32 v13, s8, v0
	v_mov_b32_e32 v18, 0
	s_mov_b32 s9, exec_lo
	s_waitcnt lgkmcnt(0)
	v_add_co_u32 v11, vcc_lo, s0, v11
	v_add_co_ci_u32_e64 v12, null, s1, v12, vcc_lo
	global_load_dwordx2 v[11:12], v[11:12], off
	s_waitcnt vmcnt(0)
	v_subrev_nc_u32_e32 v19, s8, v12
	v_add_nc_u32_e32 v11, v11, v13
	v_cmpx_lt_i32_e64 v11, v19
	s_cbranch_execz .LBB300_8
; %bb.5:
	s_clause 0x1
	s_load_dwordx4 s[0:3], s[4:5], 0x20
	s_load_dwordx2 s[4:5], s[4:5], 0x30
	v_mov_b32_e32 v15, 0
	v_mov_b32_e32 v17, 0
	v_lshlrev_b32_e32 v13, 4, v11
	v_mov_b32_e32 v16, 0
	v_mov_b32_e32 v18, 0
	v_mov_b32_e32 v14, 0
	s_mov_b32 s10, 0
.LBB300_6:                              ; =>This Inner Loop Header: Depth=1
	v_ashrrev_i32_e32 v12, 31, v11
	v_mov_b32_e32 v29, v14
	v_lshlrev_b64 v[20:21], 2, v[11:12]
	v_add_nc_u32_e32 v11, 16, v11
	s_waitcnt lgkmcnt(0)
	v_add_co_u32 v20, vcc_lo, s0, v20
	v_add_co_ci_u32_e64 v21, null, s1, v21, vcc_lo
	global_load_dword v12, v[20:21], off
	v_lshlrev_b64 v[20:21], 4, v[13:14]
	v_add_nc_u32_e32 v13, 0x100, v13
	v_add_co_u32 v80, vcc_lo, s2, v20
	v_add_co_ci_u32_e64 v81, null, s3, v21, vcc_lo
	s_clause 0x1
	global_load_dwordx4 v[20:23], v[80:81], off offset:16
	global_load_dwordx4 v[24:27], v[80:81], off
	s_waitcnt vmcnt(2)
	v_subrev_nc_u32_e32 v12, s8, v12
	v_lshlrev_b32_e32 v28, 4, v12
	v_lshlrev_b64 v[28:29], 4, v[28:29]
	v_add_co_u32 v82, vcc_lo, s4, v28
	v_add_co_ci_u32_e64 v83, null, s5, v29, vcc_lo
	v_cmp_ge_i32_e32 vcc_lo, v11, v19
	s_clause 0x1
	global_load_dwordx4 v[28:31], v[82:83], off
	global_load_dwordx4 v[32:35], v[82:83], off offset:16
	s_clause 0x1
	global_load_dwordx4 v[36:39], v[80:81], off offset:48
	global_load_dwordx4 v[40:43], v[80:81], off offset:32
	s_clause 0x1
	global_load_dwordx4 v[44:47], v[82:83], off offset:32
	;; [unrolled: 3-line block ×5, first 2 shown]
	global_load_dwordx4 v[72:75], v[80:81], off offset:96
	global_load_dwordx4 v[76:79], v[82:83], off offset:96
	s_or_b32 s10, vcc_lo, s10
	s_waitcnt vmcnt(12)
	v_fma_f64 v[17:18], v[24:25], v[28:29], v[17:18]
	v_fma_f64 v[15:16], v[26:27], v[28:29], v[15:16]
	v_fma_f64 v[28:29], -v[26:27], v[30:31], v[17:18]
	v_fma_f64 v[30:31], v[24:25], v[30:31], v[15:16]
	global_load_dwordx4 v[15:18], v[82:83], off offset:112
	global_load_dwordx4 v[24:27], v[80:81], off offset:144
	s_waitcnt vmcnt(13)
	v_fma_f64 v[28:29], v[20:21], v[32:33], v[28:29]
	v_fma_f64 v[30:31], v[22:23], v[32:33], v[30:31]
	v_fma_f64 v[32:33], -v[22:23], v[34:35], v[28:29]
	v_fma_f64 v[34:35], v[20:21], v[34:35], v[30:31]
	global_load_dwordx4 v[20:23], v[80:81], off offset:128
	global_load_dwordx4 v[28:31], v[82:83], off offset:128
	;; [unrolled: 7-line block ×8, first 2 shown]
	global_load_dwordx4 v[76:79], v[82:83], off offset:240
	s_waitcnt vmcnt(13)
	v_fma_f64 v[80:81], v[20:21], v[28:29], v[84:85]
	v_fma_f64 v[28:29], v[22:23], v[28:29], v[86:87]
	v_fma_f64 v[22:23], -v[22:23], v[30:31], v[80:81]
	v_fma_f64 v[20:21], v[20:21], v[30:31], v[28:29]
	s_waitcnt vmcnt(12)
	v_fma_f64 v[22:23], v[24:25], v[32:33], v[22:23]
	v_fma_f64 v[20:21], v[26:27], v[32:33], v[20:21]
	v_fma_f64 v[22:23], -v[26:27], v[34:35], v[22:23]
	v_fma_f64 v[20:21], v[24:25], v[34:35], v[20:21]
	;; [unrolled: 5-line block ×8, first 2 shown]
	s_andn2_b32 exec_lo, exec_lo, s10
	s_cbranch_execnz .LBB300_6
; %bb.7:
	s_or_b32 exec_lo, exec_lo, s10
.LBB300_8:
	s_or_b32 exec_lo, exec_lo, s9
	v_mbcnt_lo_u32_b32 v19, -1, 0
	v_xor_b32_e32 v11, 8, v19
	v_cmp_gt_i32_e32 vcc_lo, 32, v11
	v_cndmask_b32_e32 v11, v19, v11, vcc_lo
	v_lshlrev_b32_e32 v14, 2, v11
	ds_bpermute_b32 v11, v14, v17
	ds_bpermute_b32 v12, v14, v18
	ds_bpermute_b32 v13, v14, v15
	ds_bpermute_b32 v14, v14, v16
	s_waitcnt lgkmcnt(2)
	v_add_f64 v[11:12], v[17:18], v[11:12]
	s_waitcnt lgkmcnt(0)
	v_add_f64 v[13:14], v[15:16], v[13:14]
	v_xor_b32_e32 v15, 4, v19
	v_cmp_gt_i32_e32 vcc_lo, 32, v15
	v_cndmask_b32_e32 v15, v19, v15, vcc_lo
	v_lshlrev_b32_e32 v18, 2, v15
	ds_bpermute_b32 v15, v18, v11
	ds_bpermute_b32 v16, v18, v12
	;; [unrolled: 1-line block ×4, first 2 shown]
	s_waitcnt lgkmcnt(2)
	v_add_f64 v[11:12], v[11:12], v[15:16]
	v_xor_b32_e32 v15, 2, v19
	s_waitcnt lgkmcnt(0)
	v_add_f64 v[13:14], v[13:14], v[17:18]
	v_cmp_gt_i32_e32 vcc_lo, 32, v15
	v_cndmask_b32_e32 v15, v19, v15, vcc_lo
	v_lshlrev_b32_e32 v18, 2, v15
	ds_bpermute_b32 v15, v18, v11
	ds_bpermute_b32 v16, v18, v12
	;; [unrolled: 1-line block ×4, first 2 shown]
	s_waitcnt lgkmcnt(2)
	v_add_f64 v[11:12], v[11:12], v[15:16]
	v_xor_b32_e32 v15, 1, v19
	s_waitcnt lgkmcnt(0)
	v_add_f64 v[13:14], v[13:14], v[17:18]
	v_cmp_gt_i32_e32 vcc_lo, 32, v15
	v_cndmask_b32_e32 v15, v19, v15, vcc_lo
	v_cmp_eq_u32_e32 vcc_lo, 15, v0
	v_lshlrev_b32_e32 v18, 2, v15
	ds_bpermute_b32 v15, v18, v11
	ds_bpermute_b32 v16, v18, v12
	;; [unrolled: 1-line block ×4, first 2 shown]
	s_and_b32 exec_lo, exec_lo, vcc_lo
	s_cbranch_execz .LBB300_13
; %bb.9:
	s_waitcnt lgkmcnt(0)
	v_add_f64 v[13:14], v[13:14], v[17:18]
	v_add_f64 v[11:12], v[11:12], v[15:16]
	v_cmp_eq_f64_e32 vcc_lo, 0, v[1:2]
	v_cmp_eq_f64_e64 s0, 0, v[3:4]
	v_lshlrev_b64 v[9:10], 4, v[9:10]
	v_mul_f64 v[15:16], v[13:14], -v[7:8]
	v_mul_f64 v[13:14], v[5:6], v[13:14]
	s_and_b32 s0, vcc_lo, s0
	v_fma_f64 v[5:6], v[5:6], v[11:12], v[15:16]
	v_fma_f64 v[7:8], v[7:8], v[11:12], v[13:14]
	s_and_saveexec_b32 s1, s0
	s_xor_b32 s0, exec_lo, s1
	s_cbranch_execz .LBB300_11
; %bb.10:
	v_add_co_u32 v0, vcc_lo, s6, v9
	v_add_co_ci_u32_e64 v1, null, s7, v10, vcc_lo
                                        ; implicit-def: $vgpr9_vgpr10
	global_store_dwordx4 v[0:1], v[5:8], off
                                        ; implicit-def: $vgpr1_vgpr2
                                        ; implicit-def: $vgpr5_vgpr6
.LBB300_11:
	s_andn2_saveexec_b32 s0, s0
	s_cbranch_execz .LBB300_13
; %bb.12:
	v_add_co_u32 v13, vcc_lo, s6, v9
	v_add_co_ci_u32_e64 v14, null, s7, v10, vcc_lo
	global_load_dwordx4 v[9:12], v[13:14], off
	s_waitcnt vmcnt(0)
	v_fma_f64 v[5:6], v[1:2], v[9:10], v[5:6]
	v_fma_f64 v[7:8], v[3:4], v[9:10], v[7:8]
	v_fma_f64 v[3:4], -v[3:4], v[11:12], v[5:6]
	v_fma_f64 v[5:6], v[1:2], v[11:12], v[7:8]
	global_store_dwordx4 v[13:14], v[3:6], off
.LBB300_13:
	s_endpgm
	.section	.rodata,"a",@progbits
	.p2align	6, 0x0
	.amdhsa_kernel _ZN9rocsparseL19gebsrmvn_1xn_kernelILj128ELj16ELj16E21rocsparse_complex_numIdEEEvi20rocsparse_direction_NS_24const_host_device_scalarIT2_EEPKiS8_PKS5_SA_S6_PS5_21rocsparse_index_base_b
		.amdhsa_group_segment_fixed_size 0
		.amdhsa_private_segment_fixed_size 0
		.amdhsa_kernarg_size 88
		.amdhsa_user_sgpr_count 6
		.amdhsa_user_sgpr_private_segment_buffer 1
		.amdhsa_user_sgpr_dispatch_ptr 0
		.amdhsa_user_sgpr_queue_ptr 0
		.amdhsa_user_sgpr_kernarg_segment_ptr 1
		.amdhsa_user_sgpr_dispatch_id 0
		.amdhsa_user_sgpr_flat_scratch_init 0
		.amdhsa_user_sgpr_private_segment_size 0
		.amdhsa_wavefront_size32 1
		.amdhsa_uses_dynamic_stack 0
		.amdhsa_system_sgpr_private_segment_wavefront_offset 0
		.amdhsa_system_sgpr_workgroup_id_x 1
		.amdhsa_system_sgpr_workgroup_id_y 0
		.amdhsa_system_sgpr_workgroup_id_z 0
		.amdhsa_system_sgpr_workgroup_info 0
		.amdhsa_system_vgpr_workitem_id 0
		.amdhsa_next_free_vgpr 88
		.amdhsa_next_free_sgpr 13
		.amdhsa_reserve_vcc 1
		.amdhsa_reserve_flat_scratch 0
		.amdhsa_float_round_mode_32 0
		.amdhsa_float_round_mode_16_64 0
		.amdhsa_float_denorm_mode_32 3
		.amdhsa_float_denorm_mode_16_64 3
		.amdhsa_dx10_clamp 1
		.amdhsa_ieee_mode 1
		.amdhsa_fp16_overflow 0
		.amdhsa_workgroup_processor_mode 1
		.amdhsa_memory_ordered 1
		.amdhsa_forward_progress 1
		.amdhsa_shared_vgpr_count 0
		.amdhsa_exception_fp_ieee_invalid_op 0
		.amdhsa_exception_fp_denorm_src 0
		.amdhsa_exception_fp_ieee_div_zero 0
		.amdhsa_exception_fp_ieee_overflow 0
		.amdhsa_exception_fp_ieee_underflow 0
		.amdhsa_exception_fp_ieee_inexact 0
		.amdhsa_exception_int_div_zero 0
	.end_amdhsa_kernel
	.section	.text._ZN9rocsparseL19gebsrmvn_1xn_kernelILj128ELj16ELj16E21rocsparse_complex_numIdEEEvi20rocsparse_direction_NS_24const_host_device_scalarIT2_EEPKiS8_PKS5_SA_S6_PS5_21rocsparse_index_base_b,"axG",@progbits,_ZN9rocsparseL19gebsrmvn_1xn_kernelILj128ELj16ELj16E21rocsparse_complex_numIdEEEvi20rocsparse_direction_NS_24const_host_device_scalarIT2_EEPKiS8_PKS5_SA_S6_PS5_21rocsparse_index_base_b,comdat
.Lfunc_end300:
	.size	_ZN9rocsparseL19gebsrmvn_1xn_kernelILj128ELj16ELj16E21rocsparse_complex_numIdEEEvi20rocsparse_direction_NS_24const_host_device_scalarIT2_EEPKiS8_PKS5_SA_S6_PS5_21rocsparse_index_base_b, .Lfunc_end300-_ZN9rocsparseL19gebsrmvn_1xn_kernelILj128ELj16ELj16E21rocsparse_complex_numIdEEEvi20rocsparse_direction_NS_24const_host_device_scalarIT2_EEPKiS8_PKS5_SA_S6_PS5_21rocsparse_index_base_b
                                        ; -- End function
	.set _ZN9rocsparseL19gebsrmvn_1xn_kernelILj128ELj16ELj16E21rocsparse_complex_numIdEEEvi20rocsparse_direction_NS_24const_host_device_scalarIT2_EEPKiS8_PKS5_SA_S6_PS5_21rocsparse_index_base_b.num_vgpr, 88
	.set _ZN9rocsparseL19gebsrmvn_1xn_kernelILj128ELj16ELj16E21rocsparse_complex_numIdEEEvi20rocsparse_direction_NS_24const_host_device_scalarIT2_EEPKiS8_PKS5_SA_S6_PS5_21rocsparse_index_base_b.num_agpr, 0
	.set _ZN9rocsparseL19gebsrmvn_1xn_kernelILj128ELj16ELj16E21rocsparse_complex_numIdEEEvi20rocsparse_direction_NS_24const_host_device_scalarIT2_EEPKiS8_PKS5_SA_S6_PS5_21rocsparse_index_base_b.numbered_sgpr, 13
	.set _ZN9rocsparseL19gebsrmvn_1xn_kernelILj128ELj16ELj16E21rocsparse_complex_numIdEEEvi20rocsparse_direction_NS_24const_host_device_scalarIT2_EEPKiS8_PKS5_SA_S6_PS5_21rocsparse_index_base_b.num_named_barrier, 0
	.set _ZN9rocsparseL19gebsrmvn_1xn_kernelILj128ELj16ELj16E21rocsparse_complex_numIdEEEvi20rocsparse_direction_NS_24const_host_device_scalarIT2_EEPKiS8_PKS5_SA_S6_PS5_21rocsparse_index_base_b.private_seg_size, 0
	.set _ZN9rocsparseL19gebsrmvn_1xn_kernelILj128ELj16ELj16E21rocsparse_complex_numIdEEEvi20rocsparse_direction_NS_24const_host_device_scalarIT2_EEPKiS8_PKS5_SA_S6_PS5_21rocsparse_index_base_b.uses_vcc, 1
	.set _ZN9rocsparseL19gebsrmvn_1xn_kernelILj128ELj16ELj16E21rocsparse_complex_numIdEEEvi20rocsparse_direction_NS_24const_host_device_scalarIT2_EEPKiS8_PKS5_SA_S6_PS5_21rocsparse_index_base_b.uses_flat_scratch, 0
	.set _ZN9rocsparseL19gebsrmvn_1xn_kernelILj128ELj16ELj16E21rocsparse_complex_numIdEEEvi20rocsparse_direction_NS_24const_host_device_scalarIT2_EEPKiS8_PKS5_SA_S6_PS5_21rocsparse_index_base_b.has_dyn_sized_stack, 0
	.set _ZN9rocsparseL19gebsrmvn_1xn_kernelILj128ELj16ELj16E21rocsparse_complex_numIdEEEvi20rocsparse_direction_NS_24const_host_device_scalarIT2_EEPKiS8_PKS5_SA_S6_PS5_21rocsparse_index_base_b.has_recursion, 0
	.set _ZN9rocsparseL19gebsrmvn_1xn_kernelILj128ELj16ELj16E21rocsparse_complex_numIdEEEvi20rocsparse_direction_NS_24const_host_device_scalarIT2_EEPKiS8_PKS5_SA_S6_PS5_21rocsparse_index_base_b.has_indirect_call, 0
	.section	.AMDGPU.csdata,"",@progbits
; Kernel info:
; codeLenInByte = 1840
; TotalNumSgprs: 15
; NumVgprs: 88
; ScratchSize: 0
; MemoryBound: 1
; FloatMode: 240
; IeeeMode: 1
; LDSByteSize: 0 bytes/workgroup (compile time only)
; SGPRBlocks: 0
; VGPRBlocks: 10
; NumSGPRsForWavesPerEU: 15
; NumVGPRsForWavesPerEU: 88
; Occupancy: 10
; WaveLimiterHint : 1
; COMPUTE_PGM_RSRC2:SCRATCH_EN: 0
; COMPUTE_PGM_RSRC2:USER_SGPR: 6
; COMPUTE_PGM_RSRC2:TRAP_HANDLER: 0
; COMPUTE_PGM_RSRC2:TGID_X_EN: 1
; COMPUTE_PGM_RSRC2:TGID_Y_EN: 0
; COMPUTE_PGM_RSRC2:TGID_Z_EN: 0
; COMPUTE_PGM_RSRC2:TIDIG_COMP_CNT: 0
	.section	.text._ZN9rocsparseL19gebsrmvn_1xn_kernelILj128ELj16ELj32E21rocsparse_complex_numIdEEEvi20rocsparse_direction_NS_24const_host_device_scalarIT2_EEPKiS8_PKS5_SA_S6_PS5_21rocsparse_index_base_b,"axG",@progbits,_ZN9rocsparseL19gebsrmvn_1xn_kernelILj128ELj16ELj32E21rocsparse_complex_numIdEEEvi20rocsparse_direction_NS_24const_host_device_scalarIT2_EEPKiS8_PKS5_SA_S6_PS5_21rocsparse_index_base_b,comdat
	.globl	_ZN9rocsparseL19gebsrmvn_1xn_kernelILj128ELj16ELj32E21rocsparse_complex_numIdEEEvi20rocsparse_direction_NS_24const_host_device_scalarIT2_EEPKiS8_PKS5_SA_S6_PS5_21rocsparse_index_base_b ; -- Begin function _ZN9rocsparseL19gebsrmvn_1xn_kernelILj128ELj16ELj32E21rocsparse_complex_numIdEEEvi20rocsparse_direction_NS_24const_host_device_scalarIT2_EEPKiS8_PKS5_SA_S6_PS5_21rocsparse_index_base_b
	.p2align	8
	.type	_ZN9rocsparseL19gebsrmvn_1xn_kernelILj128ELj16ELj32E21rocsparse_complex_numIdEEEvi20rocsparse_direction_NS_24const_host_device_scalarIT2_EEPKiS8_PKS5_SA_S6_PS5_21rocsparse_index_base_b,@function
_ZN9rocsparseL19gebsrmvn_1xn_kernelILj128ELj16ELj32E21rocsparse_complex_numIdEEEvi20rocsparse_direction_NS_24const_host_device_scalarIT2_EEPKiS8_PKS5_SA_S6_PS5_21rocsparse_index_base_b: ; @_ZN9rocsparseL19gebsrmvn_1xn_kernelILj128ELj16ELj32E21rocsparse_complex_numIdEEEvi20rocsparse_direction_NS_24const_host_device_scalarIT2_EEPKiS8_PKS5_SA_S6_PS5_21rocsparse_index_base_b
; %bb.0:
	s_clause 0x1
	s_load_dwordx2 s[8:9], s[4:5], 0x50
	s_load_dwordx2 s[0:1], s[4:5], 0x8
	s_add_u32 s7, s4, 8
	s_addc_u32 s10, s5, 0
	s_add_u32 s11, s4, 56
	s_addc_u32 s12, s5, 0
	s_load_dwordx2 s[2:3], s[4:5], 0x38
	s_waitcnt lgkmcnt(0)
	s_bitcmp1_b32 s9, 0
	s_cselect_b32 s0, s7, s0
	s_cselect_b32 s1, s10, s1
	v_mov_b32_e32 v1, s0
	v_mov_b32_e32 v2, s1
	s_cselect_b32 s0, s11, s2
	s_cselect_b32 s1, s12, s3
	flat_load_dwordx4 v[5:8], v[1:2]
	v_mov_b32_e32 v1, s0
	v_mov_b32_e32 v2, s1
	flat_load_dwordx4 v[1:4], v[1:2]
	s_waitcnt vmcnt(1) lgkmcnt(1)
	v_cmp_eq_f64_e32 vcc_lo, 0, v[5:6]
	v_cmp_eq_f64_e64 s0, 0, v[7:8]
	s_and_b32 s2, vcc_lo, s0
	s_mov_b32 s0, -1
	s_and_saveexec_b32 s1, s2
	s_cbranch_execz .LBB301_2
; %bb.1:
	s_waitcnt vmcnt(0) lgkmcnt(0)
	v_cmp_neq_f64_e32 vcc_lo, 1.0, v[1:2]
	v_cmp_neq_f64_e64 s0, 0, v[3:4]
	s_or_b32 s0, vcc_lo, s0
	s_orn2_b32 s0, s0, exec_lo
.LBB301_2:
	s_or_b32 exec_lo, exec_lo, s1
	s_and_saveexec_b32 s1, s0
	s_cbranch_execz .LBB301_13
; %bb.3:
	s_load_dword s0, s[4:5], 0x0
	v_lshrrev_b32_e32 v9, 5, v0
	v_lshl_or_b32 v9, s6, 2, v9
	s_waitcnt lgkmcnt(0)
	v_cmp_gt_i32_e32 vcc_lo, s0, v9
	s_and_b32 exec_lo, exec_lo, vcc_lo
	s_cbranch_execz .LBB301_13
; %bb.4:
	s_clause 0x1
	s_load_dwordx2 s[0:1], s[4:5], 0x18
	s_load_dwordx2 s[6:7], s[4:5], 0x48
	v_ashrrev_i32_e32 v10, 31, v9
	v_and_b32_e32 v0, 31, v0
	v_mov_b32_e32 v15, 0
	v_mov_b32_e32 v17, 0
	;; [unrolled: 1-line block ×3, first 2 shown]
	v_lshlrev_b64 v[11:12], 2, v[9:10]
	v_subrev_nc_u32_e32 v13, s8, v0
	v_mov_b32_e32 v18, 0
	s_mov_b32 s9, exec_lo
	s_waitcnt lgkmcnt(0)
	v_add_co_u32 v11, vcc_lo, s0, v11
	v_add_co_ci_u32_e64 v12, null, s1, v12, vcc_lo
	global_load_dwordx2 v[11:12], v[11:12], off
	s_waitcnt vmcnt(0)
	v_subrev_nc_u32_e32 v19, s8, v12
	v_add_nc_u32_e32 v11, v11, v13
	v_cmpx_lt_i32_e64 v11, v19
	s_cbranch_execz .LBB301_8
; %bb.5:
	s_clause 0x1
	s_load_dwordx4 s[0:3], s[4:5], 0x20
	s_load_dwordx2 s[4:5], s[4:5], 0x30
	v_mov_b32_e32 v15, 0
	v_mov_b32_e32 v17, 0
	v_lshlrev_b32_e32 v13, 4, v11
	v_mov_b32_e32 v16, 0
	v_mov_b32_e32 v18, 0
	;; [unrolled: 1-line block ×3, first 2 shown]
	s_mov_b32 s10, 0
.LBB301_6:                              ; =>This Inner Loop Header: Depth=1
	v_ashrrev_i32_e32 v12, 31, v11
	v_mov_b32_e32 v29, v14
	v_lshlrev_b64 v[20:21], 2, v[11:12]
	v_add_nc_u32_e32 v11, 32, v11
	s_waitcnt lgkmcnt(0)
	v_add_co_u32 v20, vcc_lo, s0, v20
	v_add_co_ci_u32_e64 v21, null, s1, v21, vcc_lo
	global_load_dword v12, v[20:21], off
	v_lshlrev_b64 v[20:21], 4, v[13:14]
	v_add_nc_u32_e32 v13, 0x200, v13
	v_add_co_u32 v80, vcc_lo, s2, v20
	v_add_co_ci_u32_e64 v81, null, s3, v21, vcc_lo
	s_clause 0x1
	global_load_dwordx4 v[20:23], v[80:81], off offset:16
	global_load_dwordx4 v[24:27], v[80:81], off
	s_waitcnt vmcnt(2)
	v_subrev_nc_u32_e32 v12, s8, v12
	v_lshlrev_b32_e32 v28, 4, v12
	v_lshlrev_b64 v[28:29], 4, v[28:29]
	v_add_co_u32 v82, vcc_lo, s4, v28
	v_add_co_ci_u32_e64 v83, null, s5, v29, vcc_lo
	v_cmp_ge_i32_e32 vcc_lo, v11, v19
	s_clause 0x1
	global_load_dwordx4 v[28:31], v[82:83], off
	global_load_dwordx4 v[32:35], v[82:83], off offset:16
	s_clause 0x1
	global_load_dwordx4 v[36:39], v[80:81], off offset:48
	global_load_dwordx4 v[40:43], v[80:81], off offset:32
	s_clause 0x1
	global_load_dwordx4 v[44:47], v[82:83], off offset:32
	;; [unrolled: 3-line block ×5, first 2 shown]
	global_load_dwordx4 v[72:75], v[80:81], off offset:96
	global_load_dwordx4 v[76:79], v[82:83], off offset:96
	s_or_b32 s10, vcc_lo, s10
	s_waitcnt vmcnt(12)
	v_fma_f64 v[17:18], v[24:25], v[28:29], v[17:18]
	v_fma_f64 v[15:16], v[26:27], v[28:29], v[15:16]
	v_fma_f64 v[28:29], -v[26:27], v[30:31], v[17:18]
	v_fma_f64 v[30:31], v[24:25], v[30:31], v[15:16]
	global_load_dwordx4 v[15:18], v[82:83], off offset:112
	global_load_dwordx4 v[24:27], v[80:81], off offset:144
	s_waitcnt vmcnt(13)
	v_fma_f64 v[28:29], v[20:21], v[32:33], v[28:29]
	v_fma_f64 v[30:31], v[22:23], v[32:33], v[30:31]
	v_fma_f64 v[32:33], -v[22:23], v[34:35], v[28:29]
	v_fma_f64 v[34:35], v[20:21], v[34:35], v[30:31]
	global_load_dwordx4 v[20:23], v[80:81], off offset:128
	global_load_dwordx4 v[28:31], v[82:83], off offset:128
	;; [unrolled: 7-line block ×8, first 2 shown]
	global_load_dwordx4 v[76:79], v[82:83], off offset:240
	s_waitcnt vmcnt(13)
	v_fma_f64 v[80:81], v[20:21], v[28:29], v[84:85]
	v_fma_f64 v[28:29], v[22:23], v[28:29], v[86:87]
	v_fma_f64 v[22:23], -v[22:23], v[30:31], v[80:81]
	v_fma_f64 v[20:21], v[20:21], v[30:31], v[28:29]
	s_waitcnt vmcnt(12)
	v_fma_f64 v[22:23], v[24:25], v[32:33], v[22:23]
	v_fma_f64 v[20:21], v[26:27], v[32:33], v[20:21]
	v_fma_f64 v[22:23], -v[26:27], v[34:35], v[22:23]
	v_fma_f64 v[20:21], v[24:25], v[34:35], v[20:21]
	;; [unrolled: 5-line block ×8, first 2 shown]
	s_andn2_b32 exec_lo, exec_lo, s10
	s_cbranch_execnz .LBB301_6
; %bb.7:
	s_or_b32 exec_lo, exec_lo, s10
.LBB301_8:
	s_or_b32 exec_lo, exec_lo, s9
	v_mbcnt_lo_u32_b32 v19, -1, 0
	v_xor_b32_e32 v11, 16, v19
	v_cmp_gt_i32_e32 vcc_lo, 32, v11
	v_cndmask_b32_e32 v11, v19, v11, vcc_lo
	v_lshlrev_b32_e32 v14, 2, v11
	ds_bpermute_b32 v11, v14, v17
	ds_bpermute_b32 v12, v14, v18
	;; [unrolled: 1-line block ×4, first 2 shown]
	s_waitcnt lgkmcnt(2)
	v_add_f64 v[11:12], v[17:18], v[11:12]
	s_waitcnt lgkmcnt(0)
	v_add_f64 v[13:14], v[15:16], v[13:14]
	v_xor_b32_e32 v15, 8, v19
	v_cmp_gt_i32_e32 vcc_lo, 32, v15
	v_cndmask_b32_e32 v15, v19, v15, vcc_lo
	v_lshlrev_b32_e32 v18, 2, v15
	ds_bpermute_b32 v15, v18, v11
	ds_bpermute_b32 v16, v18, v12
	ds_bpermute_b32 v17, v18, v13
	ds_bpermute_b32 v18, v18, v14
	s_waitcnt lgkmcnt(2)
	v_add_f64 v[11:12], v[11:12], v[15:16]
	v_xor_b32_e32 v15, 4, v19
	s_waitcnt lgkmcnt(0)
	v_add_f64 v[13:14], v[13:14], v[17:18]
	v_cmp_gt_i32_e32 vcc_lo, 32, v15
	v_cndmask_b32_e32 v15, v19, v15, vcc_lo
	v_lshlrev_b32_e32 v18, 2, v15
	ds_bpermute_b32 v15, v18, v11
	ds_bpermute_b32 v16, v18, v12
	ds_bpermute_b32 v17, v18, v13
	ds_bpermute_b32 v18, v18, v14
	s_waitcnt lgkmcnt(2)
	v_add_f64 v[11:12], v[11:12], v[15:16]
	v_xor_b32_e32 v15, 2, v19
	s_waitcnt lgkmcnt(0)
	v_add_f64 v[13:14], v[13:14], v[17:18]
	;; [unrolled: 12-line block ×3, first 2 shown]
	v_cmp_gt_i32_e32 vcc_lo, 32, v15
	v_cndmask_b32_e32 v15, v19, v15, vcc_lo
	v_cmp_eq_u32_e32 vcc_lo, 31, v0
	v_lshlrev_b32_e32 v18, 2, v15
	ds_bpermute_b32 v15, v18, v11
	ds_bpermute_b32 v16, v18, v12
	ds_bpermute_b32 v17, v18, v13
	ds_bpermute_b32 v18, v18, v14
	s_and_b32 exec_lo, exec_lo, vcc_lo
	s_cbranch_execz .LBB301_13
; %bb.9:
	s_waitcnt lgkmcnt(0)
	v_add_f64 v[13:14], v[13:14], v[17:18]
	v_add_f64 v[11:12], v[11:12], v[15:16]
	v_cmp_eq_f64_e32 vcc_lo, 0, v[1:2]
	v_cmp_eq_f64_e64 s0, 0, v[3:4]
	v_lshlrev_b64 v[9:10], 4, v[9:10]
	v_mul_f64 v[15:16], v[13:14], -v[7:8]
	v_mul_f64 v[13:14], v[5:6], v[13:14]
	s_and_b32 s0, vcc_lo, s0
	v_fma_f64 v[5:6], v[5:6], v[11:12], v[15:16]
	v_fma_f64 v[7:8], v[7:8], v[11:12], v[13:14]
	s_and_saveexec_b32 s1, s0
	s_xor_b32 s0, exec_lo, s1
	s_cbranch_execz .LBB301_11
; %bb.10:
	v_add_co_u32 v0, vcc_lo, s6, v9
	v_add_co_ci_u32_e64 v1, null, s7, v10, vcc_lo
                                        ; implicit-def: $vgpr9_vgpr10
	global_store_dwordx4 v[0:1], v[5:8], off
                                        ; implicit-def: $vgpr1_vgpr2
                                        ; implicit-def: $vgpr5_vgpr6
.LBB301_11:
	s_andn2_saveexec_b32 s0, s0
	s_cbranch_execz .LBB301_13
; %bb.12:
	v_add_co_u32 v13, vcc_lo, s6, v9
	v_add_co_ci_u32_e64 v14, null, s7, v10, vcc_lo
	global_load_dwordx4 v[9:12], v[13:14], off
	s_waitcnt vmcnt(0)
	v_fma_f64 v[5:6], v[1:2], v[9:10], v[5:6]
	v_fma_f64 v[7:8], v[3:4], v[9:10], v[7:8]
	v_fma_f64 v[3:4], -v[3:4], v[11:12], v[5:6]
	v_fma_f64 v[5:6], v[1:2], v[11:12], v[7:8]
	global_store_dwordx4 v[13:14], v[3:6], off
.LBB301_13:
	s_endpgm
	.section	.rodata,"a",@progbits
	.p2align	6, 0x0
	.amdhsa_kernel _ZN9rocsparseL19gebsrmvn_1xn_kernelILj128ELj16ELj32E21rocsparse_complex_numIdEEEvi20rocsparse_direction_NS_24const_host_device_scalarIT2_EEPKiS8_PKS5_SA_S6_PS5_21rocsparse_index_base_b
		.amdhsa_group_segment_fixed_size 0
		.amdhsa_private_segment_fixed_size 0
		.amdhsa_kernarg_size 88
		.amdhsa_user_sgpr_count 6
		.amdhsa_user_sgpr_private_segment_buffer 1
		.amdhsa_user_sgpr_dispatch_ptr 0
		.amdhsa_user_sgpr_queue_ptr 0
		.amdhsa_user_sgpr_kernarg_segment_ptr 1
		.amdhsa_user_sgpr_dispatch_id 0
		.amdhsa_user_sgpr_flat_scratch_init 0
		.amdhsa_user_sgpr_private_segment_size 0
		.amdhsa_wavefront_size32 1
		.amdhsa_uses_dynamic_stack 0
		.amdhsa_system_sgpr_private_segment_wavefront_offset 0
		.amdhsa_system_sgpr_workgroup_id_x 1
		.amdhsa_system_sgpr_workgroup_id_y 0
		.amdhsa_system_sgpr_workgroup_id_z 0
		.amdhsa_system_sgpr_workgroup_info 0
		.amdhsa_system_vgpr_workitem_id 0
		.amdhsa_next_free_vgpr 88
		.amdhsa_next_free_sgpr 13
		.amdhsa_reserve_vcc 1
		.amdhsa_reserve_flat_scratch 0
		.amdhsa_float_round_mode_32 0
		.amdhsa_float_round_mode_16_64 0
		.amdhsa_float_denorm_mode_32 3
		.amdhsa_float_denorm_mode_16_64 3
		.amdhsa_dx10_clamp 1
		.amdhsa_ieee_mode 1
		.amdhsa_fp16_overflow 0
		.amdhsa_workgroup_processor_mode 1
		.amdhsa_memory_ordered 1
		.amdhsa_forward_progress 1
		.amdhsa_shared_vgpr_count 0
		.amdhsa_exception_fp_ieee_invalid_op 0
		.amdhsa_exception_fp_denorm_src 0
		.amdhsa_exception_fp_ieee_div_zero 0
		.amdhsa_exception_fp_ieee_overflow 0
		.amdhsa_exception_fp_ieee_underflow 0
		.amdhsa_exception_fp_ieee_inexact 0
		.amdhsa_exception_int_div_zero 0
	.end_amdhsa_kernel
	.section	.text._ZN9rocsparseL19gebsrmvn_1xn_kernelILj128ELj16ELj32E21rocsparse_complex_numIdEEEvi20rocsparse_direction_NS_24const_host_device_scalarIT2_EEPKiS8_PKS5_SA_S6_PS5_21rocsparse_index_base_b,"axG",@progbits,_ZN9rocsparseL19gebsrmvn_1xn_kernelILj128ELj16ELj32E21rocsparse_complex_numIdEEEvi20rocsparse_direction_NS_24const_host_device_scalarIT2_EEPKiS8_PKS5_SA_S6_PS5_21rocsparse_index_base_b,comdat
.Lfunc_end301:
	.size	_ZN9rocsparseL19gebsrmvn_1xn_kernelILj128ELj16ELj32E21rocsparse_complex_numIdEEEvi20rocsparse_direction_NS_24const_host_device_scalarIT2_EEPKiS8_PKS5_SA_S6_PS5_21rocsparse_index_base_b, .Lfunc_end301-_ZN9rocsparseL19gebsrmvn_1xn_kernelILj128ELj16ELj32E21rocsparse_complex_numIdEEEvi20rocsparse_direction_NS_24const_host_device_scalarIT2_EEPKiS8_PKS5_SA_S6_PS5_21rocsparse_index_base_b
                                        ; -- End function
	.set _ZN9rocsparseL19gebsrmvn_1xn_kernelILj128ELj16ELj32E21rocsparse_complex_numIdEEEvi20rocsparse_direction_NS_24const_host_device_scalarIT2_EEPKiS8_PKS5_SA_S6_PS5_21rocsparse_index_base_b.num_vgpr, 88
	.set _ZN9rocsparseL19gebsrmvn_1xn_kernelILj128ELj16ELj32E21rocsparse_complex_numIdEEEvi20rocsparse_direction_NS_24const_host_device_scalarIT2_EEPKiS8_PKS5_SA_S6_PS5_21rocsparse_index_base_b.num_agpr, 0
	.set _ZN9rocsparseL19gebsrmvn_1xn_kernelILj128ELj16ELj32E21rocsparse_complex_numIdEEEvi20rocsparse_direction_NS_24const_host_device_scalarIT2_EEPKiS8_PKS5_SA_S6_PS5_21rocsparse_index_base_b.numbered_sgpr, 13
	.set _ZN9rocsparseL19gebsrmvn_1xn_kernelILj128ELj16ELj32E21rocsparse_complex_numIdEEEvi20rocsparse_direction_NS_24const_host_device_scalarIT2_EEPKiS8_PKS5_SA_S6_PS5_21rocsparse_index_base_b.num_named_barrier, 0
	.set _ZN9rocsparseL19gebsrmvn_1xn_kernelILj128ELj16ELj32E21rocsparse_complex_numIdEEEvi20rocsparse_direction_NS_24const_host_device_scalarIT2_EEPKiS8_PKS5_SA_S6_PS5_21rocsparse_index_base_b.private_seg_size, 0
	.set _ZN9rocsparseL19gebsrmvn_1xn_kernelILj128ELj16ELj32E21rocsparse_complex_numIdEEEvi20rocsparse_direction_NS_24const_host_device_scalarIT2_EEPKiS8_PKS5_SA_S6_PS5_21rocsparse_index_base_b.uses_vcc, 1
	.set _ZN9rocsparseL19gebsrmvn_1xn_kernelILj128ELj16ELj32E21rocsparse_complex_numIdEEEvi20rocsparse_direction_NS_24const_host_device_scalarIT2_EEPKiS8_PKS5_SA_S6_PS5_21rocsparse_index_base_b.uses_flat_scratch, 0
	.set _ZN9rocsparseL19gebsrmvn_1xn_kernelILj128ELj16ELj32E21rocsparse_complex_numIdEEEvi20rocsparse_direction_NS_24const_host_device_scalarIT2_EEPKiS8_PKS5_SA_S6_PS5_21rocsparse_index_base_b.has_dyn_sized_stack, 0
	.set _ZN9rocsparseL19gebsrmvn_1xn_kernelILj128ELj16ELj32E21rocsparse_complex_numIdEEEvi20rocsparse_direction_NS_24const_host_device_scalarIT2_EEPKiS8_PKS5_SA_S6_PS5_21rocsparse_index_base_b.has_recursion, 0
	.set _ZN9rocsparseL19gebsrmvn_1xn_kernelILj128ELj16ELj32E21rocsparse_complex_numIdEEEvi20rocsparse_direction_NS_24const_host_device_scalarIT2_EEPKiS8_PKS5_SA_S6_PS5_21rocsparse_index_base_b.has_indirect_call, 0
	.section	.AMDGPU.csdata,"",@progbits
; Kernel info:
; codeLenInByte = 1912
; TotalNumSgprs: 15
; NumVgprs: 88
; ScratchSize: 0
; MemoryBound: 1
; FloatMode: 240
; IeeeMode: 1
; LDSByteSize: 0 bytes/workgroup (compile time only)
; SGPRBlocks: 0
; VGPRBlocks: 10
; NumSGPRsForWavesPerEU: 15
; NumVGPRsForWavesPerEU: 88
; Occupancy: 10
; WaveLimiterHint : 1
; COMPUTE_PGM_RSRC2:SCRATCH_EN: 0
; COMPUTE_PGM_RSRC2:USER_SGPR: 6
; COMPUTE_PGM_RSRC2:TRAP_HANDLER: 0
; COMPUTE_PGM_RSRC2:TGID_X_EN: 1
; COMPUTE_PGM_RSRC2:TGID_Y_EN: 0
; COMPUTE_PGM_RSRC2:TGID_Z_EN: 0
; COMPUTE_PGM_RSRC2:TIDIG_COMP_CNT: 0
	.section	.text._ZN9rocsparseL19gebsrmvn_1xn_kernelILj128ELj16ELj64E21rocsparse_complex_numIdEEEvi20rocsparse_direction_NS_24const_host_device_scalarIT2_EEPKiS8_PKS5_SA_S6_PS5_21rocsparse_index_base_b,"axG",@progbits,_ZN9rocsparseL19gebsrmvn_1xn_kernelILj128ELj16ELj64E21rocsparse_complex_numIdEEEvi20rocsparse_direction_NS_24const_host_device_scalarIT2_EEPKiS8_PKS5_SA_S6_PS5_21rocsparse_index_base_b,comdat
	.globl	_ZN9rocsparseL19gebsrmvn_1xn_kernelILj128ELj16ELj64E21rocsparse_complex_numIdEEEvi20rocsparse_direction_NS_24const_host_device_scalarIT2_EEPKiS8_PKS5_SA_S6_PS5_21rocsparse_index_base_b ; -- Begin function _ZN9rocsparseL19gebsrmvn_1xn_kernelILj128ELj16ELj64E21rocsparse_complex_numIdEEEvi20rocsparse_direction_NS_24const_host_device_scalarIT2_EEPKiS8_PKS5_SA_S6_PS5_21rocsparse_index_base_b
	.p2align	8
	.type	_ZN9rocsparseL19gebsrmvn_1xn_kernelILj128ELj16ELj64E21rocsparse_complex_numIdEEEvi20rocsparse_direction_NS_24const_host_device_scalarIT2_EEPKiS8_PKS5_SA_S6_PS5_21rocsparse_index_base_b,@function
_ZN9rocsparseL19gebsrmvn_1xn_kernelILj128ELj16ELj64E21rocsparse_complex_numIdEEEvi20rocsparse_direction_NS_24const_host_device_scalarIT2_EEPKiS8_PKS5_SA_S6_PS5_21rocsparse_index_base_b: ; @_ZN9rocsparseL19gebsrmvn_1xn_kernelILj128ELj16ELj64E21rocsparse_complex_numIdEEEvi20rocsparse_direction_NS_24const_host_device_scalarIT2_EEPKiS8_PKS5_SA_S6_PS5_21rocsparse_index_base_b
; %bb.0:
	s_clause 0x1
	s_load_dwordx2 s[8:9], s[4:5], 0x50
	s_load_dwordx2 s[0:1], s[4:5], 0x8
	s_add_u32 s7, s4, 8
	s_addc_u32 s10, s5, 0
	s_add_u32 s11, s4, 56
	s_addc_u32 s12, s5, 0
	s_load_dwordx2 s[2:3], s[4:5], 0x38
	s_waitcnt lgkmcnt(0)
	s_bitcmp1_b32 s9, 0
	s_cselect_b32 s0, s7, s0
	s_cselect_b32 s1, s10, s1
	v_mov_b32_e32 v1, s0
	v_mov_b32_e32 v2, s1
	s_cselect_b32 s0, s11, s2
	s_cselect_b32 s1, s12, s3
	flat_load_dwordx4 v[5:8], v[1:2]
	v_mov_b32_e32 v1, s0
	v_mov_b32_e32 v2, s1
	flat_load_dwordx4 v[1:4], v[1:2]
	s_waitcnt vmcnt(1) lgkmcnt(1)
	v_cmp_eq_f64_e32 vcc_lo, 0, v[5:6]
	v_cmp_eq_f64_e64 s0, 0, v[7:8]
	s_and_b32 s2, vcc_lo, s0
	s_mov_b32 s0, -1
	s_and_saveexec_b32 s1, s2
	s_cbranch_execz .LBB302_2
; %bb.1:
	s_waitcnt vmcnt(0) lgkmcnt(0)
	v_cmp_neq_f64_e32 vcc_lo, 1.0, v[1:2]
	v_cmp_neq_f64_e64 s0, 0, v[3:4]
	s_or_b32 s0, vcc_lo, s0
	s_orn2_b32 s0, s0, exec_lo
.LBB302_2:
	s_or_b32 exec_lo, exec_lo, s1
	s_and_saveexec_b32 s1, s0
	s_cbranch_execz .LBB302_13
; %bb.3:
	s_load_dword s0, s[4:5], 0x0
	v_lshrrev_b32_e32 v9, 6, v0
	v_lshl_or_b32 v9, s6, 1, v9
	s_waitcnt lgkmcnt(0)
	v_cmp_gt_i32_e32 vcc_lo, s0, v9
	s_and_b32 exec_lo, exec_lo, vcc_lo
	s_cbranch_execz .LBB302_13
; %bb.4:
	s_clause 0x1
	s_load_dwordx2 s[0:1], s[4:5], 0x18
	s_load_dwordx2 s[6:7], s[4:5], 0x48
	v_ashrrev_i32_e32 v10, 31, v9
	v_and_b32_e32 v0, 63, v0
	v_mov_b32_e32 v15, 0
	v_mov_b32_e32 v17, 0
	;; [unrolled: 1-line block ×3, first 2 shown]
	v_lshlrev_b64 v[11:12], 2, v[9:10]
	v_subrev_nc_u32_e32 v13, s8, v0
	v_mov_b32_e32 v18, 0
	s_mov_b32 s9, exec_lo
	s_waitcnt lgkmcnt(0)
	v_add_co_u32 v11, vcc_lo, s0, v11
	v_add_co_ci_u32_e64 v12, null, s1, v12, vcc_lo
	global_load_dwordx2 v[11:12], v[11:12], off
	s_waitcnt vmcnt(0)
	v_subrev_nc_u32_e32 v19, s8, v12
	v_add_nc_u32_e32 v11, v11, v13
	v_cmpx_lt_i32_e64 v11, v19
	s_cbranch_execz .LBB302_8
; %bb.5:
	s_clause 0x1
	s_load_dwordx4 s[0:3], s[4:5], 0x20
	s_load_dwordx2 s[4:5], s[4:5], 0x30
	v_mov_b32_e32 v15, 0
	v_mov_b32_e32 v17, 0
	v_lshlrev_b32_e32 v13, 4, v11
	v_mov_b32_e32 v16, 0
	v_mov_b32_e32 v18, 0
	;; [unrolled: 1-line block ×3, first 2 shown]
	s_mov_b32 s10, 0
.LBB302_6:                              ; =>This Inner Loop Header: Depth=1
	v_ashrrev_i32_e32 v12, 31, v11
	v_mov_b32_e32 v29, v14
	v_lshlrev_b64 v[20:21], 2, v[11:12]
	v_add_nc_u32_e32 v11, 64, v11
	s_waitcnt lgkmcnt(0)
	v_add_co_u32 v20, vcc_lo, s0, v20
	v_add_co_ci_u32_e64 v21, null, s1, v21, vcc_lo
	global_load_dword v12, v[20:21], off
	v_lshlrev_b64 v[20:21], 4, v[13:14]
	v_add_nc_u32_e32 v13, 0x400, v13
	v_add_co_u32 v80, vcc_lo, s2, v20
	v_add_co_ci_u32_e64 v81, null, s3, v21, vcc_lo
	s_clause 0x1
	global_load_dwordx4 v[20:23], v[80:81], off offset:16
	global_load_dwordx4 v[24:27], v[80:81], off
	s_waitcnt vmcnt(2)
	v_subrev_nc_u32_e32 v12, s8, v12
	v_lshlrev_b32_e32 v28, 4, v12
	v_lshlrev_b64 v[28:29], 4, v[28:29]
	v_add_co_u32 v82, vcc_lo, s4, v28
	v_add_co_ci_u32_e64 v83, null, s5, v29, vcc_lo
	v_cmp_ge_i32_e32 vcc_lo, v11, v19
	s_clause 0x1
	global_load_dwordx4 v[28:31], v[82:83], off
	global_load_dwordx4 v[32:35], v[82:83], off offset:16
	s_clause 0x1
	global_load_dwordx4 v[36:39], v[80:81], off offset:48
	global_load_dwordx4 v[40:43], v[80:81], off offset:32
	s_clause 0x1
	global_load_dwordx4 v[44:47], v[82:83], off offset:32
	;; [unrolled: 3-line block ×5, first 2 shown]
	global_load_dwordx4 v[72:75], v[80:81], off offset:96
	global_load_dwordx4 v[76:79], v[82:83], off offset:96
	s_or_b32 s10, vcc_lo, s10
	s_waitcnt vmcnt(12)
	v_fma_f64 v[17:18], v[24:25], v[28:29], v[17:18]
	v_fma_f64 v[15:16], v[26:27], v[28:29], v[15:16]
	v_fma_f64 v[28:29], -v[26:27], v[30:31], v[17:18]
	v_fma_f64 v[30:31], v[24:25], v[30:31], v[15:16]
	global_load_dwordx4 v[15:18], v[82:83], off offset:112
	global_load_dwordx4 v[24:27], v[80:81], off offset:144
	s_waitcnt vmcnt(13)
	v_fma_f64 v[28:29], v[20:21], v[32:33], v[28:29]
	v_fma_f64 v[30:31], v[22:23], v[32:33], v[30:31]
	v_fma_f64 v[32:33], -v[22:23], v[34:35], v[28:29]
	v_fma_f64 v[34:35], v[20:21], v[34:35], v[30:31]
	global_load_dwordx4 v[20:23], v[80:81], off offset:128
	global_load_dwordx4 v[28:31], v[82:83], off offset:128
	;; [unrolled: 7-line block ×8, first 2 shown]
	global_load_dwordx4 v[76:79], v[82:83], off offset:240
	s_waitcnt vmcnt(13)
	v_fma_f64 v[80:81], v[20:21], v[28:29], v[84:85]
	v_fma_f64 v[28:29], v[22:23], v[28:29], v[86:87]
	v_fma_f64 v[22:23], -v[22:23], v[30:31], v[80:81]
	v_fma_f64 v[20:21], v[20:21], v[30:31], v[28:29]
	s_waitcnt vmcnt(12)
	v_fma_f64 v[22:23], v[24:25], v[32:33], v[22:23]
	v_fma_f64 v[20:21], v[26:27], v[32:33], v[20:21]
	v_fma_f64 v[22:23], -v[26:27], v[34:35], v[22:23]
	v_fma_f64 v[20:21], v[24:25], v[34:35], v[20:21]
	;; [unrolled: 5-line block ×8, first 2 shown]
	s_andn2_b32 exec_lo, exec_lo, s10
	s_cbranch_execnz .LBB302_6
; %bb.7:
	s_or_b32 exec_lo, exec_lo, s10
.LBB302_8:
	s_or_b32 exec_lo, exec_lo, s9
	v_mbcnt_lo_u32_b32 v19, -1, 0
	v_or_b32_e32 v11, 32, v19
	v_cmp_gt_i32_e32 vcc_lo, 32, v11
	v_cndmask_b32_e32 v11, v19, v11, vcc_lo
	v_lshlrev_b32_e32 v14, 2, v11
	ds_bpermute_b32 v11, v14, v17
	ds_bpermute_b32 v12, v14, v18
	;; [unrolled: 1-line block ×4, first 2 shown]
	s_waitcnt lgkmcnt(2)
	v_add_f64 v[11:12], v[17:18], v[11:12]
	s_waitcnt lgkmcnt(0)
	v_add_f64 v[13:14], v[15:16], v[13:14]
	v_xor_b32_e32 v15, 16, v19
	v_cmp_gt_i32_e32 vcc_lo, 32, v15
	v_cndmask_b32_e32 v15, v19, v15, vcc_lo
	v_lshlrev_b32_e32 v18, 2, v15
	ds_bpermute_b32 v15, v18, v11
	ds_bpermute_b32 v16, v18, v12
	ds_bpermute_b32 v17, v18, v13
	ds_bpermute_b32 v18, v18, v14
	s_waitcnt lgkmcnt(2)
	v_add_f64 v[11:12], v[11:12], v[15:16]
	v_xor_b32_e32 v15, 8, v19
	s_waitcnt lgkmcnt(0)
	v_add_f64 v[13:14], v[13:14], v[17:18]
	v_cmp_gt_i32_e32 vcc_lo, 32, v15
	v_cndmask_b32_e32 v15, v19, v15, vcc_lo
	v_lshlrev_b32_e32 v18, 2, v15
	ds_bpermute_b32 v15, v18, v11
	ds_bpermute_b32 v16, v18, v12
	ds_bpermute_b32 v17, v18, v13
	ds_bpermute_b32 v18, v18, v14
	s_waitcnt lgkmcnt(2)
	v_add_f64 v[11:12], v[11:12], v[15:16]
	v_xor_b32_e32 v15, 4, v19
	s_waitcnt lgkmcnt(0)
	v_add_f64 v[13:14], v[13:14], v[17:18]
	;; [unrolled: 12-line block ×4, first 2 shown]
	v_cmp_gt_i32_e32 vcc_lo, 32, v15
	v_cndmask_b32_e32 v15, v19, v15, vcc_lo
	v_cmp_eq_u32_e32 vcc_lo, 63, v0
	v_lshlrev_b32_e32 v18, 2, v15
	ds_bpermute_b32 v15, v18, v11
	ds_bpermute_b32 v16, v18, v12
	;; [unrolled: 1-line block ×4, first 2 shown]
	s_and_b32 exec_lo, exec_lo, vcc_lo
	s_cbranch_execz .LBB302_13
; %bb.9:
	s_waitcnt lgkmcnt(0)
	v_add_f64 v[13:14], v[13:14], v[17:18]
	v_add_f64 v[11:12], v[11:12], v[15:16]
	v_cmp_eq_f64_e32 vcc_lo, 0, v[1:2]
	v_cmp_eq_f64_e64 s0, 0, v[3:4]
	v_lshlrev_b64 v[9:10], 4, v[9:10]
	v_mul_f64 v[15:16], v[13:14], -v[7:8]
	v_mul_f64 v[13:14], v[5:6], v[13:14]
	s_and_b32 s0, vcc_lo, s0
	v_fma_f64 v[5:6], v[5:6], v[11:12], v[15:16]
	v_fma_f64 v[7:8], v[7:8], v[11:12], v[13:14]
	s_and_saveexec_b32 s1, s0
	s_xor_b32 s0, exec_lo, s1
	s_cbranch_execz .LBB302_11
; %bb.10:
	v_add_co_u32 v0, vcc_lo, s6, v9
	v_add_co_ci_u32_e64 v1, null, s7, v10, vcc_lo
                                        ; implicit-def: $vgpr9_vgpr10
	global_store_dwordx4 v[0:1], v[5:8], off
                                        ; implicit-def: $vgpr1_vgpr2
                                        ; implicit-def: $vgpr5_vgpr6
.LBB302_11:
	s_andn2_saveexec_b32 s0, s0
	s_cbranch_execz .LBB302_13
; %bb.12:
	v_add_co_u32 v13, vcc_lo, s6, v9
	v_add_co_ci_u32_e64 v14, null, s7, v10, vcc_lo
	global_load_dwordx4 v[9:12], v[13:14], off
	s_waitcnt vmcnt(0)
	v_fma_f64 v[5:6], v[1:2], v[9:10], v[5:6]
	v_fma_f64 v[7:8], v[3:4], v[9:10], v[7:8]
	v_fma_f64 v[3:4], -v[3:4], v[11:12], v[5:6]
	v_fma_f64 v[5:6], v[1:2], v[11:12], v[7:8]
	global_store_dwordx4 v[13:14], v[3:6], off
.LBB302_13:
	s_endpgm
	.section	.rodata,"a",@progbits
	.p2align	6, 0x0
	.amdhsa_kernel _ZN9rocsparseL19gebsrmvn_1xn_kernelILj128ELj16ELj64E21rocsparse_complex_numIdEEEvi20rocsparse_direction_NS_24const_host_device_scalarIT2_EEPKiS8_PKS5_SA_S6_PS5_21rocsparse_index_base_b
		.amdhsa_group_segment_fixed_size 0
		.amdhsa_private_segment_fixed_size 0
		.amdhsa_kernarg_size 88
		.amdhsa_user_sgpr_count 6
		.amdhsa_user_sgpr_private_segment_buffer 1
		.amdhsa_user_sgpr_dispatch_ptr 0
		.amdhsa_user_sgpr_queue_ptr 0
		.amdhsa_user_sgpr_kernarg_segment_ptr 1
		.amdhsa_user_sgpr_dispatch_id 0
		.amdhsa_user_sgpr_flat_scratch_init 0
		.amdhsa_user_sgpr_private_segment_size 0
		.amdhsa_wavefront_size32 1
		.amdhsa_uses_dynamic_stack 0
		.amdhsa_system_sgpr_private_segment_wavefront_offset 0
		.amdhsa_system_sgpr_workgroup_id_x 1
		.amdhsa_system_sgpr_workgroup_id_y 0
		.amdhsa_system_sgpr_workgroup_id_z 0
		.amdhsa_system_sgpr_workgroup_info 0
		.amdhsa_system_vgpr_workitem_id 0
		.amdhsa_next_free_vgpr 88
		.amdhsa_next_free_sgpr 13
		.amdhsa_reserve_vcc 1
		.amdhsa_reserve_flat_scratch 0
		.amdhsa_float_round_mode_32 0
		.amdhsa_float_round_mode_16_64 0
		.amdhsa_float_denorm_mode_32 3
		.amdhsa_float_denorm_mode_16_64 3
		.amdhsa_dx10_clamp 1
		.amdhsa_ieee_mode 1
		.amdhsa_fp16_overflow 0
		.amdhsa_workgroup_processor_mode 1
		.amdhsa_memory_ordered 1
		.amdhsa_forward_progress 1
		.amdhsa_shared_vgpr_count 0
		.amdhsa_exception_fp_ieee_invalid_op 0
		.amdhsa_exception_fp_denorm_src 0
		.amdhsa_exception_fp_ieee_div_zero 0
		.amdhsa_exception_fp_ieee_overflow 0
		.amdhsa_exception_fp_ieee_underflow 0
		.amdhsa_exception_fp_ieee_inexact 0
		.amdhsa_exception_int_div_zero 0
	.end_amdhsa_kernel
	.section	.text._ZN9rocsparseL19gebsrmvn_1xn_kernelILj128ELj16ELj64E21rocsparse_complex_numIdEEEvi20rocsparse_direction_NS_24const_host_device_scalarIT2_EEPKiS8_PKS5_SA_S6_PS5_21rocsparse_index_base_b,"axG",@progbits,_ZN9rocsparseL19gebsrmvn_1xn_kernelILj128ELj16ELj64E21rocsparse_complex_numIdEEEvi20rocsparse_direction_NS_24const_host_device_scalarIT2_EEPKiS8_PKS5_SA_S6_PS5_21rocsparse_index_base_b,comdat
.Lfunc_end302:
	.size	_ZN9rocsparseL19gebsrmvn_1xn_kernelILj128ELj16ELj64E21rocsparse_complex_numIdEEEvi20rocsparse_direction_NS_24const_host_device_scalarIT2_EEPKiS8_PKS5_SA_S6_PS5_21rocsparse_index_base_b, .Lfunc_end302-_ZN9rocsparseL19gebsrmvn_1xn_kernelILj128ELj16ELj64E21rocsparse_complex_numIdEEEvi20rocsparse_direction_NS_24const_host_device_scalarIT2_EEPKiS8_PKS5_SA_S6_PS5_21rocsparse_index_base_b
                                        ; -- End function
	.set _ZN9rocsparseL19gebsrmvn_1xn_kernelILj128ELj16ELj64E21rocsparse_complex_numIdEEEvi20rocsparse_direction_NS_24const_host_device_scalarIT2_EEPKiS8_PKS5_SA_S6_PS5_21rocsparse_index_base_b.num_vgpr, 88
	.set _ZN9rocsparseL19gebsrmvn_1xn_kernelILj128ELj16ELj64E21rocsparse_complex_numIdEEEvi20rocsparse_direction_NS_24const_host_device_scalarIT2_EEPKiS8_PKS5_SA_S6_PS5_21rocsparse_index_base_b.num_agpr, 0
	.set _ZN9rocsparseL19gebsrmvn_1xn_kernelILj128ELj16ELj64E21rocsparse_complex_numIdEEEvi20rocsparse_direction_NS_24const_host_device_scalarIT2_EEPKiS8_PKS5_SA_S6_PS5_21rocsparse_index_base_b.numbered_sgpr, 13
	.set _ZN9rocsparseL19gebsrmvn_1xn_kernelILj128ELj16ELj64E21rocsparse_complex_numIdEEEvi20rocsparse_direction_NS_24const_host_device_scalarIT2_EEPKiS8_PKS5_SA_S6_PS5_21rocsparse_index_base_b.num_named_barrier, 0
	.set _ZN9rocsparseL19gebsrmvn_1xn_kernelILj128ELj16ELj64E21rocsparse_complex_numIdEEEvi20rocsparse_direction_NS_24const_host_device_scalarIT2_EEPKiS8_PKS5_SA_S6_PS5_21rocsparse_index_base_b.private_seg_size, 0
	.set _ZN9rocsparseL19gebsrmvn_1xn_kernelILj128ELj16ELj64E21rocsparse_complex_numIdEEEvi20rocsparse_direction_NS_24const_host_device_scalarIT2_EEPKiS8_PKS5_SA_S6_PS5_21rocsparse_index_base_b.uses_vcc, 1
	.set _ZN9rocsparseL19gebsrmvn_1xn_kernelILj128ELj16ELj64E21rocsparse_complex_numIdEEEvi20rocsparse_direction_NS_24const_host_device_scalarIT2_EEPKiS8_PKS5_SA_S6_PS5_21rocsparse_index_base_b.uses_flat_scratch, 0
	.set _ZN9rocsparseL19gebsrmvn_1xn_kernelILj128ELj16ELj64E21rocsparse_complex_numIdEEEvi20rocsparse_direction_NS_24const_host_device_scalarIT2_EEPKiS8_PKS5_SA_S6_PS5_21rocsparse_index_base_b.has_dyn_sized_stack, 0
	.set _ZN9rocsparseL19gebsrmvn_1xn_kernelILj128ELj16ELj64E21rocsparse_complex_numIdEEEvi20rocsparse_direction_NS_24const_host_device_scalarIT2_EEPKiS8_PKS5_SA_S6_PS5_21rocsparse_index_base_b.has_recursion, 0
	.set _ZN9rocsparseL19gebsrmvn_1xn_kernelILj128ELj16ELj64E21rocsparse_complex_numIdEEEvi20rocsparse_direction_NS_24const_host_device_scalarIT2_EEPKiS8_PKS5_SA_S6_PS5_21rocsparse_index_base_b.has_indirect_call, 0
	.section	.AMDGPU.csdata,"",@progbits
; Kernel info:
; codeLenInByte = 1984
; TotalNumSgprs: 15
; NumVgprs: 88
; ScratchSize: 0
; MemoryBound: 1
; FloatMode: 240
; IeeeMode: 1
; LDSByteSize: 0 bytes/workgroup (compile time only)
; SGPRBlocks: 0
; VGPRBlocks: 10
; NumSGPRsForWavesPerEU: 15
; NumVGPRsForWavesPerEU: 88
; Occupancy: 10
; WaveLimiterHint : 1
; COMPUTE_PGM_RSRC2:SCRATCH_EN: 0
; COMPUTE_PGM_RSRC2:USER_SGPR: 6
; COMPUTE_PGM_RSRC2:TRAP_HANDLER: 0
; COMPUTE_PGM_RSRC2:TGID_X_EN: 1
; COMPUTE_PGM_RSRC2:TGID_Y_EN: 0
; COMPUTE_PGM_RSRC2:TGID_Z_EN: 0
; COMPUTE_PGM_RSRC2:TIDIG_COMP_CNT: 0
	.section	.text._ZN9rocsparseL23gebsrmvn_general_kernelILj32ELj32E21rocsparse_complex_numIdEEEvi20rocsparse_direction_NS_24const_host_device_scalarIT1_EEPKiS8_PKS5_iiSA_S6_PS5_21rocsparse_index_base_b,"axG",@progbits,_ZN9rocsparseL23gebsrmvn_general_kernelILj32ELj32E21rocsparse_complex_numIdEEEvi20rocsparse_direction_NS_24const_host_device_scalarIT1_EEPKiS8_PKS5_iiSA_S6_PS5_21rocsparse_index_base_b,comdat
	.globl	_ZN9rocsparseL23gebsrmvn_general_kernelILj32ELj32E21rocsparse_complex_numIdEEEvi20rocsparse_direction_NS_24const_host_device_scalarIT1_EEPKiS8_PKS5_iiSA_S6_PS5_21rocsparse_index_base_b ; -- Begin function _ZN9rocsparseL23gebsrmvn_general_kernelILj32ELj32E21rocsparse_complex_numIdEEEvi20rocsparse_direction_NS_24const_host_device_scalarIT1_EEPKiS8_PKS5_iiSA_S6_PS5_21rocsparse_index_base_b
	.p2align	8
	.type	_ZN9rocsparseL23gebsrmvn_general_kernelILj32ELj32E21rocsparse_complex_numIdEEEvi20rocsparse_direction_NS_24const_host_device_scalarIT1_EEPKiS8_PKS5_iiSA_S6_PS5_21rocsparse_index_base_b,@function
_ZN9rocsparseL23gebsrmvn_general_kernelILj32ELj32E21rocsparse_complex_numIdEEEvi20rocsparse_direction_NS_24const_host_device_scalarIT1_EEPKiS8_PKS5_iiSA_S6_PS5_21rocsparse_index_base_b: ; @_ZN9rocsparseL23gebsrmvn_general_kernelILj32ELj32E21rocsparse_complex_numIdEEEvi20rocsparse_direction_NS_24const_host_device_scalarIT1_EEPKiS8_PKS5_iiSA_S6_PS5_21rocsparse_index_base_b
; %bb.0:
	s_clause 0x1
	s_load_dwordx2 s[12:13], s[4:5], 0x58
	s_load_dwordx2 s[0:1], s[4:5], 0x8
	s_add_u32 s7, s4, 8
	s_addc_u32 s8, s5, 0
	s_add_u32 s9, s4, 64
	s_addc_u32 s10, s5, 0
	s_load_dwordx2 s[2:3], s[4:5], 0x40
	s_waitcnt lgkmcnt(0)
	s_bitcmp1_b32 s13, 0
	s_cselect_b32 s0, s7, s0
	s_cselect_b32 s1, s8, s1
	v_mov_b32_e32 v1, s0
	v_mov_b32_e32 v2, s1
	s_cselect_b32 s0, s9, s2
	s_cselect_b32 s1, s10, s3
	v_mov_b32_e32 v5, s0
	v_mov_b32_e32 v6, s1
	flat_load_dwordx4 v[1:4], v[1:2]
	flat_load_dwordx4 v[5:8], v[5:6]
	s_waitcnt vmcnt(1) lgkmcnt(1)
	v_cmp_eq_f64_e32 vcc_lo, 0, v[1:2]
	v_cmp_eq_f64_e64 s0, 0, v[3:4]
	s_and_b32 s2, vcc_lo, s0
	s_mov_b32 s0, -1
	s_and_saveexec_b32 s1, s2
	s_cbranch_execz .LBB303_2
; %bb.1:
	s_waitcnt vmcnt(0) lgkmcnt(0)
	v_cmp_neq_f64_e32 vcc_lo, 1.0, v[5:6]
	v_cmp_neq_f64_e64 s0, 0, v[7:8]
	s_or_b32 s0, vcc_lo, s0
	s_orn2_b32 s0, s0, exec_lo
.LBB303_2:
	s_or_b32 exec_lo, exec_lo, s1
	s_and_saveexec_b32 s1, s0
	s_cbranch_execz .LBB303_22
; %bb.3:
	s_load_dwordx2 s[14:15], s[4:5], 0x30
	s_mov_b32 s13, 0
	s_waitcnt lgkmcnt(0)
	s_cmp_gt_i32 s14, 0
	s_cselect_b32 s0, -1, 0
	s_and_b32 exec_lo, exec_lo, s0
	s_cbranch_execz .LBB303_22
; %bb.4:
	s_clause 0x3
	s_load_dwordx4 s[8:11], s[4:5], 0x18
	s_load_dwordx2 s[16:17], s[4:5], 0x50
	s_load_dwordx2 s[18:19], s[4:5], 0x28
	;; [unrolled: 1-line block ×3, first 2 shown]
	v_mbcnt_lo_u32_b32 v9, -1, 0
	s_ashr_i32 s7, s6, 31
	s_load_dword s22, s[4:5], 0x4
	s_lshl_b64 s[4:5], s[6:7], 2
	s_waitcnt vmcnt(0)
	v_cmp_eq_f64_e32 vcc_lo, 0, v[5:6]
	v_xor_b32_e32 v10, 16, v9
	v_xor_b32_e32 v11, 8, v9
	;; [unrolled: 1-line block ×4, first 2 shown]
	v_cmp_eq_f64_e64 s2, 0, v[7:8]
	v_cmp_gt_i32_e64 s3, 32, v10
	v_xor_b32_e32 v15, 1, v9
	v_mov_b32_e32 v13, 0
	v_cmp_gt_i32_e64 s0, s15, v0
	v_cmp_eq_u32_e64 s1, 31, v0
	v_cndmask_b32_e64 v10, v9, v10, s3
	s_waitcnt lgkmcnt(0)
	s_add_u32 s4, s8, s4
	s_addc_u32 s5, s9, s5
	v_cmp_gt_i32_e64 s3, 32, v11
	s_load_dwordx2 s[8:9], s[4:5], 0x0
	v_lshlrev_b32_e32 v18, 2, v10
	s_mul_i32 s6, s14, s6
	v_cndmask_b32_e64 v11, v9, v11, s3
	v_cmp_gt_i32_e64 s3, 32, v12
	v_lshlrev_b32_e32 v19, 2, v11
	v_cndmask_b32_e64 v12, v9, v12, s3
	v_cmp_gt_i32_e64 s3, 32, v14
	v_lshlrev_b32_e32 v20, 2, v12
	v_cndmask_b32_e64 v14, v9, v14, s3
	v_cmp_gt_i32_e64 s3, 32, v15
	s_waitcnt lgkmcnt(0)
	s_sub_i32 s4, s8, s12
	s_sub_i32 s5, s9, s12
	v_cndmask_b32_e64 v9, v9, v15, s3
	s_mul_i32 s3, s14, s4
	s_cmp_lt_i32 s8, s9
	s_mul_i32 s3, s15, s3
	v_lshlrev_b32_e32 v21, 2, v14
	v_lshlrev_b32_e32 v22, 2, v9
	v_mov_b32_e32 v23, s3
	s_cselect_b32 s7, -1, 0
	s_cmp_lg_u32 s22, 0
	s_mul_i32 s22, s15, s14
	s_cselect_b32 s8, -1, 0
	s_and_b32 s9, vcc_lo, s2
	s_branch .LBB303_6
.LBB303_5:                              ;   in Loop: Header=BB303_6 Depth=1
	s_or_b32 exec_lo, exec_lo, s2
	v_add_nc_u32_e32 v13, 1, v13
	v_add_nc_u32_e32 v23, s15, v23
	v_cmp_le_i32_e32 vcc_lo, s14, v13
	s_or_b32 s13, vcc_lo, s13
	s_andn2_b32 exec_lo, exec_lo, s13
	s_cbranch_execz .LBB303_22
.LBB303_6:                              ; =>This Loop Header: Depth=1
                                        ;     Child Loop BB303_10 Depth 2
                                        ;       Child Loop BB303_13 Depth 3
	v_mov_b32_e32 v9, 0
	v_mov_b32_e32 v11, 0
	;; [unrolled: 1-line block ×4, first 2 shown]
	s_andn2_b32 vcc_lo, exec_lo, s7
	s_cbranch_vccnz .LBB303_17
; %bb.7:                                ;   in Loop: Header=BB303_6 Depth=1
	v_mov_b32_e32 v9, 0
	v_mov_b32_e32 v11, 0
	;; [unrolled: 1-line block ×4, first 2 shown]
	s_waitcnt lgkmcnt(1)
	v_mov_b32_e32 v16, v23
	s_mov_b32 s2, s4
	s_branch .LBB303_10
.LBB303_8:                              ;   in Loop: Header=BB303_10 Depth=2
	s_inst_prefetch 0x2
	s_or_b32 exec_lo, exec_lo, s24
.LBB303_9:                              ;   in Loop: Header=BB303_10 Depth=2
	s_or_b32 exec_lo, exec_lo, s23
	v_add_nc_u32_e32 v16, s22, v16
	s_add_i32 s2, s2, 1
	s_cmp_ge_i32 s2, s5
	s_cbranch_scc1 .LBB303_17
.LBB303_10:                             ;   Parent Loop BB303_6 Depth=1
                                        ; =>  This Loop Header: Depth=2
                                        ;       Child Loop BB303_13 Depth 3
	s_and_saveexec_b32 s23, s0
	s_cbranch_execz .LBB303_9
; %bb.11:                               ;   in Loop: Header=BB303_10 Depth=2
	s_ashr_i32 s3, s2, 31
	s_waitcnt lgkmcnt(0)
	v_mov_b32_e32 v17, v0
	s_lshl_b64 s[24:25], s[2:3], 2
	s_add_u32 s24, s10, s24
	s_addc_u32 s25, s11, s25
	s_load_dword s3, s[24:25], 0x0
	s_mov_b32 s24, 0
	s_waitcnt lgkmcnt(0)
	s_sub_i32 s25, s3, s12
	s_mul_i32 s3, s2, s15
	s_mul_i32 s25, s25, s15
	s_inst_prefetch 0x1
	s_branch .LBB303_13
	.p2align	6
.LBB303_12:                             ;   in Loop: Header=BB303_13 Depth=3
	v_add_nc_u32_e32 v24, s25, v17
	v_ashrrev_i32_e32 v15, 31, v14
	v_add_nc_u32_e32 v17, 32, v17
	v_ashrrev_i32_e32 v25, 31, v24
	v_lshlrev_b64 v[14:15], 4, v[14:15]
	v_lshlrev_b64 v[24:25], 4, v[24:25]
	v_add_co_u32 v14, vcc_lo, s18, v14
	v_add_co_ci_u32_e64 v15, null, s19, v15, vcc_lo
	v_add_co_u32 v28, vcc_lo, s20, v24
	v_add_co_ci_u32_e64 v29, null, s21, v25, vcc_lo
	v_cmp_le_i32_e32 vcc_lo, s15, v17
	global_load_dwordx4 v[24:27], v[14:15], off
	global_load_dwordx4 v[28:31], v[28:29], off
	s_or_b32 s24, vcc_lo, s24
	s_waitcnt vmcnt(0)
	v_fma_f64 v[11:12], v[24:25], v[28:29], v[11:12]
	v_fma_f64 v[9:10], v[26:27], v[28:29], v[9:10]
	v_fma_f64 v[11:12], -v[26:27], v[30:31], v[11:12]
	v_fma_f64 v[9:10], v[24:25], v[30:31], v[9:10]
	s_andn2_b32 exec_lo, exec_lo, s24
	s_cbranch_execz .LBB303_8
.LBB303_13:                             ;   Parent Loop BB303_6 Depth=1
                                        ;     Parent Loop BB303_10 Depth=2
                                        ; =>    This Inner Loop Header: Depth=3
	s_and_b32 vcc_lo, exec_lo, s8
	s_cbranch_vccz .LBB303_15
; %bb.14:                               ;   in Loop: Header=BB303_13 Depth=3
	v_add_nc_u32_e32 v14, s3, v17
	v_mad_u64_u32 v[14:15], null, v14, s14, v[13:14]
	s_cbranch_execnz .LBB303_12
	s_branch .LBB303_16
.LBB303_15:                             ;   in Loop: Header=BB303_13 Depth=3
                                        ; implicit-def: $vgpr14
.LBB303_16:                             ;   in Loop: Header=BB303_13 Depth=3
	v_add_nc_u32_e32 v14, v16, v17
	s_branch .LBB303_12
.LBB303_17:                             ;   in Loop: Header=BB303_6 Depth=1
	s_waitcnt lgkmcnt(3)
	ds_bpermute_b32 v14, v18, v11
	s_waitcnt lgkmcnt(3)
	ds_bpermute_b32 v15, v18, v12
	s_waitcnt lgkmcnt(3)
	ds_bpermute_b32 v16, v18, v9
	s_waitcnt lgkmcnt(3)
	ds_bpermute_b32 v17, v18, v10
	s_waitcnt lgkmcnt(2)
	v_add_f64 v[11:12], v[11:12], v[14:15]
	s_waitcnt lgkmcnt(0)
	v_add_f64 v[9:10], v[9:10], v[16:17]
	ds_bpermute_b32 v14, v19, v11
	ds_bpermute_b32 v15, v19, v12
	ds_bpermute_b32 v16, v19, v9
	ds_bpermute_b32 v17, v19, v10
	s_waitcnt lgkmcnt(2)
	v_add_f64 v[11:12], v[11:12], v[14:15]
	s_waitcnt lgkmcnt(0)
	v_add_f64 v[9:10], v[9:10], v[16:17]
	ds_bpermute_b32 v14, v20, v11
	ds_bpermute_b32 v15, v20, v12
	ds_bpermute_b32 v16, v20, v9
	ds_bpermute_b32 v17, v20, v10
	;; [unrolled: 8-line block ×4, first 2 shown]
	s_and_saveexec_b32 s2, s1
	s_cbranch_execz .LBB303_5
; %bb.18:                               ;   in Loop: Header=BB303_6 Depth=1
	s_waitcnt lgkmcnt(0)
	v_add_f64 v[11:12], v[11:12], v[16:17]
	v_add_f64 v[14:15], v[9:10], v[14:15]
	v_mul_f64 v[9:10], v[11:12], -v[3:4]
	v_mul_f64 v[11:12], v[1:2], v[11:12]
	v_fma_f64 v[9:10], v[1:2], v[14:15], v[9:10]
	v_fma_f64 v[11:12], v[3:4], v[14:15], v[11:12]
	v_add_nc_u32_e32 v14, s6, v13
	v_ashrrev_i32_e32 v15, 31, v14
	s_and_saveexec_b32 s3, s9
	s_xor_b32 s3, exec_lo, s3
	s_cbranch_execz .LBB303_20
; %bb.19:                               ;   in Loop: Header=BB303_6 Depth=1
	v_lshlrev_b64 v[14:15], 4, v[14:15]
	v_add_co_u32 v14, vcc_lo, s16, v14
	v_add_co_ci_u32_e64 v15, null, s17, v15, vcc_lo
	global_store_dwordx4 v[14:15], v[9:12], off
                                        ; implicit-def: $vgpr14
                                        ; implicit-def: $vgpr9_vgpr10
.LBB303_20:                             ;   in Loop: Header=BB303_6 Depth=1
	s_andn2_saveexec_b32 s3, s3
	s_cbranch_execz .LBB303_5
; %bb.21:                               ;   in Loop: Header=BB303_6 Depth=1
	v_lshlrev_b64 v[14:15], 4, v[14:15]
	v_add_co_u32 v24, vcc_lo, s16, v14
	v_add_co_ci_u32_e64 v25, null, s17, v15, vcc_lo
	global_load_dwordx4 v[14:17], v[24:25], off
	s_waitcnt vmcnt(0)
	v_fma_f64 v[9:10], v[5:6], v[14:15], v[9:10]
	v_fma_f64 v[11:12], v[7:8], v[14:15], v[11:12]
	v_fma_f64 v[9:10], -v[7:8], v[16:17], v[9:10]
	v_fma_f64 v[11:12], v[5:6], v[16:17], v[11:12]
	global_store_dwordx4 v[24:25], v[9:12], off
	s_branch .LBB303_5
.LBB303_22:
	s_endpgm
	.section	.rodata,"a",@progbits
	.p2align	6, 0x0
	.amdhsa_kernel _ZN9rocsparseL23gebsrmvn_general_kernelILj32ELj32E21rocsparse_complex_numIdEEEvi20rocsparse_direction_NS_24const_host_device_scalarIT1_EEPKiS8_PKS5_iiSA_S6_PS5_21rocsparse_index_base_b
		.amdhsa_group_segment_fixed_size 0
		.amdhsa_private_segment_fixed_size 0
		.amdhsa_kernarg_size 96
		.amdhsa_user_sgpr_count 6
		.amdhsa_user_sgpr_private_segment_buffer 1
		.amdhsa_user_sgpr_dispatch_ptr 0
		.amdhsa_user_sgpr_queue_ptr 0
		.amdhsa_user_sgpr_kernarg_segment_ptr 1
		.amdhsa_user_sgpr_dispatch_id 0
		.amdhsa_user_sgpr_flat_scratch_init 0
		.amdhsa_user_sgpr_private_segment_size 0
		.amdhsa_wavefront_size32 1
		.amdhsa_uses_dynamic_stack 0
		.amdhsa_system_sgpr_private_segment_wavefront_offset 0
		.amdhsa_system_sgpr_workgroup_id_x 1
		.amdhsa_system_sgpr_workgroup_id_y 0
		.amdhsa_system_sgpr_workgroup_id_z 0
		.amdhsa_system_sgpr_workgroup_info 0
		.amdhsa_system_vgpr_workitem_id 0
		.amdhsa_next_free_vgpr 32
		.amdhsa_next_free_sgpr 26
		.amdhsa_reserve_vcc 1
		.amdhsa_reserve_flat_scratch 0
		.amdhsa_float_round_mode_32 0
		.amdhsa_float_round_mode_16_64 0
		.amdhsa_float_denorm_mode_32 3
		.amdhsa_float_denorm_mode_16_64 3
		.amdhsa_dx10_clamp 1
		.amdhsa_ieee_mode 1
		.amdhsa_fp16_overflow 0
		.amdhsa_workgroup_processor_mode 1
		.amdhsa_memory_ordered 1
		.amdhsa_forward_progress 1
		.amdhsa_shared_vgpr_count 0
		.amdhsa_exception_fp_ieee_invalid_op 0
		.amdhsa_exception_fp_denorm_src 0
		.amdhsa_exception_fp_ieee_div_zero 0
		.amdhsa_exception_fp_ieee_overflow 0
		.amdhsa_exception_fp_ieee_underflow 0
		.amdhsa_exception_fp_ieee_inexact 0
		.amdhsa_exception_int_div_zero 0
	.end_amdhsa_kernel
	.section	.text._ZN9rocsparseL23gebsrmvn_general_kernelILj32ELj32E21rocsparse_complex_numIdEEEvi20rocsparse_direction_NS_24const_host_device_scalarIT1_EEPKiS8_PKS5_iiSA_S6_PS5_21rocsparse_index_base_b,"axG",@progbits,_ZN9rocsparseL23gebsrmvn_general_kernelILj32ELj32E21rocsparse_complex_numIdEEEvi20rocsparse_direction_NS_24const_host_device_scalarIT1_EEPKiS8_PKS5_iiSA_S6_PS5_21rocsparse_index_base_b,comdat
.Lfunc_end303:
	.size	_ZN9rocsparseL23gebsrmvn_general_kernelILj32ELj32E21rocsparse_complex_numIdEEEvi20rocsparse_direction_NS_24const_host_device_scalarIT1_EEPKiS8_PKS5_iiSA_S6_PS5_21rocsparse_index_base_b, .Lfunc_end303-_ZN9rocsparseL23gebsrmvn_general_kernelILj32ELj32E21rocsparse_complex_numIdEEEvi20rocsparse_direction_NS_24const_host_device_scalarIT1_EEPKiS8_PKS5_iiSA_S6_PS5_21rocsparse_index_base_b
                                        ; -- End function
	.set _ZN9rocsparseL23gebsrmvn_general_kernelILj32ELj32E21rocsparse_complex_numIdEEEvi20rocsparse_direction_NS_24const_host_device_scalarIT1_EEPKiS8_PKS5_iiSA_S6_PS5_21rocsparse_index_base_b.num_vgpr, 32
	.set _ZN9rocsparseL23gebsrmvn_general_kernelILj32ELj32E21rocsparse_complex_numIdEEEvi20rocsparse_direction_NS_24const_host_device_scalarIT1_EEPKiS8_PKS5_iiSA_S6_PS5_21rocsparse_index_base_b.num_agpr, 0
	.set _ZN9rocsparseL23gebsrmvn_general_kernelILj32ELj32E21rocsparse_complex_numIdEEEvi20rocsparse_direction_NS_24const_host_device_scalarIT1_EEPKiS8_PKS5_iiSA_S6_PS5_21rocsparse_index_base_b.numbered_sgpr, 26
	.set _ZN9rocsparseL23gebsrmvn_general_kernelILj32ELj32E21rocsparse_complex_numIdEEEvi20rocsparse_direction_NS_24const_host_device_scalarIT1_EEPKiS8_PKS5_iiSA_S6_PS5_21rocsparse_index_base_b.num_named_barrier, 0
	.set _ZN9rocsparseL23gebsrmvn_general_kernelILj32ELj32E21rocsparse_complex_numIdEEEvi20rocsparse_direction_NS_24const_host_device_scalarIT1_EEPKiS8_PKS5_iiSA_S6_PS5_21rocsparse_index_base_b.private_seg_size, 0
	.set _ZN9rocsparseL23gebsrmvn_general_kernelILj32ELj32E21rocsparse_complex_numIdEEEvi20rocsparse_direction_NS_24const_host_device_scalarIT1_EEPKiS8_PKS5_iiSA_S6_PS5_21rocsparse_index_base_b.uses_vcc, 1
	.set _ZN9rocsparseL23gebsrmvn_general_kernelILj32ELj32E21rocsparse_complex_numIdEEEvi20rocsparse_direction_NS_24const_host_device_scalarIT1_EEPKiS8_PKS5_iiSA_S6_PS5_21rocsparse_index_base_b.uses_flat_scratch, 0
	.set _ZN9rocsparseL23gebsrmvn_general_kernelILj32ELj32E21rocsparse_complex_numIdEEEvi20rocsparse_direction_NS_24const_host_device_scalarIT1_EEPKiS8_PKS5_iiSA_S6_PS5_21rocsparse_index_base_b.has_dyn_sized_stack, 0
	.set _ZN9rocsparseL23gebsrmvn_general_kernelILj32ELj32E21rocsparse_complex_numIdEEEvi20rocsparse_direction_NS_24const_host_device_scalarIT1_EEPKiS8_PKS5_iiSA_S6_PS5_21rocsparse_index_base_b.has_recursion, 0
	.set _ZN9rocsparseL23gebsrmvn_general_kernelILj32ELj32E21rocsparse_complex_numIdEEEvi20rocsparse_direction_NS_24const_host_device_scalarIT1_EEPKiS8_PKS5_iiSA_S6_PS5_21rocsparse_index_base_b.has_indirect_call, 0
	.section	.AMDGPU.csdata,"",@progbits
; Kernel info:
; codeLenInByte = 1348
; TotalNumSgprs: 28
; NumVgprs: 32
; ScratchSize: 0
; MemoryBound: 0
; FloatMode: 240
; IeeeMode: 1
; LDSByteSize: 0 bytes/workgroup (compile time only)
; SGPRBlocks: 0
; VGPRBlocks: 3
; NumSGPRsForWavesPerEU: 28
; NumVGPRsForWavesPerEU: 32
; Occupancy: 16
; WaveLimiterHint : 1
; COMPUTE_PGM_RSRC2:SCRATCH_EN: 0
; COMPUTE_PGM_RSRC2:USER_SGPR: 6
; COMPUTE_PGM_RSRC2:TRAP_HANDLER: 0
; COMPUTE_PGM_RSRC2:TGID_X_EN: 1
; COMPUTE_PGM_RSRC2:TGID_Y_EN: 0
; COMPUTE_PGM_RSRC2:TGID_Z_EN: 0
; COMPUTE_PGM_RSRC2:TIDIG_COMP_CNT: 0
	.section	.AMDGPU.gpr_maximums,"",@progbits
	.set amdgpu.max_num_vgpr, 0
	.set amdgpu.max_num_agpr, 0
	.set amdgpu.max_num_sgpr, 0
	.section	.AMDGPU.csdata,"",@progbits
	.type	__hip_cuid_84bd52070cf0e1bf,@object ; @__hip_cuid_84bd52070cf0e1bf
	.section	.bss,"aw",@nobits
	.globl	__hip_cuid_84bd52070cf0e1bf
__hip_cuid_84bd52070cf0e1bf:
	.byte	0                               ; 0x0
	.size	__hip_cuid_84bd52070cf0e1bf, 1

	.ident	"AMD clang version 22.0.0git (https://github.com/RadeonOpenCompute/llvm-project roc-7.2.4 26084 f58b06dce1f9c15707c5f808fd002e18c2accf7e)"
	.section	".note.GNU-stack","",@progbits
	.addrsig
	.addrsig_sym __hip_cuid_84bd52070cf0e1bf
	.amdgpu_metadata
---
amdhsa.kernels:
  - .args:
      - .offset:         0
        .size:           4
        .value_kind:     by_value
      - .offset:         4
        .size:           4
        .value_kind:     by_value
      - .offset:         8
        .size:           8
        .value_kind:     by_value
      - .actual_access:  read_only
        .address_space:  global
        .offset:         16
        .size:           8
        .value_kind:     global_buffer
      - .actual_access:  read_only
        .address_space:  global
        .offset:         24
        .size:           8
        .value_kind:     global_buffer
      - .actual_access:  read_only
        .address_space:  global
        .offset:         32
        .size:           8
        .value_kind:     global_buffer
      - .actual_access:  read_only
        .address_space:  global
        .offset:         40
        .size:           8
        .value_kind:     global_buffer
      - .offset:         48
        .size:           8
        .value_kind:     by_value
      - .address_space:  global
        .offset:         56
        .size:           8
        .value_kind:     global_buffer
      - .offset:         64
        .size:           4
        .value_kind:     by_value
      - .offset:         68
        .size:           1
        .value_kind:     by_value
    .group_segment_fixed_size: 0
    .kernarg_segment_align: 8
    .kernarg_segment_size: 72
    .language:       OpenCL C
    .language_version:
      - 2
      - 0
    .max_flat_workgroup_size: 128
    .name:           _ZN9rocsparseL19gebsrmvn_1xn_kernelILj128ELj2ELj4EfEEvi20rocsparse_direction_NS_24const_host_device_scalarIT2_EEPKiS6_PKS3_S8_S4_PS3_21rocsparse_index_base_b
    .private_segment_fixed_size: 0
    .sgpr_count:     16
    .sgpr_spill_count: 0
    .symbol:         _ZN9rocsparseL19gebsrmvn_1xn_kernelILj128ELj2ELj4EfEEvi20rocsparse_direction_NS_24const_host_device_scalarIT2_EEPKiS6_PKS3_S8_S4_PS3_21rocsparse_index_base_b.kd
    .uniform_work_group_size: 1
    .uses_dynamic_stack: false
    .vgpr_count:     13
    .vgpr_spill_count: 0
    .wavefront_size: 32
    .workgroup_processor_mode: 1
  - .args:
      - .offset:         0
        .size:           4
        .value_kind:     by_value
      - .offset:         4
        .size:           4
        .value_kind:     by_value
      - .offset:         8
        .size:           8
        .value_kind:     by_value
      - .actual_access:  read_only
        .address_space:  global
        .offset:         16
        .size:           8
        .value_kind:     global_buffer
      - .actual_access:  read_only
        .address_space:  global
        .offset:         24
        .size:           8
        .value_kind:     global_buffer
      - .actual_access:  read_only
        .address_space:  global
        .offset:         32
        .size:           8
        .value_kind:     global_buffer
      - .actual_access:  read_only
        .address_space:  global
        .offset:         40
        .size:           8
        .value_kind:     global_buffer
      - .offset:         48
        .size:           8
        .value_kind:     by_value
      - .address_space:  global
        .offset:         56
        .size:           8
        .value_kind:     global_buffer
      - .offset:         64
        .size:           4
        .value_kind:     by_value
      - .offset:         68
        .size:           1
        .value_kind:     by_value
    .group_segment_fixed_size: 0
    .kernarg_segment_align: 8
    .kernarg_segment_size: 72
    .language:       OpenCL C
    .language_version:
      - 2
      - 0
    .max_flat_workgroup_size: 128
    .name:           _ZN9rocsparseL19gebsrmvn_1xn_kernelILj128ELj2ELj8EfEEvi20rocsparse_direction_NS_24const_host_device_scalarIT2_EEPKiS6_PKS3_S8_S4_PS3_21rocsparse_index_base_b
    .private_segment_fixed_size: 0
    .sgpr_count:     16
    .sgpr_spill_count: 0
    .symbol:         _ZN9rocsparseL19gebsrmvn_1xn_kernelILj128ELj2ELj8EfEEvi20rocsparse_direction_NS_24const_host_device_scalarIT2_EEPKiS6_PKS3_S8_S4_PS3_21rocsparse_index_base_b.kd
    .uniform_work_group_size: 1
    .uses_dynamic_stack: false
    .vgpr_count:     13
    .vgpr_spill_count: 0
    .wavefront_size: 32
    .workgroup_processor_mode: 1
  - .args:
      - .offset:         0
        .size:           4
        .value_kind:     by_value
      - .offset:         4
        .size:           4
        .value_kind:     by_value
      - .offset:         8
        .size:           8
        .value_kind:     by_value
      - .actual_access:  read_only
        .address_space:  global
        .offset:         16
        .size:           8
        .value_kind:     global_buffer
      - .actual_access:  read_only
        .address_space:  global
        .offset:         24
        .size:           8
        .value_kind:     global_buffer
      - .actual_access:  read_only
        .address_space:  global
        .offset:         32
        .size:           8
        .value_kind:     global_buffer
      - .actual_access:  read_only
        .address_space:  global
        .offset:         40
        .size:           8
        .value_kind:     global_buffer
      - .offset:         48
        .size:           8
        .value_kind:     by_value
      - .address_space:  global
        .offset:         56
        .size:           8
        .value_kind:     global_buffer
      - .offset:         64
        .size:           4
        .value_kind:     by_value
      - .offset:         68
        .size:           1
        .value_kind:     by_value
    .group_segment_fixed_size: 0
    .kernarg_segment_align: 8
    .kernarg_segment_size: 72
    .language:       OpenCL C
    .language_version:
      - 2
      - 0
    .max_flat_workgroup_size: 128
    .name:           _ZN9rocsparseL19gebsrmvn_1xn_kernelILj128ELj2ELj16EfEEvi20rocsparse_direction_NS_24const_host_device_scalarIT2_EEPKiS6_PKS3_S8_S4_PS3_21rocsparse_index_base_b
    .private_segment_fixed_size: 0
    .sgpr_count:     16
    .sgpr_spill_count: 0
    .symbol:         _ZN9rocsparseL19gebsrmvn_1xn_kernelILj128ELj2ELj16EfEEvi20rocsparse_direction_NS_24const_host_device_scalarIT2_EEPKiS6_PKS3_S8_S4_PS3_21rocsparse_index_base_b.kd
    .uniform_work_group_size: 1
    .uses_dynamic_stack: false
    .vgpr_count:     13
    .vgpr_spill_count: 0
    .wavefront_size: 32
    .workgroup_processor_mode: 1
  - .args:
      - .offset:         0
        .size:           4
        .value_kind:     by_value
      - .offset:         4
        .size:           4
        .value_kind:     by_value
      - .offset:         8
        .size:           8
        .value_kind:     by_value
      - .actual_access:  read_only
        .address_space:  global
        .offset:         16
        .size:           8
        .value_kind:     global_buffer
      - .actual_access:  read_only
        .address_space:  global
        .offset:         24
        .size:           8
        .value_kind:     global_buffer
      - .actual_access:  read_only
        .address_space:  global
        .offset:         32
        .size:           8
        .value_kind:     global_buffer
      - .actual_access:  read_only
        .address_space:  global
        .offset:         40
        .size:           8
        .value_kind:     global_buffer
      - .offset:         48
        .size:           8
        .value_kind:     by_value
      - .address_space:  global
        .offset:         56
        .size:           8
        .value_kind:     global_buffer
      - .offset:         64
        .size:           4
        .value_kind:     by_value
      - .offset:         68
        .size:           1
        .value_kind:     by_value
    .group_segment_fixed_size: 0
    .kernarg_segment_align: 8
    .kernarg_segment_size: 72
    .language:       OpenCL C
    .language_version:
      - 2
      - 0
    .max_flat_workgroup_size: 128
    .name:           _ZN9rocsparseL19gebsrmvn_1xn_kernelILj128ELj2ELj32EfEEvi20rocsparse_direction_NS_24const_host_device_scalarIT2_EEPKiS6_PKS3_S8_S4_PS3_21rocsparse_index_base_b
    .private_segment_fixed_size: 0
    .sgpr_count:     16
    .sgpr_spill_count: 0
    .symbol:         _ZN9rocsparseL19gebsrmvn_1xn_kernelILj128ELj2ELj32EfEEvi20rocsparse_direction_NS_24const_host_device_scalarIT2_EEPKiS6_PKS3_S8_S4_PS3_21rocsparse_index_base_b.kd
    .uniform_work_group_size: 1
    .uses_dynamic_stack: false
    .vgpr_count:     13
    .vgpr_spill_count: 0
    .wavefront_size: 32
    .workgroup_processor_mode: 1
  - .args:
      - .offset:         0
        .size:           4
        .value_kind:     by_value
      - .offset:         4
        .size:           4
        .value_kind:     by_value
      - .offset:         8
        .size:           8
        .value_kind:     by_value
      - .actual_access:  read_only
        .address_space:  global
        .offset:         16
        .size:           8
        .value_kind:     global_buffer
      - .actual_access:  read_only
        .address_space:  global
        .offset:         24
        .size:           8
        .value_kind:     global_buffer
      - .actual_access:  read_only
        .address_space:  global
        .offset:         32
        .size:           8
        .value_kind:     global_buffer
      - .actual_access:  read_only
        .address_space:  global
        .offset:         40
        .size:           8
        .value_kind:     global_buffer
      - .offset:         48
        .size:           8
        .value_kind:     by_value
      - .address_space:  global
        .offset:         56
        .size:           8
        .value_kind:     global_buffer
      - .offset:         64
        .size:           4
        .value_kind:     by_value
      - .offset:         68
        .size:           1
        .value_kind:     by_value
    .group_segment_fixed_size: 0
    .kernarg_segment_align: 8
    .kernarg_segment_size: 72
    .language:       OpenCL C
    .language_version:
      - 2
      - 0
    .max_flat_workgroup_size: 128
    .name:           _ZN9rocsparseL19gebsrmvn_1xn_kernelILj128ELj2ELj64EfEEvi20rocsparse_direction_NS_24const_host_device_scalarIT2_EEPKiS6_PKS3_S8_S4_PS3_21rocsparse_index_base_b
    .private_segment_fixed_size: 0
    .sgpr_count:     16
    .sgpr_spill_count: 0
    .symbol:         _ZN9rocsparseL19gebsrmvn_1xn_kernelILj128ELj2ELj64EfEEvi20rocsparse_direction_NS_24const_host_device_scalarIT2_EEPKiS6_PKS3_S8_S4_PS3_21rocsparse_index_base_b.kd
    .uniform_work_group_size: 1
    .uses_dynamic_stack: false
    .vgpr_count:     13
    .vgpr_spill_count: 0
    .wavefront_size: 32
    .workgroup_processor_mode: 1
  - .args:
      - .offset:         0
        .size:           4
        .value_kind:     by_value
      - .offset:         4
        .size:           4
        .value_kind:     by_value
      - .offset:         8
        .size:           8
        .value_kind:     by_value
      - .actual_access:  read_only
        .address_space:  global
        .offset:         16
        .size:           8
        .value_kind:     global_buffer
      - .actual_access:  read_only
        .address_space:  global
        .offset:         24
        .size:           8
        .value_kind:     global_buffer
      - .actual_access:  read_only
        .address_space:  global
        .offset:         32
        .size:           8
        .value_kind:     global_buffer
      - .actual_access:  read_only
        .address_space:  global
        .offset:         40
        .size:           8
        .value_kind:     global_buffer
      - .offset:         48
        .size:           8
        .value_kind:     by_value
      - .address_space:  global
        .offset:         56
        .size:           8
        .value_kind:     global_buffer
      - .offset:         64
        .size:           4
        .value_kind:     by_value
      - .offset:         68
        .size:           1
        .value_kind:     by_value
    .group_segment_fixed_size: 0
    .kernarg_segment_align: 8
    .kernarg_segment_size: 72
    .language:       OpenCL C
    .language_version:
      - 2
      - 0
    .max_flat_workgroup_size: 128
    .name:           _ZN9rocsparseL19gebsrmvn_1xn_kernelILj128ELj3ELj4EfEEvi20rocsparse_direction_NS_24const_host_device_scalarIT2_EEPKiS6_PKS3_S8_S4_PS3_21rocsparse_index_base_b
    .private_segment_fixed_size: 0
    .sgpr_count:     16
    .sgpr_spill_count: 0
    .symbol:         _ZN9rocsparseL19gebsrmvn_1xn_kernelILj128ELj3ELj4EfEEvi20rocsparse_direction_NS_24const_host_device_scalarIT2_EEPKiS6_PKS3_S8_S4_PS3_21rocsparse_index_base_b.kd
    .uniform_work_group_size: 1
    .uses_dynamic_stack: false
    .vgpr_count:     22
    .vgpr_spill_count: 0
    .wavefront_size: 32
    .workgroup_processor_mode: 1
  - .args:
      - .offset:         0
        .size:           4
        .value_kind:     by_value
      - .offset:         4
        .size:           4
        .value_kind:     by_value
      - .offset:         8
        .size:           8
        .value_kind:     by_value
      - .actual_access:  read_only
        .address_space:  global
        .offset:         16
        .size:           8
        .value_kind:     global_buffer
      - .actual_access:  read_only
        .address_space:  global
        .offset:         24
        .size:           8
        .value_kind:     global_buffer
      - .actual_access:  read_only
        .address_space:  global
        .offset:         32
        .size:           8
        .value_kind:     global_buffer
      - .actual_access:  read_only
        .address_space:  global
        .offset:         40
        .size:           8
        .value_kind:     global_buffer
      - .offset:         48
        .size:           8
        .value_kind:     by_value
      - .address_space:  global
        .offset:         56
        .size:           8
        .value_kind:     global_buffer
      - .offset:         64
        .size:           4
        .value_kind:     by_value
      - .offset:         68
        .size:           1
        .value_kind:     by_value
    .group_segment_fixed_size: 0
    .kernarg_segment_align: 8
    .kernarg_segment_size: 72
    .language:       OpenCL C
    .language_version:
      - 2
      - 0
    .max_flat_workgroup_size: 128
    .name:           _ZN9rocsparseL19gebsrmvn_1xn_kernelILj128ELj3ELj8EfEEvi20rocsparse_direction_NS_24const_host_device_scalarIT2_EEPKiS6_PKS3_S8_S4_PS3_21rocsparse_index_base_b
    .private_segment_fixed_size: 0
    .sgpr_count:     16
    .sgpr_spill_count: 0
    .symbol:         _ZN9rocsparseL19gebsrmvn_1xn_kernelILj128ELj3ELj8EfEEvi20rocsparse_direction_NS_24const_host_device_scalarIT2_EEPKiS6_PKS3_S8_S4_PS3_21rocsparse_index_base_b.kd
    .uniform_work_group_size: 1
    .uses_dynamic_stack: false
    .vgpr_count:     22
    .vgpr_spill_count: 0
    .wavefront_size: 32
    .workgroup_processor_mode: 1
  - .args:
      - .offset:         0
        .size:           4
        .value_kind:     by_value
      - .offset:         4
        .size:           4
        .value_kind:     by_value
      - .offset:         8
        .size:           8
        .value_kind:     by_value
      - .actual_access:  read_only
        .address_space:  global
        .offset:         16
        .size:           8
        .value_kind:     global_buffer
      - .actual_access:  read_only
        .address_space:  global
        .offset:         24
        .size:           8
        .value_kind:     global_buffer
      - .actual_access:  read_only
        .address_space:  global
        .offset:         32
        .size:           8
        .value_kind:     global_buffer
      - .actual_access:  read_only
        .address_space:  global
        .offset:         40
        .size:           8
        .value_kind:     global_buffer
      - .offset:         48
        .size:           8
        .value_kind:     by_value
      - .address_space:  global
        .offset:         56
        .size:           8
        .value_kind:     global_buffer
      - .offset:         64
        .size:           4
        .value_kind:     by_value
      - .offset:         68
        .size:           1
        .value_kind:     by_value
    .group_segment_fixed_size: 0
    .kernarg_segment_align: 8
    .kernarg_segment_size: 72
    .language:       OpenCL C
    .language_version:
      - 2
      - 0
    .max_flat_workgroup_size: 128
    .name:           _ZN9rocsparseL19gebsrmvn_1xn_kernelILj128ELj3ELj16EfEEvi20rocsparse_direction_NS_24const_host_device_scalarIT2_EEPKiS6_PKS3_S8_S4_PS3_21rocsparse_index_base_b
    .private_segment_fixed_size: 0
    .sgpr_count:     16
    .sgpr_spill_count: 0
    .symbol:         _ZN9rocsparseL19gebsrmvn_1xn_kernelILj128ELj3ELj16EfEEvi20rocsparse_direction_NS_24const_host_device_scalarIT2_EEPKiS6_PKS3_S8_S4_PS3_21rocsparse_index_base_b.kd
    .uniform_work_group_size: 1
    .uses_dynamic_stack: false
    .vgpr_count:     22
    .vgpr_spill_count: 0
    .wavefront_size: 32
    .workgroup_processor_mode: 1
  - .args:
      - .offset:         0
        .size:           4
        .value_kind:     by_value
      - .offset:         4
        .size:           4
        .value_kind:     by_value
      - .offset:         8
        .size:           8
        .value_kind:     by_value
      - .actual_access:  read_only
        .address_space:  global
        .offset:         16
        .size:           8
        .value_kind:     global_buffer
      - .actual_access:  read_only
        .address_space:  global
        .offset:         24
        .size:           8
        .value_kind:     global_buffer
      - .actual_access:  read_only
        .address_space:  global
        .offset:         32
        .size:           8
        .value_kind:     global_buffer
      - .actual_access:  read_only
        .address_space:  global
        .offset:         40
        .size:           8
        .value_kind:     global_buffer
      - .offset:         48
        .size:           8
        .value_kind:     by_value
      - .address_space:  global
        .offset:         56
        .size:           8
        .value_kind:     global_buffer
      - .offset:         64
        .size:           4
        .value_kind:     by_value
      - .offset:         68
        .size:           1
        .value_kind:     by_value
    .group_segment_fixed_size: 0
    .kernarg_segment_align: 8
    .kernarg_segment_size: 72
    .language:       OpenCL C
    .language_version:
      - 2
      - 0
    .max_flat_workgroup_size: 128
    .name:           _ZN9rocsparseL19gebsrmvn_1xn_kernelILj128ELj3ELj32EfEEvi20rocsparse_direction_NS_24const_host_device_scalarIT2_EEPKiS6_PKS3_S8_S4_PS3_21rocsparse_index_base_b
    .private_segment_fixed_size: 0
    .sgpr_count:     16
    .sgpr_spill_count: 0
    .symbol:         _ZN9rocsparseL19gebsrmvn_1xn_kernelILj128ELj3ELj32EfEEvi20rocsparse_direction_NS_24const_host_device_scalarIT2_EEPKiS6_PKS3_S8_S4_PS3_21rocsparse_index_base_b.kd
    .uniform_work_group_size: 1
    .uses_dynamic_stack: false
    .vgpr_count:     22
    .vgpr_spill_count: 0
    .wavefront_size: 32
    .workgroup_processor_mode: 1
  - .args:
      - .offset:         0
        .size:           4
        .value_kind:     by_value
      - .offset:         4
        .size:           4
        .value_kind:     by_value
      - .offset:         8
        .size:           8
        .value_kind:     by_value
      - .actual_access:  read_only
        .address_space:  global
        .offset:         16
        .size:           8
        .value_kind:     global_buffer
      - .actual_access:  read_only
        .address_space:  global
        .offset:         24
        .size:           8
        .value_kind:     global_buffer
      - .actual_access:  read_only
        .address_space:  global
        .offset:         32
        .size:           8
        .value_kind:     global_buffer
      - .actual_access:  read_only
        .address_space:  global
        .offset:         40
        .size:           8
        .value_kind:     global_buffer
      - .offset:         48
        .size:           8
        .value_kind:     by_value
      - .address_space:  global
        .offset:         56
        .size:           8
        .value_kind:     global_buffer
      - .offset:         64
        .size:           4
        .value_kind:     by_value
      - .offset:         68
        .size:           1
        .value_kind:     by_value
    .group_segment_fixed_size: 0
    .kernarg_segment_align: 8
    .kernarg_segment_size: 72
    .language:       OpenCL C
    .language_version:
      - 2
      - 0
    .max_flat_workgroup_size: 128
    .name:           _ZN9rocsparseL19gebsrmvn_1xn_kernelILj128ELj3ELj64EfEEvi20rocsparse_direction_NS_24const_host_device_scalarIT2_EEPKiS6_PKS3_S8_S4_PS3_21rocsparse_index_base_b
    .private_segment_fixed_size: 0
    .sgpr_count:     16
    .sgpr_spill_count: 0
    .symbol:         _ZN9rocsparseL19gebsrmvn_1xn_kernelILj128ELj3ELj64EfEEvi20rocsparse_direction_NS_24const_host_device_scalarIT2_EEPKiS6_PKS3_S8_S4_PS3_21rocsparse_index_base_b.kd
    .uniform_work_group_size: 1
    .uses_dynamic_stack: false
    .vgpr_count:     22
    .vgpr_spill_count: 0
    .wavefront_size: 32
    .workgroup_processor_mode: 1
  - .args:
      - .offset:         0
        .size:           4
        .value_kind:     by_value
      - .offset:         4
        .size:           4
        .value_kind:     by_value
      - .offset:         8
        .size:           8
        .value_kind:     by_value
      - .actual_access:  read_only
        .address_space:  global
        .offset:         16
        .size:           8
        .value_kind:     global_buffer
      - .actual_access:  read_only
        .address_space:  global
        .offset:         24
        .size:           8
        .value_kind:     global_buffer
      - .actual_access:  read_only
        .address_space:  global
        .offset:         32
        .size:           8
        .value_kind:     global_buffer
      - .actual_access:  read_only
        .address_space:  global
        .offset:         40
        .size:           8
        .value_kind:     global_buffer
      - .offset:         48
        .size:           8
        .value_kind:     by_value
      - .address_space:  global
        .offset:         56
        .size:           8
        .value_kind:     global_buffer
      - .offset:         64
        .size:           4
        .value_kind:     by_value
      - .offset:         68
        .size:           1
        .value_kind:     by_value
    .group_segment_fixed_size: 0
    .kernarg_segment_align: 8
    .kernarg_segment_size: 72
    .language:       OpenCL C
    .language_version:
      - 2
      - 0
    .max_flat_workgroup_size: 128
    .name:           _ZN9rocsparseL19gebsrmvn_1xn_kernelILj128ELj4ELj4EfEEvi20rocsparse_direction_NS_24const_host_device_scalarIT2_EEPKiS6_PKS3_S8_S4_PS3_21rocsparse_index_base_b
    .private_segment_fixed_size: 0
    .sgpr_count:     16
    .sgpr_spill_count: 0
    .symbol:         _ZN9rocsparseL19gebsrmvn_1xn_kernelILj128ELj4ELj4EfEEvi20rocsparse_direction_NS_24const_host_device_scalarIT2_EEPKiS6_PKS3_S8_S4_PS3_21rocsparse_index_base_b.kd
    .uniform_work_group_size: 1
    .uses_dynamic_stack: false
    .vgpr_count:     17
    .vgpr_spill_count: 0
    .wavefront_size: 32
    .workgroup_processor_mode: 1
  - .args:
      - .offset:         0
        .size:           4
        .value_kind:     by_value
      - .offset:         4
        .size:           4
        .value_kind:     by_value
      - .offset:         8
        .size:           8
        .value_kind:     by_value
      - .actual_access:  read_only
        .address_space:  global
        .offset:         16
        .size:           8
        .value_kind:     global_buffer
      - .actual_access:  read_only
        .address_space:  global
        .offset:         24
        .size:           8
        .value_kind:     global_buffer
      - .actual_access:  read_only
        .address_space:  global
        .offset:         32
        .size:           8
        .value_kind:     global_buffer
      - .actual_access:  read_only
        .address_space:  global
        .offset:         40
        .size:           8
        .value_kind:     global_buffer
      - .offset:         48
        .size:           8
        .value_kind:     by_value
      - .address_space:  global
        .offset:         56
        .size:           8
        .value_kind:     global_buffer
      - .offset:         64
        .size:           4
        .value_kind:     by_value
      - .offset:         68
        .size:           1
        .value_kind:     by_value
    .group_segment_fixed_size: 0
    .kernarg_segment_align: 8
    .kernarg_segment_size: 72
    .language:       OpenCL C
    .language_version:
      - 2
      - 0
    .max_flat_workgroup_size: 128
    .name:           _ZN9rocsparseL19gebsrmvn_1xn_kernelILj128ELj4ELj8EfEEvi20rocsparse_direction_NS_24const_host_device_scalarIT2_EEPKiS6_PKS3_S8_S4_PS3_21rocsparse_index_base_b
    .private_segment_fixed_size: 0
    .sgpr_count:     16
    .sgpr_spill_count: 0
    .symbol:         _ZN9rocsparseL19gebsrmvn_1xn_kernelILj128ELj4ELj8EfEEvi20rocsparse_direction_NS_24const_host_device_scalarIT2_EEPKiS6_PKS3_S8_S4_PS3_21rocsparse_index_base_b.kd
    .uniform_work_group_size: 1
    .uses_dynamic_stack: false
    .vgpr_count:     17
    .vgpr_spill_count: 0
    .wavefront_size: 32
    .workgroup_processor_mode: 1
  - .args:
      - .offset:         0
        .size:           4
        .value_kind:     by_value
      - .offset:         4
        .size:           4
        .value_kind:     by_value
      - .offset:         8
        .size:           8
        .value_kind:     by_value
      - .actual_access:  read_only
        .address_space:  global
        .offset:         16
        .size:           8
        .value_kind:     global_buffer
      - .actual_access:  read_only
        .address_space:  global
        .offset:         24
        .size:           8
        .value_kind:     global_buffer
      - .actual_access:  read_only
        .address_space:  global
        .offset:         32
        .size:           8
        .value_kind:     global_buffer
      - .actual_access:  read_only
        .address_space:  global
        .offset:         40
        .size:           8
        .value_kind:     global_buffer
      - .offset:         48
        .size:           8
        .value_kind:     by_value
      - .address_space:  global
        .offset:         56
        .size:           8
        .value_kind:     global_buffer
      - .offset:         64
        .size:           4
        .value_kind:     by_value
      - .offset:         68
        .size:           1
        .value_kind:     by_value
    .group_segment_fixed_size: 0
    .kernarg_segment_align: 8
    .kernarg_segment_size: 72
    .language:       OpenCL C
    .language_version:
      - 2
      - 0
    .max_flat_workgroup_size: 128
    .name:           _ZN9rocsparseL19gebsrmvn_1xn_kernelILj128ELj4ELj16EfEEvi20rocsparse_direction_NS_24const_host_device_scalarIT2_EEPKiS6_PKS3_S8_S4_PS3_21rocsparse_index_base_b
    .private_segment_fixed_size: 0
    .sgpr_count:     16
    .sgpr_spill_count: 0
    .symbol:         _ZN9rocsparseL19gebsrmvn_1xn_kernelILj128ELj4ELj16EfEEvi20rocsparse_direction_NS_24const_host_device_scalarIT2_EEPKiS6_PKS3_S8_S4_PS3_21rocsparse_index_base_b.kd
    .uniform_work_group_size: 1
    .uses_dynamic_stack: false
    .vgpr_count:     17
    .vgpr_spill_count: 0
    .wavefront_size: 32
    .workgroup_processor_mode: 1
  - .args:
      - .offset:         0
        .size:           4
        .value_kind:     by_value
      - .offset:         4
        .size:           4
        .value_kind:     by_value
      - .offset:         8
        .size:           8
        .value_kind:     by_value
      - .actual_access:  read_only
        .address_space:  global
        .offset:         16
        .size:           8
        .value_kind:     global_buffer
      - .actual_access:  read_only
        .address_space:  global
        .offset:         24
        .size:           8
        .value_kind:     global_buffer
      - .actual_access:  read_only
        .address_space:  global
        .offset:         32
        .size:           8
        .value_kind:     global_buffer
      - .actual_access:  read_only
        .address_space:  global
        .offset:         40
        .size:           8
        .value_kind:     global_buffer
      - .offset:         48
        .size:           8
        .value_kind:     by_value
      - .address_space:  global
        .offset:         56
        .size:           8
        .value_kind:     global_buffer
      - .offset:         64
        .size:           4
        .value_kind:     by_value
      - .offset:         68
        .size:           1
        .value_kind:     by_value
    .group_segment_fixed_size: 0
    .kernarg_segment_align: 8
    .kernarg_segment_size: 72
    .language:       OpenCL C
    .language_version:
      - 2
      - 0
    .max_flat_workgroup_size: 128
    .name:           _ZN9rocsparseL19gebsrmvn_1xn_kernelILj128ELj4ELj32EfEEvi20rocsparse_direction_NS_24const_host_device_scalarIT2_EEPKiS6_PKS3_S8_S4_PS3_21rocsparse_index_base_b
    .private_segment_fixed_size: 0
    .sgpr_count:     16
    .sgpr_spill_count: 0
    .symbol:         _ZN9rocsparseL19gebsrmvn_1xn_kernelILj128ELj4ELj32EfEEvi20rocsparse_direction_NS_24const_host_device_scalarIT2_EEPKiS6_PKS3_S8_S4_PS3_21rocsparse_index_base_b.kd
    .uniform_work_group_size: 1
    .uses_dynamic_stack: false
    .vgpr_count:     17
    .vgpr_spill_count: 0
    .wavefront_size: 32
    .workgroup_processor_mode: 1
  - .args:
      - .offset:         0
        .size:           4
        .value_kind:     by_value
      - .offset:         4
        .size:           4
        .value_kind:     by_value
      - .offset:         8
        .size:           8
        .value_kind:     by_value
      - .actual_access:  read_only
        .address_space:  global
        .offset:         16
        .size:           8
        .value_kind:     global_buffer
      - .actual_access:  read_only
        .address_space:  global
        .offset:         24
        .size:           8
        .value_kind:     global_buffer
      - .actual_access:  read_only
        .address_space:  global
        .offset:         32
        .size:           8
        .value_kind:     global_buffer
      - .actual_access:  read_only
        .address_space:  global
        .offset:         40
        .size:           8
        .value_kind:     global_buffer
      - .offset:         48
        .size:           8
        .value_kind:     by_value
      - .address_space:  global
        .offset:         56
        .size:           8
        .value_kind:     global_buffer
      - .offset:         64
        .size:           4
        .value_kind:     by_value
      - .offset:         68
        .size:           1
        .value_kind:     by_value
    .group_segment_fixed_size: 0
    .kernarg_segment_align: 8
    .kernarg_segment_size: 72
    .language:       OpenCL C
    .language_version:
      - 2
      - 0
    .max_flat_workgroup_size: 128
    .name:           _ZN9rocsparseL19gebsrmvn_1xn_kernelILj128ELj4ELj64EfEEvi20rocsparse_direction_NS_24const_host_device_scalarIT2_EEPKiS6_PKS3_S8_S4_PS3_21rocsparse_index_base_b
    .private_segment_fixed_size: 0
    .sgpr_count:     16
    .sgpr_spill_count: 0
    .symbol:         _ZN9rocsparseL19gebsrmvn_1xn_kernelILj128ELj4ELj64EfEEvi20rocsparse_direction_NS_24const_host_device_scalarIT2_EEPKiS6_PKS3_S8_S4_PS3_21rocsparse_index_base_b.kd
    .uniform_work_group_size: 1
    .uses_dynamic_stack: false
    .vgpr_count:     17
    .vgpr_spill_count: 0
    .wavefront_size: 32
    .workgroup_processor_mode: 1
  - .args:
      - .offset:         0
        .size:           4
        .value_kind:     by_value
      - .offset:         4
        .size:           4
        .value_kind:     by_value
      - .offset:         8
        .size:           8
        .value_kind:     by_value
      - .actual_access:  read_only
        .address_space:  global
        .offset:         16
        .size:           8
        .value_kind:     global_buffer
      - .actual_access:  read_only
        .address_space:  global
        .offset:         24
        .size:           8
        .value_kind:     global_buffer
      - .actual_access:  read_only
        .address_space:  global
        .offset:         32
        .size:           8
        .value_kind:     global_buffer
      - .actual_access:  read_only
        .address_space:  global
        .offset:         40
        .size:           8
        .value_kind:     global_buffer
      - .offset:         48
        .size:           8
        .value_kind:     by_value
      - .address_space:  global
        .offset:         56
        .size:           8
        .value_kind:     global_buffer
      - .offset:         64
        .size:           4
        .value_kind:     by_value
      - .offset:         68
        .size:           1
        .value_kind:     by_value
    .group_segment_fixed_size: 0
    .kernarg_segment_align: 8
    .kernarg_segment_size: 72
    .language:       OpenCL C
    .language_version:
      - 2
      - 0
    .max_flat_workgroup_size: 128
    .name:           _ZN9rocsparseL19gebsrmvn_1xn_kernelILj128ELj5ELj4EfEEvi20rocsparse_direction_NS_24const_host_device_scalarIT2_EEPKiS6_PKS3_S8_S4_PS3_21rocsparse_index_base_b
    .private_segment_fixed_size: 0
    .sgpr_count:     16
    .sgpr_spill_count: 0
    .symbol:         _ZN9rocsparseL19gebsrmvn_1xn_kernelILj128ELj5ELj4EfEEvi20rocsparse_direction_NS_24const_host_device_scalarIT2_EEPKiS6_PKS3_S8_S4_PS3_21rocsparse_index_base_b.kd
    .uniform_work_group_size: 1
    .uses_dynamic_stack: false
    .vgpr_count:     26
    .vgpr_spill_count: 0
    .wavefront_size: 32
    .workgroup_processor_mode: 1
  - .args:
      - .offset:         0
        .size:           4
        .value_kind:     by_value
      - .offset:         4
        .size:           4
        .value_kind:     by_value
      - .offset:         8
        .size:           8
        .value_kind:     by_value
      - .actual_access:  read_only
        .address_space:  global
        .offset:         16
        .size:           8
        .value_kind:     global_buffer
      - .actual_access:  read_only
        .address_space:  global
        .offset:         24
        .size:           8
        .value_kind:     global_buffer
      - .actual_access:  read_only
        .address_space:  global
        .offset:         32
        .size:           8
        .value_kind:     global_buffer
      - .actual_access:  read_only
        .address_space:  global
        .offset:         40
        .size:           8
        .value_kind:     global_buffer
      - .offset:         48
        .size:           8
        .value_kind:     by_value
      - .address_space:  global
        .offset:         56
        .size:           8
        .value_kind:     global_buffer
      - .offset:         64
        .size:           4
        .value_kind:     by_value
      - .offset:         68
        .size:           1
        .value_kind:     by_value
    .group_segment_fixed_size: 0
    .kernarg_segment_align: 8
    .kernarg_segment_size: 72
    .language:       OpenCL C
    .language_version:
      - 2
      - 0
    .max_flat_workgroup_size: 128
    .name:           _ZN9rocsparseL19gebsrmvn_1xn_kernelILj128ELj5ELj8EfEEvi20rocsparse_direction_NS_24const_host_device_scalarIT2_EEPKiS6_PKS3_S8_S4_PS3_21rocsparse_index_base_b
    .private_segment_fixed_size: 0
    .sgpr_count:     16
    .sgpr_spill_count: 0
    .symbol:         _ZN9rocsparseL19gebsrmvn_1xn_kernelILj128ELj5ELj8EfEEvi20rocsparse_direction_NS_24const_host_device_scalarIT2_EEPKiS6_PKS3_S8_S4_PS3_21rocsparse_index_base_b.kd
    .uniform_work_group_size: 1
    .uses_dynamic_stack: false
    .vgpr_count:     26
    .vgpr_spill_count: 0
    .wavefront_size: 32
    .workgroup_processor_mode: 1
  - .args:
      - .offset:         0
        .size:           4
        .value_kind:     by_value
      - .offset:         4
        .size:           4
        .value_kind:     by_value
      - .offset:         8
        .size:           8
        .value_kind:     by_value
      - .actual_access:  read_only
        .address_space:  global
        .offset:         16
        .size:           8
        .value_kind:     global_buffer
      - .actual_access:  read_only
        .address_space:  global
        .offset:         24
        .size:           8
        .value_kind:     global_buffer
      - .actual_access:  read_only
        .address_space:  global
        .offset:         32
        .size:           8
        .value_kind:     global_buffer
      - .actual_access:  read_only
        .address_space:  global
        .offset:         40
        .size:           8
        .value_kind:     global_buffer
      - .offset:         48
        .size:           8
        .value_kind:     by_value
      - .address_space:  global
        .offset:         56
        .size:           8
        .value_kind:     global_buffer
      - .offset:         64
        .size:           4
        .value_kind:     by_value
      - .offset:         68
        .size:           1
        .value_kind:     by_value
    .group_segment_fixed_size: 0
    .kernarg_segment_align: 8
    .kernarg_segment_size: 72
    .language:       OpenCL C
    .language_version:
      - 2
      - 0
    .max_flat_workgroup_size: 128
    .name:           _ZN9rocsparseL19gebsrmvn_1xn_kernelILj128ELj5ELj16EfEEvi20rocsparse_direction_NS_24const_host_device_scalarIT2_EEPKiS6_PKS3_S8_S4_PS3_21rocsparse_index_base_b
    .private_segment_fixed_size: 0
    .sgpr_count:     16
    .sgpr_spill_count: 0
    .symbol:         _ZN9rocsparseL19gebsrmvn_1xn_kernelILj128ELj5ELj16EfEEvi20rocsparse_direction_NS_24const_host_device_scalarIT2_EEPKiS6_PKS3_S8_S4_PS3_21rocsparse_index_base_b.kd
    .uniform_work_group_size: 1
    .uses_dynamic_stack: false
    .vgpr_count:     26
    .vgpr_spill_count: 0
    .wavefront_size: 32
    .workgroup_processor_mode: 1
  - .args:
      - .offset:         0
        .size:           4
        .value_kind:     by_value
      - .offset:         4
        .size:           4
        .value_kind:     by_value
      - .offset:         8
        .size:           8
        .value_kind:     by_value
      - .actual_access:  read_only
        .address_space:  global
        .offset:         16
        .size:           8
        .value_kind:     global_buffer
      - .actual_access:  read_only
        .address_space:  global
        .offset:         24
        .size:           8
        .value_kind:     global_buffer
      - .actual_access:  read_only
        .address_space:  global
        .offset:         32
        .size:           8
        .value_kind:     global_buffer
      - .actual_access:  read_only
        .address_space:  global
        .offset:         40
        .size:           8
        .value_kind:     global_buffer
      - .offset:         48
        .size:           8
        .value_kind:     by_value
      - .address_space:  global
        .offset:         56
        .size:           8
        .value_kind:     global_buffer
      - .offset:         64
        .size:           4
        .value_kind:     by_value
      - .offset:         68
        .size:           1
        .value_kind:     by_value
    .group_segment_fixed_size: 0
    .kernarg_segment_align: 8
    .kernarg_segment_size: 72
    .language:       OpenCL C
    .language_version:
      - 2
      - 0
    .max_flat_workgroup_size: 128
    .name:           _ZN9rocsparseL19gebsrmvn_1xn_kernelILj128ELj5ELj32EfEEvi20rocsparse_direction_NS_24const_host_device_scalarIT2_EEPKiS6_PKS3_S8_S4_PS3_21rocsparse_index_base_b
    .private_segment_fixed_size: 0
    .sgpr_count:     16
    .sgpr_spill_count: 0
    .symbol:         _ZN9rocsparseL19gebsrmvn_1xn_kernelILj128ELj5ELj32EfEEvi20rocsparse_direction_NS_24const_host_device_scalarIT2_EEPKiS6_PKS3_S8_S4_PS3_21rocsparse_index_base_b.kd
    .uniform_work_group_size: 1
    .uses_dynamic_stack: false
    .vgpr_count:     26
    .vgpr_spill_count: 0
    .wavefront_size: 32
    .workgroup_processor_mode: 1
  - .args:
      - .offset:         0
        .size:           4
        .value_kind:     by_value
      - .offset:         4
        .size:           4
        .value_kind:     by_value
      - .offset:         8
        .size:           8
        .value_kind:     by_value
      - .actual_access:  read_only
        .address_space:  global
        .offset:         16
        .size:           8
        .value_kind:     global_buffer
      - .actual_access:  read_only
        .address_space:  global
        .offset:         24
        .size:           8
        .value_kind:     global_buffer
      - .actual_access:  read_only
        .address_space:  global
        .offset:         32
        .size:           8
        .value_kind:     global_buffer
      - .actual_access:  read_only
        .address_space:  global
        .offset:         40
        .size:           8
        .value_kind:     global_buffer
      - .offset:         48
        .size:           8
        .value_kind:     by_value
      - .address_space:  global
        .offset:         56
        .size:           8
        .value_kind:     global_buffer
      - .offset:         64
        .size:           4
        .value_kind:     by_value
      - .offset:         68
        .size:           1
        .value_kind:     by_value
    .group_segment_fixed_size: 0
    .kernarg_segment_align: 8
    .kernarg_segment_size: 72
    .language:       OpenCL C
    .language_version:
      - 2
      - 0
    .max_flat_workgroup_size: 128
    .name:           _ZN9rocsparseL19gebsrmvn_1xn_kernelILj128ELj5ELj64EfEEvi20rocsparse_direction_NS_24const_host_device_scalarIT2_EEPKiS6_PKS3_S8_S4_PS3_21rocsparse_index_base_b
    .private_segment_fixed_size: 0
    .sgpr_count:     16
    .sgpr_spill_count: 0
    .symbol:         _ZN9rocsparseL19gebsrmvn_1xn_kernelILj128ELj5ELj64EfEEvi20rocsparse_direction_NS_24const_host_device_scalarIT2_EEPKiS6_PKS3_S8_S4_PS3_21rocsparse_index_base_b.kd
    .uniform_work_group_size: 1
    .uses_dynamic_stack: false
    .vgpr_count:     26
    .vgpr_spill_count: 0
    .wavefront_size: 32
    .workgroup_processor_mode: 1
  - .args:
      - .offset:         0
        .size:           4
        .value_kind:     by_value
      - .offset:         4
        .size:           4
        .value_kind:     by_value
      - .offset:         8
        .size:           8
        .value_kind:     by_value
      - .actual_access:  read_only
        .address_space:  global
        .offset:         16
        .size:           8
        .value_kind:     global_buffer
      - .actual_access:  read_only
        .address_space:  global
        .offset:         24
        .size:           8
        .value_kind:     global_buffer
      - .actual_access:  read_only
        .address_space:  global
        .offset:         32
        .size:           8
        .value_kind:     global_buffer
      - .actual_access:  read_only
        .address_space:  global
        .offset:         40
        .size:           8
        .value_kind:     global_buffer
      - .offset:         48
        .size:           8
        .value_kind:     by_value
      - .address_space:  global
        .offset:         56
        .size:           8
        .value_kind:     global_buffer
      - .offset:         64
        .size:           4
        .value_kind:     by_value
      - .offset:         68
        .size:           1
        .value_kind:     by_value
    .group_segment_fixed_size: 0
    .kernarg_segment_align: 8
    .kernarg_segment_size: 72
    .language:       OpenCL C
    .language_version:
      - 2
      - 0
    .max_flat_workgroup_size: 128
    .name:           _ZN9rocsparseL19gebsrmvn_1xn_kernelILj128ELj6ELj4EfEEvi20rocsparse_direction_NS_24const_host_device_scalarIT2_EEPKiS6_PKS3_S8_S4_PS3_21rocsparse_index_base_b
    .private_segment_fixed_size: 0
    .sgpr_count:     16
    .sgpr_spill_count: 0
    .symbol:         _ZN9rocsparseL19gebsrmvn_1xn_kernelILj128ELj6ELj4EfEEvi20rocsparse_direction_NS_24const_host_device_scalarIT2_EEPKiS6_PKS3_S8_S4_PS3_21rocsparse_index_base_b.kd
    .uniform_work_group_size: 1
    .uses_dynamic_stack: false
    .vgpr_count:     26
    .vgpr_spill_count: 0
    .wavefront_size: 32
    .workgroup_processor_mode: 1
  - .args:
      - .offset:         0
        .size:           4
        .value_kind:     by_value
      - .offset:         4
        .size:           4
        .value_kind:     by_value
      - .offset:         8
        .size:           8
        .value_kind:     by_value
      - .actual_access:  read_only
        .address_space:  global
        .offset:         16
        .size:           8
        .value_kind:     global_buffer
      - .actual_access:  read_only
        .address_space:  global
        .offset:         24
        .size:           8
        .value_kind:     global_buffer
      - .actual_access:  read_only
        .address_space:  global
        .offset:         32
        .size:           8
        .value_kind:     global_buffer
      - .actual_access:  read_only
        .address_space:  global
        .offset:         40
        .size:           8
        .value_kind:     global_buffer
      - .offset:         48
        .size:           8
        .value_kind:     by_value
      - .address_space:  global
        .offset:         56
        .size:           8
        .value_kind:     global_buffer
      - .offset:         64
        .size:           4
        .value_kind:     by_value
      - .offset:         68
        .size:           1
        .value_kind:     by_value
    .group_segment_fixed_size: 0
    .kernarg_segment_align: 8
    .kernarg_segment_size: 72
    .language:       OpenCL C
    .language_version:
      - 2
      - 0
    .max_flat_workgroup_size: 128
    .name:           _ZN9rocsparseL19gebsrmvn_1xn_kernelILj128ELj6ELj8EfEEvi20rocsparse_direction_NS_24const_host_device_scalarIT2_EEPKiS6_PKS3_S8_S4_PS3_21rocsparse_index_base_b
    .private_segment_fixed_size: 0
    .sgpr_count:     16
    .sgpr_spill_count: 0
    .symbol:         _ZN9rocsparseL19gebsrmvn_1xn_kernelILj128ELj6ELj8EfEEvi20rocsparse_direction_NS_24const_host_device_scalarIT2_EEPKiS6_PKS3_S8_S4_PS3_21rocsparse_index_base_b.kd
    .uniform_work_group_size: 1
    .uses_dynamic_stack: false
    .vgpr_count:     26
    .vgpr_spill_count: 0
    .wavefront_size: 32
    .workgroup_processor_mode: 1
  - .args:
      - .offset:         0
        .size:           4
        .value_kind:     by_value
      - .offset:         4
        .size:           4
        .value_kind:     by_value
      - .offset:         8
        .size:           8
        .value_kind:     by_value
      - .actual_access:  read_only
        .address_space:  global
        .offset:         16
        .size:           8
        .value_kind:     global_buffer
      - .actual_access:  read_only
        .address_space:  global
        .offset:         24
        .size:           8
        .value_kind:     global_buffer
      - .actual_access:  read_only
        .address_space:  global
        .offset:         32
        .size:           8
        .value_kind:     global_buffer
      - .actual_access:  read_only
        .address_space:  global
        .offset:         40
        .size:           8
        .value_kind:     global_buffer
      - .offset:         48
        .size:           8
        .value_kind:     by_value
      - .address_space:  global
        .offset:         56
        .size:           8
        .value_kind:     global_buffer
      - .offset:         64
        .size:           4
        .value_kind:     by_value
      - .offset:         68
        .size:           1
        .value_kind:     by_value
    .group_segment_fixed_size: 0
    .kernarg_segment_align: 8
    .kernarg_segment_size: 72
    .language:       OpenCL C
    .language_version:
      - 2
      - 0
    .max_flat_workgroup_size: 128
    .name:           _ZN9rocsparseL19gebsrmvn_1xn_kernelILj128ELj6ELj16EfEEvi20rocsparse_direction_NS_24const_host_device_scalarIT2_EEPKiS6_PKS3_S8_S4_PS3_21rocsparse_index_base_b
    .private_segment_fixed_size: 0
    .sgpr_count:     16
    .sgpr_spill_count: 0
    .symbol:         _ZN9rocsparseL19gebsrmvn_1xn_kernelILj128ELj6ELj16EfEEvi20rocsparse_direction_NS_24const_host_device_scalarIT2_EEPKiS6_PKS3_S8_S4_PS3_21rocsparse_index_base_b.kd
    .uniform_work_group_size: 1
    .uses_dynamic_stack: false
    .vgpr_count:     26
    .vgpr_spill_count: 0
    .wavefront_size: 32
    .workgroup_processor_mode: 1
  - .args:
      - .offset:         0
        .size:           4
        .value_kind:     by_value
      - .offset:         4
        .size:           4
        .value_kind:     by_value
      - .offset:         8
        .size:           8
        .value_kind:     by_value
      - .actual_access:  read_only
        .address_space:  global
        .offset:         16
        .size:           8
        .value_kind:     global_buffer
      - .actual_access:  read_only
        .address_space:  global
        .offset:         24
        .size:           8
        .value_kind:     global_buffer
      - .actual_access:  read_only
        .address_space:  global
        .offset:         32
        .size:           8
        .value_kind:     global_buffer
      - .actual_access:  read_only
        .address_space:  global
        .offset:         40
        .size:           8
        .value_kind:     global_buffer
      - .offset:         48
        .size:           8
        .value_kind:     by_value
      - .address_space:  global
        .offset:         56
        .size:           8
        .value_kind:     global_buffer
      - .offset:         64
        .size:           4
        .value_kind:     by_value
      - .offset:         68
        .size:           1
        .value_kind:     by_value
    .group_segment_fixed_size: 0
    .kernarg_segment_align: 8
    .kernarg_segment_size: 72
    .language:       OpenCL C
    .language_version:
      - 2
      - 0
    .max_flat_workgroup_size: 128
    .name:           _ZN9rocsparseL19gebsrmvn_1xn_kernelILj128ELj6ELj32EfEEvi20rocsparse_direction_NS_24const_host_device_scalarIT2_EEPKiS6_PKS3_S8_S4_PS3_21rocsparse_index_base_b
    .private_segment_fixed_size: 0
    .sgpr_count:     16
    .sgpr_spill_count: 0
    .symbol:         _ZN9rocsparseL19gebsrmvn_1xn_kernelILj128ELj6ELj32EfEEvi20rocsparse_direction_NS_24const_host_device_scalarIT2_EEPKiS6_PKS3_S8_S4_PS3_21rocsparse_index_base_b.kd
    .uniform_work_group_size: 1
    .uses_dynamic_stack: false
    .vgpr_count:     26
    .vgpr_spill_count: 0
    .wavefront_size: 32
    .workgroup_processor_mode: 1
  - .args:
      - .offset:         0
        .size:           4
        .value_kind:     by_value
      - .offset:         4
        .size:           4
        .value_kind:     by_value
      - .offset:         8
        .size:           8
        .value_kind:     by_value
      - .actual_access:  read_only
        .address_space:  global
        .offset:         16
        .size:           8
        .value_kind:     global_buffer
      - .actual_access:  read_only
        .address_space:  global
        .offset:         24
        .size:           8
        .value_kind:     global_buffer
      - .actual_access:  read_only
        .address_space:  global
        .offset:         32
        .size:           8
        .value_kind:     global_buffer
      - .actual_access:  read_only
        .address_space:  global
        .offset:         40
        .size:           8
        .value_kind:     global_buffer
      - .offset:         48
        .size:           8
        .value_kind:     by_value
      - .address_space:  global
        .offset:         56
        .size:           8
        .value_kind:     global_buffer
      - .offset:         64
        .size:           4
        .value_kind:     by_value
      - .offset:         68
        .size:           1
        .value_kind:     by_value
    .group_segment_fixed_size: 0
    .kernarg_segment_align: 8
    .kernarg_segment_size: 72
    .language:       OpenCL C
    .language_version:
      - 2
      - 0
    .max_flat_workgroup_size: 128
    .name:           _ZN9rocsparseL19gebsrmvn_1xn_kernelILj128ELj6ELj64EfEEvi20rocsparse_direction_NS_24const_host_device_scalarIT2_EEPKiS6_PKS3_S8_S4_PS3_21rocsparse_index_base_b
    .private_segment_fixed_size: 0
    .sgpr_count:     16
    .sgpr_spill_count: 0
    .symbol:         _ZN9rocsparseL19gebsrmvn_1xn_kernelILj128ELj6ELj64EfEEvi20rocsparse_direction_NS_24const_host_device_scalarIT2_EEPKiS6_PKS3_S8_S4_PS3_21rocsparse_index_base_b.kd
    .uniform_work_group_size: 1
    .uses_dynamic_stack: false
    .vgpr_count:     26
    .vgpr_spill_count: 0
    .wavefront_size: 32
    .workgroup_processor_mode: 1
  - .args:
      - .offset:         0
        .size:           4
        .value_kind:     by_value
      - .offset:         4
        .size:           4
        .value_kind:     by_value
      - .offset:         8
        .size:           8
        .value_kind:     by_value
      - .actual_access:  read_only
        .address_space:  global
        .offset:         16
        .size:           8
        .value_kind:     global_buffer
      - .actual_access:  read_only
        .address_space:  global
        .offset:         24
        .size:           8
        .value_kind:     global_buffer
      - .actual_access:  read_only
        .address_space:  global
        .offset:         32
        .size:           8
        .value_kind:     global_buffer
      - .actual_access:  read_only
        .address_space:  global
        .offset:         40
        .size:           8
        .value_kind:     global_buffer
      - .offset:         48
        .size:           8
        .value_kind:     by_value
      - .address_space:  global
        .offset:         56
        .size:           8
        .value_kind:     global_buffer
      - .offset:         64
        .size:           4
        .value_kind:     by_value
      - .offset:         68
        .size:           1
        .value_kind:     by_value
    .group_segment_fixed_size: 0
    .kernarg_segment_align: 8
    .kernarg_segment_size: 72
    .language:       OpenCL C
    .language_version:
      - 2
      - 0
    .max_flat_workgroup_size: 128
    .name:           _ZN9rocsparseL19gebsrmvn_1xn_kernelILj128ELj7ELj4EfEEvi20rocsparse_direction_NS_24const_host_device_scalarIT2_EEPKiS6_PKS3_S8_S4_PS3_21rocsparse_index_base_b
    .private_segment_fixed_size: 0
    .sgpr_count:     16
    .sgpr_spill_count: 0
    .symbol:         _ZN9rocsparseL19gebsrmvn_1xn_kernelILj128ELj7ELj4EfEEvi20rocsparse_direction_NS_24const_host_device_scalarIT2_EEPKiS6_PKS3_S8_S4_PS3_21rocsparse_index_base_b.kd
    .uniform_work_group_size: 1
    .uses_dynamic_stack: false
    .vgpr_count:     30
    .vgpr_spill_count: 0
    .wavefront_size: 32
    .workgroup_processor_mode: 1
  - .args:
      - .offset:         0
        .size:           4
        .value_kind:     by_value
      - .offset:         4
        .size:           4
        .value_kind:     by_value
      - .offset:         8
        .size:           8
        .value_kind:     by_value
      - .actual_access:  read_only
        .address_space:  global
        .offset:         16
        .size:           8
        .value_kind:     global_buffer
      - .actual_access:  read_only
        .address_space:  global
        .offset:         24
        .size:           8
        .value_kind:     global_buffer
      - .actual_access:  read_only
        .address_space:  global
        .offset:         32
        .size:           8
        .value_kind:     global_buffer
      - .actual_access:  read_only
        .address_space:  global
        .offset:         40
        .size:           8
        .value_kind:     global_buffer
      - .offset:         48
        .size:           8
        .value_kind:     by_value
      - .address_space:  global
        .offset:         56
        .size:           8
        .value_kind:     global_buffer
      - .offset:         64
        .size:           4
        .value_kind:     by_value
      - .offset:         68
        .size:           1
        .value_kind:     by_value
    .group_segment_fixed_size: 0
    .kernarg_segment_align: 8
    .kernarg_segment_size: 72
    .language:       OpenCL C
    .language_version:
      - 2
      - 0
    .max_flat_workgroup_size: 128
    .name:           _ZN9rocsparseL19gebsrmvn_1xn_kernelILj128ELj7ELj8EfEEvi20rocsparse_direction_NS_24const_host_device_scalarIT2_EEPKiS6_PKS3_S8_S4_PS3_21rocsparse_index_base_b
    .private_segment_fixed_size: 0
    .sgpr_count:     16
    .sgpr_spill_count: 0
    .symbol:         _ZN9rocsparseL19gebsrmvn_1xn_kernelILj128ELj7ELj8EfEEvi20rocsparse_direction_NS_24const_host_device_scalarIT2_EEPKiS6_PKS3_S8_S4_PS3_21rocsparse_index_base_b.kd
    .uniform_work_group_size: 1
    .uses_dynamic_stack: false
    .vgpr_count:     30
    .vgpr_spill_count: 0
    .wavefront_size: 32
    .workgroup_processor_mode: 1
  - .args:
      - .offset:         0
        .size:           4
        .value_kind:     by_value
      - .offset:         4
        .size:           4
        .value_kind:     by_value
      - .offset:         8
        .size:           8
        .value_kind:     by_value
      - .actual_access:  read_only
        .address_space:  global
        .offset:         16
        .size:           8
        .value_kind:     global_buffer
      - .actual_access:  read_only
        .address_space:  global
        .offset:         24
        .size:           8
        .value_kind:     global_buffer
      - .actual_access:  read_only
        .address_space:  global
        .offset:         32
        .size:           8
        .value_kind:     global_buffer
      - .actual_access:  read_only
        .address_space:  global
        .offset:         40
        .size:           8
        .value_kind:     global_buffer
      - .offset:         48
        .size:           8
        .value_kind:     by_value
      - .address_space:  global
        .offset:         56
        .size:           8
        .value_kind:     global_buffer
      - .offset:         64
        .size:           4
        .value_kind:     by_value
      - .offset:         68
        .size:           1
        .value_kind:     by_value
    .group_segment_fixed_size: 0
    .kernarg_segment_align: 8
    .kernarg_segment_size: 72
    .language:       OpenCL C
    .language_version:
      - 2
      - 0
    .max_flat_workgroup_size: 128
    .name:           _ZN9rocsparseL19gebsrmvn_1xn_kernelILj128ELj7ELj16EfEEvi20rocsparse_direction_NS_24const_host_device_scalarIT2_EEPKiS6_PKS3_S8_S4_PS3_21rocsparse_index_base_b
    .private_segment_fixed_size: 0
    .sgpr_count:     16
    .sgpr_spill_count: 0
    .symbol:         _ZN9rocsparseL19gebsrmvn_1xn_kernelILj128ELj7ELj16EfEEvi20rocsparse_direction_NS_24const_host_device_scalarIT2_EEPKiS6_PKS3_S8_S4_PS3_21rocsparse_index_base_b.kd
    .uniform_work_group_size: 1
    .uses_dynamic_stack: false
    .vgpr_count:     30
    .vgpr_spill_count: 0
    .wavefront_size: 32
    .workgroup_processor_mode: 1
  - .args:
      - .offset:         0
        .size:           4
        .value_kind:     by_value
      - .offset:         4
        .size:           4
        .value_kind:     by_value
      - .offset:         8
        .size:           8
        .value_kind:     by_value
      - .actual_access:  read_only
        .address_space:  global
        .offset:         16
        .size:           8
        .value_kind:     global_buffer
      - .actual_access:  read_only
        .address_space:  global
        .offset:         24
        .size:           8
        .value_kind:     global_buffer
      - .actual_access:  read_only
        .address_space:  global
        .offset:         32
        .size:           8
        .value_kind:     global_buffer
      - .actual_access:  read_only
        .address_space:  global
        .offset:         40
        .size:           8
        .value_kind:     global_buffer
      - .offset:         48
        .size:           8
        .value_kind:     by_value
      - .address_space:  global
        .offset:         56
        .size:           8
        .value_kind:     global_buffer
      - .offset:         64
        .size:           4
        .value_kind:     by_value
      - .offset:         68
        .size:           1
        .value_kind:     by_value
    .group_segment_fixed_size: 0
    .kernarg_segment_align: 8
    .kernarg_segment_size: 72
    .language:       OpenCL C
    .language_version:
      - 2
      - 0
    .max_flat_workgroup_size: 128
    .name:           _ZN9rocsparseL19gebsrmvn_1xn_kernelILj128ELj7ELj32EfEEvi20rocsparse_direction_NS_24const_host_device_scalarIT2_EEPKiS6_PKS3_S8_S4_PS3_21rocsparse_index_base_b
    .private_segment_fixed_size: 0
    .sgpr_count:     16
    .sgpr_spill_count: 0
    .symbol:         _ZN9rocsparseL19gebsrmvn_1xn_kernelILj128ELj7ELj32EfEEvi20rocsparse_direction_NS_24const_host_device_scalarIT2_EEPKiS6_PKS3_S8_S4_PS3_21rocsparse_index_base_b.kd
    .uniform_work_group_size: 1
    .uses_dynamic_stack: false
    .vgpr_count:     30
    .vgpr_spill_count: 0
    .wavefront_size: 32
    .workgroup_processor_mode: 1
  - .args:
      - .offset:         0
        .size:           4
        .value_kind:     by_value
      - .offset:         4
        .size:           4
        .value_kind:     by_value
      - .offset:         8
        .size:           8
        .value_kind:     by_value
      - .actual_access:  read_only
        .address_space:  global
        .offset:         16
        .size:           8
        .value_kind:     global_buffer
      - .actual_access:  read_only
        .address_space:  global
        .offset:         24
        .size:           8
        .value_kind:     global_buffer
      - .actual_access:  read_only
        .address_space:  global
        .offset:         32
        .size:           8
        .value_kind:     global_buffer
      - .actual_access:  read_only
        .address_space:  global
        .offset:         40
        .size:           8
        .value_kind:     global_buffer
      - .offset:         48
        .size:           8
        .value_kind:     by_value
      - .address_space:  global
        .offset:         56
        .size:           8
        .value_kind:     global_buffer
      - .offset:         64
        .size:           4
        .value_kind:     by_value
      - .offset:         68
        .size:           1
        .value_kind:     by_value
    .group_segment_fixed_size: 0
    .kernarg_segment_align: 8
    .kernarg_segment_size: 72
    .language:       OpenCL C
    .language_version:
      - 2
      - 0
    .max_flat_workgroup_size: 128
    .name:           _ZN9rocsparseL19gebsrmvn_1xn_kernelILj128ELj7ELj64EfEEvi20rocsparse_direction_NS_24const_host_device_scalarIT2_EEPKiS6_PKS3_S8_S4_PS3_21rocsparse_index_base_b
    .private_segment_fixed_size: 0
    .sgpr_count:     16
    .sgpr_spill_count: 0
    .symbol:         _ZN9rocsparseL19gebsrmvn_1xn_kernelILj128ELj7ELj64EfEEvi20rocsparse_direction_NS_24const_host_device_scalarIT2_EEPKiS6_PKS3_S8_S4_PS3_21rocsparse_index_base_b.kd
    .uniform_work_group_size: 1
    .uses_dynamic_stack: false
    .vgpr_count:     30
    .vgpr_spill_count: 0
    .wavefront_size: 32
    .workgroup_processor_mode: 1
  - .args:
      - .offset:         0
        .size:           4
        .value_kind:     by_value
      - .offset:         4
        .size:           4
        .value_kind:     by_value
      - .offset:         8
        .size:           8
        .value_kind:     by_value
      - .actual_access:  read_only
        .address_space:  global
        .offset:         16
        .size:           8
        .value_kind:     global_buffer
      - .actual_access:  read_only
        .address_space:  global
        .offset:         24
        .size:           8
        .value_kind:     global_buffer
      - .actual_access:  read_only
        .address_space:  global
        .offset:         32
        .size:           8
        .value_kind:     global_buffer
      - .actual_access:  read_only
        .address_space:  global
        .offset:         40
        .size:           8
        .value_kind:     global_buffer
      - .offset:         48
        .size:           8
        .value_kind:     by_value
      - .address_space:  global
        .offset:         56
        .size:           8
        .value_kind:     global_buffer
      - .offset:         64
        .size:           4
        .value_kind:     by_value
      - .offset:         68
        .size:           1
        .value_kind:     by_value
    .group_segment_fixed_size: 0
    .kernarg_segment_align: 8
    .kernarg_segment_size: 72
    .language:       OpenCL C
    .language_version:
      - 2
      - 0
    .max_flat_workgroup_size: 128
    .name:           _ZN9rocsparseL19gebsrmvn_1xn_kernelILj128ELj8ELj4EfEEvi20rocsparse_direction_NS_24const_host_device_scalarIT2_EEPKiS6_PKS3_S8_S4_PS3_21rocsparse_index_base_b
    .private_segment_fixed_size: 0
    .sgpr_count:     16
    .sgpr_spill_count: 0
    .symbol:         _ZN9rocsparseL19gebsrmvn_1xn_kernelILj128ELj8ELj4EfEEvi20rocsparse_direction_NS_24const_host_device_scalarIT2_EEPKiS6_PKS3_S8_S4_PS3_21rocsparse_index_base_b.kd
    .uniform_work_group_size: 1
    .uses_dynamic_stack: false
    .vgpr_count:     25
    .vgpr_spill_count: 0
    .wavefront_size: 32
    .workgroup_processor_mode: 1
  - .args:
      - .offset:         0
        .size:           4
        .value_kind:     by_value
      - .offset:         4
        .size:           4
        .value_kind:     by_value
      - .offset:         8
        .size:           8
        .value_kind:     by_value
      - .actual_access:  read_only
        .address_space:  global
        .offset:         16
        .size:           8
        .value_kind:     global_buffer
      - .actual_access:  read_only
        .address_space:  global
        .offset:         24
        .size:           8
        .value_kind:     global_buffer
      - .actual_access:  read_only
        .address_space:  global
        .offset:         32
        .size:           8
        .value_kind:     global_buffer
      - .actual_access:  read_only
        .address_space:  global
        .offset:         40
        .size:           8
        .value_kind:     global_buffer
      - .offset:         48
        .size:           8
        .value_kind:     by_value
      - .address_space:  global
        .offset:         56
        .size:           8
        .value_kind:     global_buffer
      - .offset:         64
        .size:           4
        .value_kind:     by_value
      - .offset:         68
        .size:           1
        .value_kind:     by_value
    .group_segment_fixed_size: 0
    .kernarg_segment_align: 8
    .kernarg_segment_size: 72
    .language:       OpenCL C
    .language_version:
      - 2
      - 0
    .max_flat_workgroup_size: 128
    .name:           _ZN9rocsparseL19gebsrmvn_1xn_kernelILj128ELj8ELj8EfEEvi20rocsparse_direction_NS_24const_host_device_scalarIT2_EEPKiS6_PKS3_S8_S4_PS3_21rocsparse_index_base_b
    .private_segment_fixed_size: 0
    .sgpr_count:     16
    .sgpr_spill_count: 0
    .symbol:         _ZN9rocsparseL19gebsrmvn_1xn_kernelILj128ELj8ELj8EfEEvi20rocsparse_direction_NS_24const_host_device_scalarIT2_EEPKiS6_PKS3_S8_S4_PS3_21rocsparse_index_base_b.kd
    .uniform_work_group_size: 1
    .uses_dynamic_stack: false
    .vgpr_count:     25
    .vgpr_spill_count: 0
    .wavefront_size: 32
    .workgroup_processor_mode: 1
  - .args:
      - .offset:         0
        .size:           4
        .value_kind:     by_value
      - .offset:         4
        .size:           4
        .value_kind:     by_value
      - .offset:         8
        .size:           8
        .value_kind:     by_value
      - .actual_access:  read_only
        .address_space:  global
        .offset:         16
        .size:           8
        .value_kind:     global_buffer
      - .actual_access:  read_only
        .address_space:  global
        .offset:         24
        .size:           8
        .value_kind:     global_buffer
      - .actual_access:  read_only
        .address_space:  global
        .offset:         32
        .size:           8
        .value_kind:     global_buffer
      - .actual_access:  read_only
        .address_space:  global
        .offset:         40
        .size:           8
        .value_kind:     global_buffer
      - .offset:         48
        .size:           8
        .value_kind:     by_value
      - .address_space:  global
        .offset:         56
        .size:           8
        .value_kind:     global_buffer
      - .offset:         64
        .size:           4
        .value_kind:     by_value
      - .offset:         68
        .size:           1
        .value_kind:     by_value
    .group_segment_fixed_size: 0
    .kernarg_segment_align: 8
    .kernarg_segment_size: 72
    .language:       OpenCL C
    .language_version:
      - 2
      - 0
    .max_flat_workgroup_size: 128
    .name:           _ZN9rocsparseL19gebsrmvn_1xn_kernelILj128ELj8ELj16EfEEvi20rocsparse_direction_NS_24const_host_device_scalarIT2_EEPKiS6_PKS3_S8_S4_PS3_21rocsparse_index_base_b
    .private_segment_fixed_size: 0
    .sgpr_count:     16
    .sgpr_spill_count: 0
    .symbol:         _ZN9rocsparseL19gebsrmvn_1xn_kernelILj128ELj8ELj16EfEEvi20rocsparse_direction_NS_24const_host_device_scalarIT2_EEPKiS6_PKS3_S8_S4_PS3_21rocsparse_index_base_b.kd
    .uniform_work_group_size: 1
    .uses_dynamic_stack: false
    .vgpr_count:     25
    .vgpr_spill_count: 0
    .wavefront_size: 32
    .workgroup_processor_mode: 1
  - .args:
      - .offset:         0
        .size:           4
        .value_kind:     by_value
      - .offset:         4
        .size:           4
        .value_kind:     by_value
      - .offset:         8
        .size:           8
        .value_kind:     by_value
      - .actual_access:  read_only
        .address_space:  global
        .offset:         16
        .size:           8
        .value_kind:     global_buffer
      - .actual_access:  read_only
        .address_space:  global
        .offset:         24
        .size:           8
        .value_kind:     global_buffer
      - .actual_access:  read_only
        .address_space:  global
        .offset:         32
        .size:           8
        .value_kind:     global_buffer
      - .actual_access:  read_only
        .address_space:  global
        .offset:         40
        .size:           8
        .value_kind:     global_buffer
      - .offset:         48
        .size:           8
        .value_kind:     by_value
      - .address_space:  global
        .offset:         56
        .size:           8
        .value_kind:     global_buffer
      - .offset:         64
        .size:           4
        .value_kind:     by_value
      - .offset:         68
        .size:           1
        .value_kind:     by_value
    .group_segment_fixed_size: 0
    .kernarg_segment_align: 8
    .kernarg_segment_size: 72
    .language:       OpenCL C
    .language_version:
      - 2
      - 0
    .max_flat_workgroup_size: 128
    .name:           _ZN9rocsparseL19gebsrmvn_1xn_kernelILj128ELj8ELj32EfEEvi20rocsparse_direction_NS_24const_host_device_scalarIT2_EEPKiS6_PKS3_S8_S4_PS3_21rocsparse_index_base_b
    .private_segment_fixed_size: 0
    .sgpr_count:     16
    .sgpr_spill_count: 0
    .symbol:         _ZN9rocsparseL19gebsrmvn_1xn_kernelILj128ELj8ELj32EfEEvi20rocsparse_direction_NS_24const_host_device_scalarIT2_EEPKiS6_PKS3_S8_S4_PS3_21rocsparse_index_base_b.kd
    .uniform_work_group_size: 1
    .uses_dynamic_stack: false
    .vgpr_count:     25
    .vgpr_spill_count: 0
    .wavefront_size: 32
    .workgroup_processor_mode: 1
  - .args:
      - .offset:         0
        .size:           4
        .value_kind:     by_value
      - .offset:         4
        .size:           4
        .value_kind:     by_value
      - .offset:         8
        .size:           8
        .value_kind:     by_value
      - .actual_access:  read_only
        .address_space:  global
        .offset:         16
        .size:           8
        .value_kind:     global_buffer
      - .actual_access:  read_only
        .address_space:  global
        .offset:         24
        .size:           8
        .value_kind:     global_buffer
      - .actual_access:  read_only
        .address_space:  global
        .offset:         32
        .size:           8
        .value_kind:     global_buffer
      - .actual_access:  read_only
        .address_space:  global
        .offset:         40
        .size:           8
        .value_kind:     global_buffer
      - .offset:         48
        .size:           8
        .value_kind:     by_value
      - .address_space:  global
        .offset:         56
        .size:           8
        .value_kind:     global_buffer
      - .offset:         64
        .size:           4
        .value_kind:     by_value
      - .offset:         68
        .size:           1
        .value_kind:     by_value
    .group_segment_fixed_size: 0
    .kernarg_segment_align: 8
    .kernarg_segment_size: 72
    .language:       OpenCL C
    .language_version:
      - 2
      - 0
    .max_flat_workgroup_size: 128
    .name:           _ZN9rocsparseL19gebsrmvn_1xn_kernelILj128ELj8ELj64EfEEvi20rocsparse_direction_NS_24const_host_device_scalarIT2_EEPKiS6_PKS3_S8_S4_PS3_21rocsparse_index_base_b
    .private_segment_fixed_size: 0
    .sgpr_count:     16
    .sgpr_spill_count: 0
    .symbol:         _ZN9rocsparseL19gebsrmvn_1xn_kernelILj128ELj8ELj64EfEEvi20rocsparse_direction_NS_24const_host_device_scalarIT2_EEPKiS6_PKS3_S8_S4_PS3_21rocsparse_index_base_b.kd
    .uniform_work_group_size: 1
    .uses_dynamic_stack: false
    .vgpr_count:     25
    .vgpr_spill_count: 0
    .wavefront_size: 32
    .workgroup_processor_mode: 1
  - .args:
      - .offset:         0
        .size:           4
        .value_kind:     by_value
      - .offset:         4
        .size:           4
        .value_kind:     by_value
      - .offset:         8
        .size:           8
        .value_kind:     by_value
      - .actual_access:  read_only
        .address_space:  global
        .offset:         16
        .size:           8
        .value_kind:     global_buffer
      - .actual_access:  read_only
        .address_space:  global
        .offset:         24
        .size:           8
        .value_kind:     global_buffer
      - .actual_access:  read_only
        .address_space:  global
        .offset:         32
        .size:           8
        .value_kind:     global_buffer
      - .actual_access:  read_only
        .address_space:  global
        .offset:         40
        .size:           8
        .value_kind:     global_buffer
      - .offset:         48
        .size:           8
        .value_kind:     by_value
      - .address_space:  global
        .offset:         56
        .size:           8
        .value_kind:     global_buffer
      - .offset:         64
        .size:           4
        .value_kind:     by_value
      - .offset:         68
        .size:           1
        .value_kind:     by_value
    .group_segment_fixed_size: 0
    .kernarg_segment_align: 8
    .kernarg_segment_size: 72
    .language:       OpenCL C
    .language_version:
      - 2
      - 0
    .max_flat_workgroup_size: 128
    .name:           _ZN9rocsparseL19gebsrmvn_1xn_kernelILj128ELj9ELj4EfEEvi20rocsparse_direction_NS_24const_host_device_scalarIT2_EEPKiS6_PKS3_S8_S4_PS3_21rocsparse_index_base_b
    .private_segment_fixed_size: 0
    .sgpr_count:     16
    .sgpr_spill_count: 0
    .symbol:         _ZN9rocsparseL19gebsrmvn_1xn_kernelILj128ELj9ELj4EfEEvi20rocsparse_direction_NS_24const_host_device_scalarIT2_EEPKiS6_PKS3_S8_S4_PS3_21rocsparse_index_base_b.kd
    .uniform_work_group_size: 1
    .uses_dynamic_stack: false
    .vgpr_count:     34
    .vgpr_spill_count: 0
    .wavefront_size: 32
    .workgroup_processor_mode: 1
  - .args:
      - .offset:         0
        .size:           4
        .value_kind:     by_value
      - .offset:         4
        .size:           4
        .value_kind:     by_value
      - .offset:         8
        .size:           8
        .value_kind:     by_value
      - .actual_access:  read_only
        .address_space:  global
        .offset:         16
        .size:           8
        .value_kind:     global_buffer
      - .actual_access:  read_only
        .address_space:  global
        .offset:         24
        .size:           8
        .value_kind:     global_buffer
      - .actual_access:  read_only
        .address_space:  global
        .offset:         32
        .size:           8
        .value_kind:     global_buffer
      - .actual_access:  read_only
        .address_space:  global
        .offset:         40
        .size:           8
        .value_kind:     global_buffer
      - .offset:         48
        .size:           8
        .value_kind:     by_value
      - .address_space:  global
        .offset:         56
        .size:           8
        .value_kind:     global_buffer
      - .offset:         64
        .size:           4
        .value_kind:     by_value
      - .offset:         68
        .size:           1
        .value_kind:     by_value
    .group_segment_fixed_size: 0
    .kernarg_segment_align: 8
    .kernarg_segment_size: 72
    .language:       OpenCL C
    .language_version:
      - 2
      - 0
    .max_flat_workgroup_size: 128
    .name:           _ZN9rocsparseL19gebsrmvn_1xn_kernelILj128ELj9ELj8EfEEvi20rocsparse_direction_NS_24const_host_device_scalarIT2_EEPKiS6_PKS3_S8_S4_PS3_21rocsparse_index_base_b
    .private_segment_fixed_size: 0
    .sgpr_count:     16
    .sgpr_spill_count: 0
    .symbol:         _ZN9rocsparseL19gebsrmvn_1xn_kernelILj128ELj9ELj8EfEEvi20rocsparse_direction_NS_24const_host_device_scalarIT2_EEPKiS6_PKS3_S8_S4_PS3_21rocsparse_index_base_b.kd
    .uniform_work_group_size: 1
    .uses_dynamic_stack: false
    .vgpr_count:     34
    .vgpr_spill_count: 0
    .wavefront_size: 32
    .workgroup_processor_mode: 1
  - .args:
      - .offset:         0
        .size:           4
        .value_kind:     by_value
      - .offset:         4
        .size:           4
        .value_kind:     by_value
      - .offset:         8
        .size:           8
        .value_kind:     by_value
      - .actual_access:  read_only
        .address_space:  global
        .offset:         16
        .size:           8
        .value_kind:     global_buffer
      - .actual_access:  read_only
        .address_space:  global
        .offset:         24
        .size:           8
        .value_kind:     global_buffer
      - .actual_access:  read_only
        .address_space:  global
        .offset:         32
        .size:           8
        .value_kind:     global_buffer
      - .actual_access:  read_only
        .address_space:  global
        .offset:         40
        .size:           8
        .value_kind:     global_buffer
      - .offset:         48
        .size:           8
        .value_kind:     by_value
      - .address_space:  global
        .offset:         56
        .size:           8
        .value_kind:     global_buffer
      - .offset:         64
        .size:           4
        .value_kind:     by_value
      - .offset:         68
        .size:           1
        .value_kind:     by_value
    .group_segment_fixed_size: 0
    .kernarg_segment_align: 8
    .kernarg_segment_size: 72
    .language:       OpenCL C
    .language_version:
      - 2
      - 0
    .max_flat_workgroup_size: 128
    .name:           _ZN9rocsparseL19gebsrmvn_1xn_kernelILj128ELj9ELj16EfEEvi20rocsparse_direction_NS_24const_host_device_scalarIT2_EEPKiS6_PKS3_S8_S4_PS3_21rocsparse_index_base_b
    .private_segment_fixed_size: 0
    .sgpr_count:     16
    .sgpr_spill_count: 0
    .symbol:         _ZN9rocsparseL19gebsrmvn_1xn_kernelILj128ELj9ELj16EfEEvi20rocsparse_direction_NS_24const_host_device_scalarIT2_EEPKiS6_PKS3_S8_S4_PS3_21rocsparse_index_base_b.kd
    .uniform_work_group_size: 1
    .uses_dynamic_stack: false
    .vgpr_count:     34
    .vgpr_spill_count: 0
    .wavefront_size: 32
    .workgroup_processor_mode: 1
  - .args:
      - .offset:         0
        .size:           4
        .value_kind:     by_value
      - .offset:         4
        .size:           4
        .value_kind:     by_value
      - .offset:         8
        .size:           8
        .value_kind:     by_value
      - .actual_access:  read_only
        .address_space:  global
        .offset:         16
        .size:           8
        .value_kind:     global_buffer
      - .actual_access:  read_only
        .address_space:  global
        .offset:         24
        .size:           8
        .value_kind:     global_buffer
      - .actual_access:  read_only
        .address_space:  global
        .offset:         32
        .size:           8
        .value_kind:     global_buffer
      - .actual_access:  read_only
        .address_space:  global
        .offset:         40
        .size:           8
        .value_kind:     global_buffer
      - .offset:         48
        .size:           8
        .value_kind:     by_value
      - .address_space:  global
        .offset:         56
        .size:           8
        .value_kind:     global_buffer
      - .offset:         64
        .size:           4
        .value_kind:     by_value
      - .offset:         68
        .size:           1
        .value_kind:     by_value
    .group_segment_fixed_size: 0
    .kernarg_segment_align: 8
    .kernarg_segment_size: 72
    .language:       OpenCL C
    .language_version:
      - 2
      - 0
    .max_flat_workgroup_size: 128
    .name:           _ZN9rocsparseL19gebsrmvn_1xn_kernelILj128ELj9ELj32EfEEvi20rocsparse_direction_NS_24const_host_device_scalarIT2_EEPKiS6_PKS3_S8_S4_PS3_21rocsparse_index_base_b
    .private_segment_fixed_size: 0
    .sgpr_count:     16
    .sgpr_spill_count: 0
    .symbol:         _ZN9rocsparseL19gebsrmvn_1xn_kernelILj128ELj9ELj32EfEEvi20rocsparse_direction_NS_24const_host_device_scalarIT2_EEPKiS6_PKS3_S8_S4_PS3_21rocsparse_index_base_b.kd
    .uniform_work_group_size: 1
    .uses_dynamic_stack: false
    .vgpr_count:     34
    .vgpr_spill_count: 0
    .wavefront_size: 32
    .workgroup_processor_mode: 1
  - .args:
      - .offset:         0
        .size:           4
        .value_kind:     by_value
      - .offset:         4
        .size:           4
        .value_kind:     by_value
      - .offset:         8
        .size:           8
        .value_kind:     by_value
      - .actual_access:  read_only
        .address_space:  global
        .offset:         16
        .size:           8
        .value_kind:     global_buffer
      - .actual_access:  read_only
        .address_space:  global
        .offset:         24
        .size:           8
        .value_kind:     global_buffer
      - .actual_access:  read_only
        .address_space:  global
        .offset:         32
        .size:           8
        .value_kind:     global_buffer
      - .actual_access:  read_only
        .address_space:  global
        .offset:         40
        .size:           8
        .value_kind:     global_buffer
      - .offset:         48
        .size:           8
        .value_kind:     by_value
      - .address_space:  global
        .offset:         56
        .size:           8
        .value_kind:     global_buffer
      - .offset:         64
        .size:           4
        .value_kind:     by_value
      - .offset:         68
        .size:           1
        .value_kind:     by_value
    .group_segment_fixed_size: 0
    .kernarg_segment_align: 8
    .kernarg_segment_size: 72
    .language:       OpenCL C
    .language_version:
      - 2
      - 0
    .max_flat_workgroup_size: 128
    .name:           _ZN9rocsparseL19gebsrmvn_1xn_kernelILj128ELj9ELj64EfEEvi20rocsparse_direction_NS_24const_host_device_scalarIT2_EEPKiS6_PKS3_S8_S4_PS3_21rocsparse_index_base_b
    .private_segment_fixed_size: 0
    .sgpr_count:     16
    .sgpr_spill_count: 0
    .symbol:         _ZN9rocsparseL19gebsrmvn_1xn_kernelILj128ELj9ELj64EfEEvi20rocsparse_direction_NS_24const_host_device_scalarIT2_EEPKiS6_PKS3_S8_S4_PS3_21rocsparse_index_base_b.kd
    .uniform_work_group_size: 1
    .uses_dynamic_stack: false
    .vgpr_count:     34
    .vgpr_spill_count: 0
    .wavefront_size: 32
    .workgroup_processor_mode: 1
  - .args:
      - .offset:         0
        .size:           4
        .value_kind:     by_value
      - .offset:         4
        .size:           4
        .value_kind:     by_value
      - .offset:         8
        .size:           8
        .value_kind:     by_value
      - .actual_access:  read_only
        .address_space:  global
        .offset:         16
        .size:           8
        .value_kind:     global_buffer
      - .actual_access:  read_only
        .address_space:  global
        .offset:         24
        .size:           8
        .value_kind:     global_buffer
      - .actual_access:  read_only
        .address_space:  global
        .offset:         32
        .size:           8
        .value_kind:     global_buffer
      - .actual_access:  read_only
        .address_space:  global
        .offset:         40
        .size:           8
        .value_kind:     global_buffer
      - .offset:         48
        .size:           8
        .value_kind:     by_value
      - .address_space:  global
        .offset:         56
        .size:           8
        .value_kind:     global_buffer
      - .offset:         64
        .size:           4
        .value_kind:     by_value
      - .offset:         68
        .size:           1
        .value_kind:     by_value
    .group_segment_fixed_size: 0
    .kernarg_segment_align: 8
    .kernarg_segment_size: 72
    .language:       OpenCL C
    .language_version:
      - 2
      - 0
    .max_flat_workgroup_size: 128
    .name:           _ZN9rocsparseL19gebsrmvn_1xn_kernelILj128ELj10ELj4EfEEvi20rocsparse_direction_NS_24const_host_device_scalarIT2_EEPKiS6_PKS3_S8_S4_PS3_21rocsparse_index_base_b
    .private_segment_fixed_size: 0
    .sgpr_count:     16
    .sgpr_spill_count: 0
    .symbol:         _ZN9rocsparseL19gebsrmvn_1xn_kernelILj128ELj10ELj4EfEEvi20rocsparse_direction_NS_24const_host_device_scalarIT2_EEPKiS6_PKS3_S8_S4_PS3_21rocsparse_index_base_b.kd
    .uniform_work_group_size: 1
    .uses_dynamic_stack: false
    .vgpr_count:     33
    .vgpr_spill_count: 0
    .wavefront_size: 32
    .workgroup_processor_mode: 1
  - .args:
      - .offset:         0
        .size:           4
        .value_kind:     by_value
      - .offset:         4
        .size:           4
        .value_kind:     by_value
      - .offset:         8
        .size:           8
        .value_kind:     by_value
      - .actual_access:  read_only
        .address_space:  global
        .offset:         16
        .size:           8
        .value_kind:     global_buffer
      - .actual_access:  read_only
        .address_space:  global
        .offset:         24
        .size:           8
        .value_kind:     global_buffer
      - .actual_access:  read_only
        .address_space:  global
        .offset:         32
        .size:           8
        .value_kind:     global_buffer
      - .actual_access:  read_only
        .address_space:  global
        .offset:         40
        .size:           8
        .value_kind:     global_buffer
      - .offset:         48
        .size:           8
        .value_kind:     by_value
      - .address_space:  global
        .offset:         56
        .size:           8
        .value_kind:     global_buffer
      - .offset:         64
        .size:           4
        .value_kind:     by_value
      - .offset:         68
        .size:           1
        .value_kind:     by_value
    .group_segment_fixed_size: 0
    .kernarg_segment_align: 8
    .kernarg_segment_size: 72
    .language:       OpenCL C
    .language_version:
      - 2
      - 0
    .max_flat_workgroup_size: 128
    .name:           _ZN9rocsparseL19gebsrmvn_1xn_kernelILj128ELj10ELj8EfEEvi20rocsparse_direction_NS_24const_host_device_scalarIT2_EEPKiS6_PKS3_S8_S4_PS3_21rocsparse_index_base_b
    .private_segment_fixed_size: 0
    .sgpr_count:     16
    .sgpr_spill_count: 0
    .symbol:         _ZN9rocsparseL19gebsrmvn_1xn_kernelILj128ELj10ELj8EfEEvi20rocsparse_direction_NS_24const_host_device_scalarIT2_EEPKiS6_PKS3_S8_S4_PS3_21rocsparse_index_base_b.kd
    .uniform_work_group_size: 1
    .uses_dynamic_stack: false
    .vgpr_count:     33
    .vgpr_spill_count: 0
    .wavefront_size: 32
    .workgroup_processor_mode: 1
  - .args:
      - .offset:         0
        .size:           4
        .value_kind:     by_value
      - .offset:         4
        .size:           4
        .value_kind:     by_value
      - .offset:         8
        .size:           8
        .value_kind:     by_value
      - .actual_access:  read_only
        .address_space:  global
        .offset:         16
        .size:           8
        .value_kind:     global_buffer
      - .actual_access:  read_only
        .address_space:  global
        .offset:         24
        .size:           8
        .value_kind:     global_buffer
      - .actual_access:  read_only
        .address_space:  global
        .offset:         32
        .size:           8
        .value_kind:     global_buffer
      - .actual_access:  read_only
        .address_space:  global
        .offset:         40
        .size:           8
        .value_kind:     global_buffer
      - .offset:         48
        .size:           8
        .value_kind:     by_value
      - .address_space:  global
        .offset:         56
        .size:           8
        .value_kind:     global_buffer
      - .offset:         64
        .size:           4
        .value_kind:     by_value
      - .offset:         68
        .size:           1
        .value_kind:     by_value
    .group_segment_fixed_size: 0
    .kernarg_segment_align: 8
    .kernarg_segment_size: 72
    .language:       OpenCL C
    .language_version:
      - 2
      - 0
    .max_flat_workgroup_size: 128
    .name:           _ZN9rocsparseL19gebsrmvn_1xn_kernelILj128ELj10ELj16EfEEvi20rocsparse_direction_NS_24const_host_device_scalarIT2_EEPKiS6_PKS3_S8_S4_PS3_21rocsparse_index_base_b
    .private_segment_fixed_size: 0
    .sgpr_count:     16
    .sgpr_spill_count: 0
    .symbol:         _ZN9rocsparseL19gebsrmvn_1xn_kernelILj128ELj10ELj16EfEEvi20rocsparse_direction_NS_24const_host_device_scalarIT2_EEPKiS6_PKS3_S8_S4_PS3_21rocsparse_index_base_b.kd
    .uniform_work_group_size: 1
    .uses_dynamic_stack: false
    .vgpr_count:     33
    .vgpr_spill_count: 0
    .wavefront_size: 32
    .workgroup_processor_mode: 1
  - .args:
      - .offset:         0
        .size:           4
        .value_kind:     by_value
      - .offset:         4
        .size:           4
        .value_kind:     by_value
      - .offset:         8
        .size:           8
        .value_kind:     by_value
      - .actual_access:  read_only
        .address_space:  global
        .offset:         16
        .size:           8
        .value_kind:     global_buffer
      - .actual_access:  read_only
        .address_space:  global
        .offset:         24
        .size:           8
        .value_kind:     global_buffer
      - .actual_access:  read_only
        .address_space:  global
        .offset:         32
        .size:           8
        .value_kind:     global_buffer
      - .actual_access:  read_only
        .address_space:  global
        .offset:         40
        .size:           8
        .value_kind:     global_buffer
      - .offset:         48
        .size:           8
        .value_kind:     by_value
      - .address_space:  global
        .offset:         56
        .size:           8
        .value_kind:     global_buffer
      - .offset:         64
        .size:           4
        .value_kind:     by_value
      - .offset:         68
        .size:           1
        .value_kind:     by_value
    .group_segment_fixed_size: 0
    .kernarg_segment_align: 8
    .kernarg_segment_size: 72
    .language:       OpenCL C
    .language_version:
      - 2
      - 0
    .max_flat_workgroup_size: 128
    .name:           _ZN9rocsparseL19gebsrmvn_1xn_kernelILj128ELj10ELj32EfEEvi20rocsparse_direction_NS_24const_host_device_scalarIT2_EEPKiS6_PKS3_S8_S4_PS3_21rocsparse_index_base_b
    .private_segment_fixed_size: 0
    .sgpr_count:     16
    .sgpr_spill_count: 0
    .symbol:         _ZN9rocsparseL19gebsrmvn_1xn_kernelILj128ELj10ELj32EfEEvi20rocsparse_direction_NS_24const_host_device_scalarIT2_EEPKiS6_PKS3_S8_S4_PS3_21rocsparse_index_base_b.kd
    .uniform_work_group_size: 1
    .uses_dynamic_stack: false
    .vgpr_count:     33
    .vgpr_spill_count: 0
    .wavefront_size: 32
    .workgroup_processor_mode: 1
  - .args:
      - .offset:         0
        .size:           4
        .value_kind:     by_value
      - .offset:         4
        .size:           4
        .value_kind:     by_value
      - .offset:         8
        .size:           8
        .value_kind:     by_value
      - .actual_access:  read_only
        .address_space:  global
        .offset:         16
        .size:           8
        .value_kind:     global_buffer
      - .actual_access:  read_only
        .address_space:  global
        .offset:         24
        .size:           8
        .value_kind:     global_buffer
      - .actual_access:  read_only
        .address_space:  global
        .offset:         32
        .size:           8
        .value_kind:     global_buffer
      - .actual_access:  read_only
        .address_space:  global
        .offset:         40
        .size:           8
        .value_kind:     global_buffer
      - .offset:         48
        .size:           8
        .value_kind:     by_value
      - .address_space:  global
        .offset:         56
        .size:           8
        .value_kind:     global_buffer
      - .offset:         64
        .size:           4
        .value_kind:     by_value
      - .offset:         68
        .size:           1
        .value_kind:     by_value
    .group_segment_fixed_size: 0
    .kernarg_segment_align: 8
    .kernarg_segment_size: 72
    .language:       OpenCL C
    .language_version:
      - 2
      - 0
    .max_flat_workgroup_size: 128
    .name:           _ZN9rocsparseL19gebsrmvn_1xn_kernelILj128ELj10ELj64EfEEvi20rocsparse_direction_NS_24const_host_device_scalarIT2_EEPKiS6_PKS3_S8_S4_PS3_21rocsparse_index_base_b
    .private_segment_fixed_size: 0
    .sgpr_count:     16
    .sgpr_spill_count: 0
    .symbol:         _ZN9rocsparseL19gebsrmvn_1xn_kernelILj128ELj10ELj64EfEEvi20rocsparse_direction_NS_24const_host_device_scalarIT2_EEPKiS6_PKS3_S8_S4_PS3_21rocsparse_index_base_b.kd
    .uniform_work_group_size: 1
    .uses_dynamic_stack: false
    .vgpr_count:     33
    .vgpr_spill_count: 0
    .wavefront_size: 32
    .workgroup_processor_mode: 1
  - .args:
      - .offset:         0
        .size:           4
        .value_kind:     by_value
      - .offset:         4
        .size:           4
        .value_kind:     by_value
      - .offset:         8
        .size:           8
        .value_kind:     by_value
      - .actual_access:  read_only
        .address_space:  global
        .offset:         16
        .size:           8
        .value_kind:     global_buffer
      - .actual_access:  read_only
        .address_space:  global
        .offset:         24
        .size:           8
        .value_kind:     global_buffer
      - .actual_access:  read_only
        .address_space:  global
        .offset:         32
        .size:           8
        .value_kind:     global_buffer
      - .actual_access:  read_only
        .address_space:  global
        .offset:         40
        .size:           8
        .value_kind:     global_buffer
      - .offset:         48
        .size:           8
        .value_kind:     by_value
      - .address_space:  global
        .offset:         56
        .size:           8
        .value_kind:     global_buffer
      - .offset:         64
        .size:           4
        .value_kind:     by_value
      - .offset:         68
        .size:           1
        .value_kind:     by_value
    .group_segment_fixed_size: 0
    .kernarg_segment_align: 8
    .kernarg_segment_size: 72
    .language:       OpenCL C
    .language_version:
      - 2
      - 0
    .max_flat_workgroup_size: 128
    .name:           _ZN9rocsparseL19gebsrmvn_1xn_kernelILj128ELj11ELj4EfEEvi20rocsparse_direction_NS_24const_host_device_scalarIT2_EEPKiS6_PKS3_S8_S4_PS3_21rocsparse_index_base_b
    .private_segment_fixed_size: 0
    .sgpr_count:     16
    .sgpr_spill_count: 0
    .symbol:         _ZN9rocsparseL19gebsrmvn_1xn_kernelILj128ELj11ELj4EfEEvi20rocsparse_direction_NS_24const_host_device_scalarIT2_EEPKiS6_PKS3_S8_S4_PS3_21rocsparse_index_base_b.kd
    .uniform_work_group_size: 1
    .uses_dynamic_stack: false
    .vgpr_count:     38
    .vgpr_spill_count: 0
    .wavefront_size: 32
    .workgroup_processor_mode: 1
  - .args:
      - .offset:         0
        .size:           4
        .value_kind:     by_value
      - .offset:         4
        .size:           4
        .value_kind:     by_value
      - .offset:         8
        .size:           8
        .value_kind:     by_value
      - .actual_access:  read_only
        .address_space:  global
        .offset:         16
        .size:           8
        .value_kind:     global_buffer
      - .actual_access:  read_only
        .address_space:  global
        .offset:         24
        .size:           8
        .value_kind:     global_buffer
      - .actual_access:  read_only
        .address_space:  global
        .offset:         32
        .size:           8
        .value_kind:     global_buffer
      - .actual_access:  read_only
        .address_space:  global
        .offset:         40
        .size:           8
        .value_kind:     global_buffer
      - .offset:         48
        .size:           8
        .value_kind:     by_value
      - .address_space:  global
        .offset:         56
        .size:           8
        .value_kind:     global_buffer
      - .offset:         64
        .size:           4
        .value_kind:     by_value
      - .offset:         68
        .size:           1
        .value_kind:     by_value
    .group_segment_fixed_size: 0
    .kernarg_segment_align: 8
    .kernarg_segment_size: 72
    .language:       OpenCL C
    .language_version:
      - 2
      - 0
    .max_flat_workgroup_size: 128
    .name:           _ZN9rocsparseL19gebsrmvn_1xn_kernelILj128ELj11ELj8EfEEvi20rocsparse_direction_NS_24const_host_device_scalarIT2_EEPKiS6_PKS3_S8_S4_PS3_21rocsparse_index_base_b
    .private_segment_fixed_size: 0
    .sgpr_count:     16
    .sgpr_spill_count: 0
    .symbol:         _ZN9rocsparseL19gebsrmvn_1xn_kernelILj128ELj11ELj8EfEEvi20rocsparse_direction_NS_24const_host_device_scalarIT2_EEPKiS6_PKS3_S8_S4_PS3_21rocsparse_index_base_b.kd
    .uniform_work_group_size: 1
    .uses_dynamic_stack: false
    .vgpr_count:     38
    .vgpr_spill_count: 0
    .wavefront_size: 32
    .workgroup_processor_mode: 1
  - .args:
      - .offset:         0
        .size:           4
        .value_kind:     by_value
      - .offset:         4
        .size:           4
        .value_kind:     by_value
      - .offset:         8
        .size:           8
        .value_kind:     by_value
      - .actual_access:  read_only
        .address_space:  global
        .offset:         16
        .size:           8
        .value_kind:     global_buffer
      - .actual_access:  read_only
        .address_space:  global
        .offset:         24
        .size:           8
        .value_kind:     global_buffer
      - .actual_access:  read_only
        .address_space:  global
        .offset:         32
        .size:           8
        .value_kind:     global_buffer
      - .actual_access:  read_only
        .address_space:  global
        .offset:         40
        .size:           8
        .value_kind:     global_buffer
      - .offset:         48
        .size:           8
        .value_kind:     by_value
      - .address_space:  global
        .offset:         56
        .size:           8
        .value_kind:     global_buffer
      - .offset:         64
        .size:           4
        .value_kind:     by_value
      - .offset:         68
        .size:           1
        .value_kind:     by_value
    .group_segment_fixed_size: 0
    .kernarg_segment_align: 8
    .kernarg_segment_size: 72
    .language:       OpenCL C
    .language_version:
      - 2
      - 0
    .max_flat_workgroup_size: 128
    .name:           _ZN9rocsparseL19gebsrmvn_1xn_kernelILj128ELj11ELj16EfEEvi20rocsparse_direction_NS_24const_host_device_scalarIT2_EEPKiS6_PKS3_S8_S4_PS3_21rocsparse_index_base_b
    .private_segment_fixed_size: 0
    .sgpr_count:     16
    .sgpr_spill_count: 0
    .symbol:         _ZN9rocsparseL19gebsrmvn_1xn_kernelILj128ELj11ELj16EfEEvi20rocsparse_direction_NS_24const_host_device_scalarIT2_EEPKiS6_PKS3_S8_S4_PS3_21rocsparse_index_base_b.kd
    .uniform_work_group_size: 1
    .uses_dynamic_stack: false
    .vgpr_count:     38
    .vgpr_spill_count: 0
    .wavefront_size: 32
    .workgroup_processor_mode: 1
  - .args:
      - .offset:         0
        .size:           4
        .value_kind:     by_value
      - .offset:         4
        .size:           4
        .value_kind:     by_value
      - .offset:         8
        .size:           8
        .value_kind:     by_value
      - .actual_access:  read_only
        .address_space:  global
        .offset:         16
        .size:           8
        .value_kind:     global_buffer
      - .actual_access:  read_only
        .address_space:  global
        .offset:         24
        .size:           8
        .value_kind:     global_buffer
      - .actual_access:  read_only
        .address_space:  global
        .offset:         32
        .size:           8
        .value_kind:     global_buffer
      - .actual_access:  read_only
        .address_space:  global
        .offset:         40
        .size:           8
        .value_kind:     global_buffer
      - .offset:         48
        .size:           8
        .value_kind:     by_value
      - .address_space:  global
        .offset:         56
        .size:           8
        .value_kind:     global_buffer
      - .offset:         64
        .size:           4
        .value_kind:     by_value
      - .offset:         68
        .size:           1
        .value_kind:     by_value
    .group_segment_fixed_size: 0
    .kernarg_segment_align: 8
    .kernarg_segment_size: 72
    .language:       OpenCL C
    .language_version:
      - 2
      - 0
    .max_flat_workgroup_size: 128
    .name:           _ZN9rocsparseL19gebsrmvn_1xn_kernelILj128ELj11ELj32EfEEvi20rocsparse_direction_NS_24const_host_device_scalarIT2_EEPKiS6_PKS3_S8_S4_PS3_21rocsparse_index_base_b
    .private_segment_fixed_size: 0
    .sgpr_count:     16
    .sgpr_spill_count: 0
    .symbol:         _ZN9rocsparseL19gebsrmvn_1xn_kernelILj128ELj11ELj32EfEEvi20rocsparse_direction_NS_24const_host_device_scalarIT2_EEPKiS6_PKS3_S8_S4_PS3_21rocsparse_index_base_b.kd
    .uniform_work_group_size: 1
    .uses_dynamic_stack: false
    .vgpr_count:     38
    .vgpr_spill_count: 0
    .wavefront_size: 32
    .workgroup_processor_mode: 1
  - .args:
      - .offset:         0
        .size:           4
        .value_kind:     by_value
      - .offset:         4
        .size:           4
        .value_kind:     by_value
      - .offset:         8
        .size:           8
        .value_kind:     by_value
      - .actual_access:  read_only
        .address_space:  global
        .offset:         16
        .size:           8
        .value_kind:     global_buffer
      - .actual_access:  read_only
        .address_space:  global
        .offset:         24
        .size:           8
        .value_kind:     global_buffer
      - .actual_access:  read_only
        .address_space:  global
        .offset:         32
        .size:           8
        .value_kind:     global_buffer
      - .actual_access:  read_only
        .address_space:  global
        .offset:         40
        .size:           8
        .value_kind:     global_buffer
      - .offset:         48
        .size:           8
        .value_kind:     by_value
      - .address_space:  global
        .offset:         56
        .size:           8
        .value_kind:     global_buffer
      - .offset:         64
        .size:           4
        .value_kind:     by_value
      - .offset:         68
        .size:           1
        .value_kind:     by_value
    .group_segment_fixed_size: 0
    .kernarg_segment_align: 8
    .kernarg_segment_size: 72
    .language:       OpenCL C
    .language_version:
      - 2
      - 0
    .max_flat_workgroup_size: 128
    .name:           _ZN9rocsparseL19gebsrmvn_1xn_kernelILj128ELj11ELj64EfEEvi20rocsparse_direction_NS_24const_host_device_scalarIT2_EEPKiS6_PKS3_S8_S4_PS3_21rocsparse_index_base_b
    .private_segment_fixed_size: 0
    .sgpr_count:     16
    .sgpr_spill_count: 0
    .symbol:         _ZN9rocsparseL19gebsrmvn_1xn_kernelILj128ELj11ELj64EfEEvi20rocsparse_direction_NS_24const_host_device_scalarIT2_EEPKiS6_PKS3_S8_S4_PS3_21rocsparse_index_base_b.kd
    .uniform_work_group_size: 1
    .uses_dynamic_stack: false
    .vgpr_count:     38
    .vgpr_spill_count: 0
    .wavefront_size: 32
    .workgroup_processor_mode: 1
  - .args:
      - .offset:         0
        .size:           4
        .value_kind:     by_value
      - .offset:         4
        .size:           4
        .value_kind:     by_value
      - .offset:         8
        .size:           8
        .value_kind:     by_value
      - .actual_access:  read_only
        .address_space:  global
        .offset:         16
        .size:           8
        .value_kind:     global_buffer
      - .actual_access:  read_only
        .address_space:  global
        .offset:         24
        .size:           8
        .value_kind:     global_buffer
      - .actual_access:  read_only
        .address_space:  global
        .offset:         32
        .size:           8
        .value_kind:     global_buffer
      - .actual_access:  read_only
        .address_space:  global
        .offset:         40
        .size:           8
        .value_kind:     global_buffer
      - .offset:         48
        .size:           8
        .value_kind:     by_value
      - .address_space:  global
        .offset:         56
        .size:           8
        .value_kind:     global_buffer
      - .offset:         64
        .size:           4
        .value_kind:     by_value
      - .offset:         68
        .size:           1
        .value_kind:     by_value
    .group_segment_fixed_size: 0
    .kernarg_segment_align: 8
    .kernarg_segment_size: 72
    .language:       OpenCL C
    .language_version:
      - 2
      - 0
    .max_flat_workgroup_size: 128
    .name:           _ZN9rocsparseL19gebsrmvn_1xn_kernelILj128ELj12ELj4EfEEvi20rocsparse_direction_NS_24const_host_device_scalarIT2_EEPKiS6_PKS3_S8_S4_PS3_21rocsparse_index_base_b
    .private_segment_fixed_size: 0
    .sgpr_count:     16
    .sgpr_spill_count: 0
    .symbol:         _ZN9rocsparseL19gebsrmvn_1xn_kernelILj128ELj12ELj4EfEEvi20rocsparse_direction_NS_24const_host_device_scalarIT2_EEPKiS6_PKS3_S8_S4_PS3_21rocsparse_index_base_b.kd
    .uniform_work_group_size: 1
    .uses_dynamic_stack: false
    .vgpr_count:     37
    .vgpr_spill_count: 0
    .wavefront_size: 32
    .workgroup_processor_mode: 1
  - .args:
      - .offset:         0
        .size:           4
        .value_kind:     by_value
      - .offset:         4
        .size:           4
        .value_kind:     by_value
      - .offset:         8
        .size:           8
        .value_kind:     by_value
      - .actual_access:  read_only
        .address_space:  global
        .offset:         16
        .size:           8
        .value_kind:     global_buffer
      - .actual_access:  read_only
        .address_space:  global
        .offset:         24
        .size:           8
        .value_kind:     global_buffer
      - .actual_access:  read_only
        .address_space:  global
        .offset:         32
        .size:           8
        .value_kind:     global_buffer
      - .actual_access:  read_only
        .address_space:  global
        .offset:         40
        .size:           8
        .value_kind:     global_buffer
      - .offset:         48
        .size:           8
        .value_kind:     by_value
      - .address_space:  global
        .offset:         56
        .size:           8
        .value_kind:     global_buffer
      - .offset:         64
        .size:           4
        .value_kind:     by_value
      - .offset:         68
        .size:           1
        .value_kind:     by_value
    .group_segment_fixed_size: 0
    .kernarg_segment_align: 8
    .kernarg_segment_size: 72
    .language:       OpenCL C
    .language_version:
      - 2
      - 0
    .max_flat_workgroup_size: 128
    .name:           _ZN9rocsparseL19gebsrmvn_1xn_kernelILj128ELj12ELj8EfEEvi20rocsparse_direction_NS_24const_host_device_scalarIT2_EEPKiS6_PKS3_S8_S4_PS3_21rocsparse_index_base_b
    .private_segment_fixed_size: 0
    .sgpr_count:     16
    .sgpr_spill_count: 0
    .symbol:         _ZN9rocsparseL19gebsrmvn_1xn_kernelILj128ELj12ELj8EfEEvi20rocsparse_direction_NS_24const_host_device_scalarIT2_EEPKiS6_PKS3_S8_S4_PS3_21rocsparse_index_base_b.kd
    .uniform_work_group_size: 1
    .uses_dynamic_stack: false
    .vgpr_count:     37
    .vgpr_spill_count: 0
    .wavefront_size: 32
    .workgroup_processor_mode: 1
  - .args:
      - .offset:         0
        .size:           4
        .value_kind:     by_value
      - .offset:         4
        .size:           4
        .value_kind:     by_value
      - .offset:         8
        .size:           8
        .value_kind:     by_value
      - .actual_access:  read_only
        .address_space:  global
        .offset:         16
        .size:           8
        .value_kind:     global_buffer
      - .actual_access:  read_only
        .address_space:  global
        .offset:         24
        .size:           8
        .value_kind:     global_buffer
      - .actual_access:  read_only
        .address_space:  global
        .offset:         32
        .size:           8
        .value_kind:     global_buffer
      - .actual_access:  read_only
        .address_space:  global
        .offset:         40
        .size:           8
        .value_kind:     global_buffer
      - .offset:         48
        .size:           8
        .value_kind:     by_value
      - .address_space:  global
        .offset:         56
        .size:           8
        .value_kind:     global_buffer
      - .offset:         64
        .size:           4
        .value_kind:     by_value
      - .offset:         68
        .size:           1
        .value_kind:     by_value
    .group_segment_fixed_size: 0
    .kernarg_segment_align: 8
    .kernarg_segment_size: 72
    .language:       OpenCL C
    .language_version:
      - 2
      - 0
    .max_flat_workgroup_size: 128
    .name:           _ZN9rocsparseL19gebsrmvn_1xn_kernelILj128ELj12ELj16EfEEvi20rocsparse_direction_NS_24const_host_device_scalarIT2_EEPKiS6_PKS3_S8_S4_PS3_21rocsparse_index_base_b
    .private_segment_fixed_size: 0
    .sgpr_count:     16
    .sgpr_spill_count: 0
    .symbol:         _ZN9rocsparseL19gebsrmvn_1xn_kernelILj128ELj12ELj16EfEEvi20rocsparse_direction_NS_24const_host_device_scalarIT2_EEPKiS6_PKS3_S8_S4_PS3_21rocsparse_index_base_b.kd
    .uniform_work_group_size: 1
    .uses_dynamic_stack: false
    .vgpr_count:     37
    .vgpr_spill_count: 0
    .wavefront_size: 32
    .workgroup_processor_mode: 1
  - .args:
      - .offset:         0
        .size:           4
        .value_kind:     by_value
      - .offset:         4
        .size:           4
        .value_kind:     by_value
      - .offset:         8
        .size:           8
        .value_kind:     by_value
      - .actual_access:  read_only
        .address_space:  global
        .offset:         16
        .size:           8
        .value_kind:     global_buffer
      - .actual_access:  read_only
        .address_space:  global
        .offset:         24
        .size:           8
        .value_kind:     global_buffer
      - .actual_access:  read_only
        .address_space:  global
        .offset:         32
        .size:           8
        .value_kind:     global_buffer
      - .actual_access:  read_only
        .address_space:  global
        .offset:         40
        .size:           8
        .value_kind:     global_buffer
      - .offset:         48
        .size:           8
        .value_kind:     by_value
      - .address_space:  global
        .offset:         56
        .size:           8
        .value_kind:     global_buffer
      - .offset:         64
        .size:           4
        .value_kind:     by_value
      - .offset:         68
        .size:           1
        .value_kind:     by_value
    .group_segment_fixed_size: 0
    .kernarg_segment_align: 8
    .kernarg_segment_size: 72
    .language:       OpenCL C
    .language_version:
      - 2
      - 0
    .max_flat_workgroup_size: 128
    .name:           _ZN9rocsparseL19gebsrmvn_1xn_kernelILj128ELj12ELj32EfEEvi20rocsparse_direction_NS_24const_host_device_scalarIT2_EEPKiS6_PKS3_S8_S4_PS3_21rocsparse_index_base_b
    .private_segment_fixed_size: 0
    .sgpr_count:     16
    .sgpr_spill_count: 0
    .symbol:         _ZN9rocsparseL19gebsrmvn_1xn_kernelILj128ELj12ELj32EfEEvi20rocsparse_direction_NS_24const_host_device_scalarIT2_EEPKiS6_PKS3_S8_S4_PS3_21rocsparse_index_base_b.kd
    .uniform_work_group_size: 1
    .uses_dynamic_stack: false
    .vgpr_count:     37
    .vgpr_spill_count: 0
    .wavefront_size: 32
    .workgroup_processor_mode: 1
  - .args:
      - .offset:         0
        .size:           4
        .value_kind:     by_value
      - .offset:         4
        .size:           4
        .value_kind:     by_value
      - .offset:         8
        .size:           8
        .value_kind:     by_value
      - .actual_access:  read_only
        .address_space:  global
        .offset:         16
        .size:           8
        .value_kind:     global_buffer
      - .actual_access:  read_only
        .address_space:  global
        .offset:         24
        .size:           8
        .value_kind:     global_buffer
      - .actual_access:  read_only
        .address_space:  global
        .offset:         32
        .size:           8
        .value_kind:     global_buffer
      - .actual_access:  read_only
        .address_space:  global
        .offset:         40
        .size:           8
        .value_kind:     global_buffer
      - .offset:         48
        .size:           8
        .value_kind:     by_value
      - .address_space:  global
        .offset:         56
        .size:           8
        .value_kind:     global_buffer
      - .offset:         64
        .size:           4
        .value_kind:     by_value
      - .offset:         68
        .size:           1
        .value_kind:     by_value
    .group_segment_fixed_size: 0
    .kernarg_segment_align: 8
    .kernarg_segment_size: 72
    .language:       OpenCL C
    .language_version:
      - 2
      - 0
    .max_flat_workgroup_size: 128
    .name:           _ZN9rocsparseL19gebsrmvn_1xn_kernelILj128ELj12ELj64EfEEvi20rocsparse_direction_NS_24const_host_device_scalarIT2_EEPKiS6_PKS3_S8_S4_PS3_21rocsparse_index_base_b
    .private_segment_fixed_size: 0
    .sgpr_count:     16
    .sgpr_spill_count: 0
    .symbol:         _ZN9rocsparseL19gebsrmvn_1xn_kernelILj128ELj12ELj64EfEEvi20rocsparse_direction_NS_24const_host_device_scalarIT2_EEPKiS6_PKS3_S8_S4_PS3_21rocsparse_index_base_b.kd
    .uniform_work_group_size: 1
    .uses_dynamic_stack: false
    .vgpr_count:     37
    .vgpr_spill_count: 0
    .wavefront_size: 32
    .workgroup_processor_mode: 1
  - .args:
      - .offset:         0
        .size:           4
        .value_kind:     by_value
      - .offset:         4
        .size:           4
        .value_kind:     by_value
      - .offset:         8
        .size:           8
        .value_kind:     by_value
      - .actual_access:  read_only
        .address_space:  global
        .offset:         16
        .size:           8
        .value_kind:     global_buffer
      - .actual_access:  read_only
        .address_space:  global
        .offset:         24
        .size:           8
        .value_kind:     global_buffer
      - .actual_access:  read_only
        .address_space:  global
        .offset:         32
        .size:           8
        .value_kind:     global_buffer
      - .actual_access:  read_only
        .address_space:  global
        .offset:         40
        .size:           8
        .value_kind:     global_buffer
      - .offset:         48
        .size:           8
        .value_kind:     by_value
      - .address_space:  global
        .offset:         56
        .size:           8
        .value_kind:     global_buffer
      - .offset:         64
        .size:           4
        .value_kind:     by_value
      - .offset:         68
        .size:           1
        .value_kind:     by_value
    .group_segment_fixed_size: 0
    .kernarg_segment_align: 8
    .kernarg_segment_size: 72
    .language:       OpenCL C
    .language_version:
      - 2
      - 0
    .max_flat_workgroup_size: 128
    .name:           _ZN9rocsparseL19gebsrmvn_1xn_kernelILj128ELj13ELj4EfEEvi20rocsparse_direction_NS_24const_host_device_scalarIT2_EEPKiS6_PKS3_S8_S4_PS3_21rocsparse_index_base_b
    .private_segment_fixed_size: 0
    .sgpr_count:     16
    .sgpr_spill_count: 0
    .symbol:         _ZN9rocsparseL19gebsrmvn_1xn_kernelILj128ELj13ELj4EfEEvi20rocsparse_direction_NS_24const_host_device_scalarIT2_EEPKiS6_PKS3_S8_S4_PS3_21rocsparse_index_base_b.kd
    .uniform_work_group_size: 1
    .uses_dynamic_stack: false
    .vgpr_count:     42
    .vgpr_spill_count: 0
    .wavefront_size: 32
    .workgroup_processor_mode: 1
  - .args:
      - .offset:         0
        .size:           4
        .value_kind:     by_value
      - .offset:         4
        .size:           4
        .value_kind:     by_value
      - .offset:         8
        .size:           8
        .value_kind:     by_value
      - .actual_access:  read_only
        .address_space:  global
        .offset:         16
        .size:           8
        .value_kind:     global_buffer
      - .actual_access:  read_only
        .address_space:  global
        .offset:         24
        .size:           8
        .value_kind:     global_buffer
      - .actual_access:  read_only
        .address_space:  global
        .offset:         32
        .size:           8
        .value_kind:     global_buffer
      - .actual_access:  read_only
        .address_space:  global
        .offset:         40
        .size:           8
        .value_kind:     global_buffer
      - .offset:         48
        .size:           8
        .value_kind:     by_value
      - .address_space:  global
        .offset:         56
        .size:           8
        .value_kind:     global_buffer
      - .offset:         64
        .size:           4
        .value_kind:     by_value
      - .offset:         68
        .size:           1
        .value_kind:     by_value
    .group_segment_fixed_size: 0
    .kernarg_segment_align: 8
    .kernarg_segment_size: 72
    .language:       OpenCL C
    .language_version:
      - 2
      - 0
    .max_flat_workgroup_size: 128
    .name:           _ZN9rocsparseL19gebsrmvn_1xn_kernelILj128ELj13ELj8EfEEvi20rocsparse_direction_NS_24const_host_device_scalarIT2_EEPKiS6_PKS3_S8_S4_PS3_21rocsparse_index_base_b
    .private_segment_fixed_size: 0
    .sgpr_count:     16
    .sgpr_spill_count: 0
    .symbol:         _ZN9rocsparseL19gebsrmvn_1xn_kernelILj128ELj13ELj8EfEEvi20rocsparse_direction_NS_24const_host_device_scalarIT2_EEPKiS6_PKS3_S8_S4_PS3_21rocsparse_index_base_b.kd
    .uniform_work_group_size: 1
    .uses_dynamic_stack: false
    .vgpr_count:     42
    .vgpr_spill_count: 0
    .wavefront_size: 32
    .workgroup_processor_mode: 1
  - .args:
      - .offset:         0
        .size:           4
        .value_kind:     by_value
      - .offset:         4
        .size:           4
        .value_kind:     by_value
      - .offset:         8
        .size:           8
        .value_kind:     by_value
      - .actual_access:  read_only
        .address_space:  global
        .offset:         16
        .size:           8
        .value_kind:     global_buffer
      - .actual_access:  read_only
        .address_space:  global
        .offset:         24
        .size:           8
        .value_kind:     global_buffer
      - .actual_access:  read_only
        .address_space:  global
        .offset:         32
        .size:           8
        .value_kind:     global_buffer
      - .actual_access:  read_only
        .address_space:  global
        .offset:         40
        .size:           8
        .value_kind:     global_buffer
      - .offset:         48
        .size:           8
        .value_kind:     by_value
      - .address_space:  global
        .offset:         56
        .size:           8
        .value_kind:     global_buffer
      - .offset:         64
        .size:           4
        .value_kind:     by_value
      - .offset:         68
        .size:           1
        .value_kind:     by_value
    .group_segment_fixed_size: 0
    .kernarg_segment_align: 8
    .kernarg_segment_size: 72
    .language:       OpenCL C
    .language_version:
      - 2
      - 0
    .max_flat_workgroup_size: 128
    .name:           _ZN9rocsparseL19gebsrmvn_1xn_kernelILj128ELj13ELj16EfEEvi20rocsparse_direction_NS_24const_host_device_scalarIT2_EEPKiS6_PKS3_S8_S4_PS3_21rocsparse_index_base_b
    .private_segment_fixed_size: 0
    .sgpr_count:     16
    .sgpr_spill_count: 0
    .symbol:         _ZN9rocsparseL19gebsrmvn_1xn_kernelILj128ELj13ELj16EfEEvi20rocsparse_direction_NS_24const_host_device_scalarIT2_EEPKiS6_PKS3_S8_S4_PS3_21rocsparse_index_base_b.kd
    .uniform_work_group_size: 1
    .uses_dynamic_stack: false
    .vgpr_count:     42
    .vgpr_spill_count: 0
    .wavefront_size: 32
    .workgroup_processor_mode: 1
  - .args:
      - .offset:         0
        .size:           4
        .value_kind:     by_value
      - .offset:         4
        .size:           4
        .value_kind:     by_value
      - .offset:         8
        .size:           8
        .value_kind:     by_value
      - .actual_access:  read_only
        .address_space:  global
        .offset:         16
        .size:           8
        .value_kind:     global_buffer
      - .actual_access:  read_only
        .address_space:  global
        .offset:         24
        .size:           8
        .value_kind:     global_buffer
      - .actual_access:  read_only
        .address_space:  global
        .offset:         32
        .size:           8
        .value_kind:     global_buffer
      - .actual_access:  read_only
        .address_space:  global
        .offset:         40
        .size:           8
        .value_kind:     global_buffer
      - .offset:         48
        .size:           8
        .value_kind:     by_value
      - .address_space:  global
        .offset:         56
        .size:           8
        .value_kind:     global_buffer
      - .offset:         64
        .size:           4
        .value_kind:     by_value
      - .offset:         68
        .size:           1
        .value_kind:     by_value
    .group_segment_fixed_size: 0
    .kernarg_segment_align: 8
    .kernarg_segment_size: 72
    .language:       OpenCL C
    .language_version:
      - 2
      - 0
    .max_flat_workgroup_size: 128
    .name:           _ZN9rocsparseL19gebsrmvn_1xn_kernelILj128ELj13ELj32EfEEvi20rocsparse_direction_NS_24const_host_device_scalarIT2_EEPKiS6_PKS3_S8_S4_PS3_21rocsparse_index_base_b
    .private_segment_fixed_size: 0
    .sgpr_count:     16
    .sgpr_spill_count: 0
    .symbol:         _ZN9rocsparseL19gebsrmvn_1xn_kernelILj128ELj13ELj32EfEEvi20rocsparse_direction_NS_24const_host_device_scalarIT2_EEPKiS6_PKS3_S8_S4_PS3_21rocsparse_index_base_b.kd
    .uniform_work_group_size: 1
    .uses_dynamic_stack: false
    .vgpr_count:     42
    .vgpr_spill_count: 0
    .wavefront_size: 32
    .workgroup_processor_mode: 1
  - .args:
      - .offset:         0
        .size:           4
        .value_kind:     by_value
      - .offset:         4
        .size:           4
        .value_kind:     by_value
      - .offset:         8
        .size:           8
        .value_kind:     by_value
      - .actual_access:  read_only
        .address_space:  global
        .offset:         16
        .size:           8
        .value_kind:     global_buffer
      - .actual_access:  read_only
        .address_space:  global
        .offset:         24
        .size:           8
        .value_kind:     global_buffer
      - .actual_access:  read_only
        .address_space:  global
        .offset:         32
        .size:           8
        .value_kind:     global_buffer
      - .actual_access:  read_only
        .address_space:  global
        .offset:         40
        .size:           8
        .value_kind:     global_buffer
      - .offset:         48
        .size:           8
        .value_kind:     by_value
      - .address_space:  global
        .offset:         56
        .size:           8
        .value_kind:     global_buffer
      - .offset:         64
        .size:           4
        .value_kind:     by_value
      - .offset:         68
        .size:           1
        .value_kind:     by_value
    .group_segment_fixed_size: 0
    .kernarg_segment_align: 8
    .kernarg_segment_size: 72
    .language:       OpenCL C
    .language_version:
      - 2
      - 0
    .max_flat_workgroup_size: 128
    .name:           _ZN9rocsparseL19gebsrmvn_1xn_kernelILj128ELj13ELj64EfEEvi20rocsparse_direction_NS_24const_host_device_scalarIT2_EEPKiS6_PKS3_S8_S4_PS3_21rocsparse_index_base_b
    .private_segment_fixed_size: 0
    .sgpr_count:     16
    .sgpr_spill_count: 0
    .symbol:         _ZN9rocsparseL19gebsrmvn_1xn_kernelILj128ELj13ELj64EfEEvi20rocsparse_direction_NS_24const_host_device_scalarIT2_EEPKiS6_PKS3_S8_S4_PS3_21rocsparse_index_base_b.kd
    .uniform_work_group_size: 1
    .uses_dynamic_stack: false
    .vgpr_count:     42
    .vgpr_spill_count: 0
    .wavefront_size: 32
    .workgroup_processor_mode: 1
  - .args:
      - .offset:         0
        .size:           4
        .value_kind:     by_value
      - .offset:         4
        .size:           4
        .value_kind:     by_value
      - .offset:         8
        .size:           8
        .value_kind:     by_value
      - .actual_access:  read_only
        .address_space:  global
        .offset:         16
        .size:           8
        .value_kind:     global_buffer
      - .actual_access:  read_only
        .address_space:  global
        .offset:         24
        .size:           8
        .value_kind:     global_buffer
      - .actual_access:  read_only
        .address_space:  global
        .offset:         32
        .size:           8
        .value_kind:     global_buffer
      - .actual_access:  read_only
        .address_space:  global
        .offset:         40
        .size:           8
        .value_kind:     global_buffer
      - .offset:         48
        .size:           8
        .value_kind:     by_value
      - .address_space:  global
        .offset:         56
        .size:           8
        .value_kind:     global_buffer
      - .offset:         64
        .size:           4
        .value_kind:     by_value
      - .offset:         68
        .size:           1
        .value_kind:     by_value
    .group_segment_fixed_size: 0
    .kernarg_segment_align: 8
    .kernarg_segment_size: 72
    .language:       OpenCL C
    .language_version:
      - 2
      - 0
    .max_flat_workgroup_size: 128
    .name:           _ZN9rocsparseL19gebsrmvn_1xn_kernelILj128ELj14ELj4EfEEvi20rocsparse_direction_NS_24const_host_device_scalarIT2_EEPKiS6_PKS3_S8_S4_PS3_21rocsparse_index_base_b
    .private_segment_fixed_size: 0
    .sgpr_count:     16
    .sgpr_spill_count: 0
    .symbol:         _ZN9rocsparseL19gebsrmvn_1xn_kernelILj128ELj14ELj4EfEEvi20rocsparse_direction_NS_24const_host_device_scalarIT2_EEPKiS6_PKS3_S8_S4_PS3_21rocsparse_index_base_b.kd
    .uniform_work_group_size: 1
    .uses_dynamic_stack: false
    .vgpr_count:     41
    .vgpr_spill_count: 0
    .wavefront_size: 32
    .workgroup_processor_mode: 1
  - .args:
      - .offset:         0
        .size:           4
        .value_kind:     by_value
      - .offset:         4
        .size:           4
        .value_kind:     by_value
      - .offset:         8
        .size:           8
        .value_kind:     by_value
      - .actual_access:  read_only
        .address_space:  global
        .offset:         16
        .size:           8
        .value_kind:     global_buffer
      - .actual_access:  read_only
        .address_space:  global
        .offset:         24
        .size:           8
        .value_kind:     global_buffer
      - .actual_access:  read_only
        .address_space:  global
        .offset:         32
        .size:           8
        .value_kind:     global_buffer
      - .actual_access:  read_only
        .address_space:  global
        .offset:         40
        .size:           8
        .value_kind:     global_buffer
      - .offset:         48
        .size:           8
        .value_kind:     by_value
      - .address_space:  global
        .offset:         56
        .size:           8
        .value_kind:     global_buffer
      - .offset:         64
        .size:           4
        .value_kind:     by_value
      - .offset:         68
        .size:           1
        .value_kind:     by_value
    .group_segment_fixed_size: 0
    .kernarg_segment_align: 8
    .kernarg_segment_size: 72
    .language:       OpenCL C
    .language_version:
      - 2
      - 0
    .max_flat_workgroup_size: 128
    .name:           _ZN9rocsparseL19gebsrmvn_1xn_kernelILj128ELj14ELj8EfEEvi20rocsparse_direction_NS_24const_host_device_scalarIT2_EEPKiS6_PKS3_S8_S4_PS3_21rocsparse_index_base_b
    .private_segment_fixed_size: 0
    .sgpr_count:     16
    .sgpr_spill_count: 0
    .symbol:         _ZN9rocsparseL19gebsrmvn_1xn_kernelILj128ELj14ELj8EfEEvi20rocsparse_direction_NS_24const_host_device_scalarIT2_EEPKiS6_PKS3_S8_S4_PS3_21rocsparse_index_base_b.kd
    .uniform_work_group_size: 1
    .uses_dynamic_stack: false
    .vgpr_count:     41
    .vgpr_spill_count: 0
    .wavefront_size: 32
    .workgroup_processor_mode: 1
  - .args:
      - .offset:         0
        .size:           4
        .value_kind:     by_value
      - .offset:         4
        .size:           4
        .value_kind:     by_value
      - .offset:         8
        .size:           8
        .value_kind:     by_value
      - .actual_access:  read_only
        .address_space:  global
        .offset:         16
        .size:           8
        .value_kind:     global_buffer
      - .actual_access:  read_only
        .address_space:  global
        .offset:         24
        .size:           8
        .value_kind:     global_buffer
      - .actual_access:  read_only
        .address_space:  global
        .offset:         32
        .size:           8
        .value_kind:     global_buffer
      - .actual_access:  read_only
        .address_space:  global
        .offset:         40
        .size:           8
        .value_kind:     global_buffer
      - .offset:         48
        .size:           8
        .value_kind:     by_value
      - .address_space:  global
        .offset:         56
        .size:           8
        .value_kind:     global_buffer
      - .offset:         64
        .size:           4
        .value_kind:     by_value
      - .offset:         68
        .size:           1
        .value_kind:     by_value
    .group_segment_fixed_size: 0
    .kernarg_segment_align: 8
    .kernarg_segment_size: 72
    .language:       OpenCL C
    .language_version:
      - 2
      - 0
    .max_flat_workgroup_size: 128
    .name:           _ZN9rocsparseL19gebsrmvn_1xn_kernelILj128ELj14ELj16EfEEvi20rocsparse_direction_NS_24const_host_device_scalarIT2_EEPKiS6_PKS3_S8_S4_PS3_21rocsparse_index_base_b
    .private_segment_fixed_size: 0
    .sgpr_count:     16
    .sgpr_spill_count: 0
    .symbol:         _ZN9rocsparseL19gebsrmvn_1xn_kernelILj128ELj14ELj16EfEEvi20rocsparse_direction_NS_24const_host_device_scalarIT2_EEPKiS6_PKS3_S8_S4_PS3_21rocsparse_index_base_b.kd
    .uniform_work_group_size: 1
    .uses_dynamic_stack: false
    .vgpr_count:     41
    .vgpr_spill_count: 0
    .wavefront_size: 32
    .workgroup_processor_mode: 1
  - .args:
      - .offset:         0
        .size:           4
        .value_kind:     by_value
      - .offset:         4
        .size:           4
        .value_kind:     by_value
      - .offset:         8
        .size:           8
        .value_kind:     by_value
      - .actual_access:  read_only
        .address_space:  global
        .offset:         16
        .size:           8
        .value_kind:     global_buffer
      - .actual_access:  read_only
        .address_space:  global
        .offset:         24
        .size:           8
        .value_kind:     global_buffer
      - .actual_access:  read_only
        .address_space:  global
        .offset:         32
        .size:           8
        .value_kind:     global_buffer
      - .actual_access:  read_only
        .address_space:  global
        .offset:         40
        .size:           8
        .value_kind:     global_buffer
      - .offset:         48
        .size:           8
        .value_kind:     by_value
      - .address_space:  global
        .offset:         56
        .size:           8
        .value_kind:     global_buffer
      - .offset:         64
        .size:           4
        .value_kind:     by_value
      - .offset:         68
        .size:           1
        .value_kind:     by_value
    .group_segment_fixed_size: 0
    .kernarg_segment_align: 8
    .kernarg_segment_size: 72
    .language:       OpenCL C
    .language_version:
      - 2
      - 0
    .max_flat_workgroup_size: 128
    .name:           _ZN9rocsparseL19gebsrmvn_1xn_kernelILj128ELj14ELj32EfEEvi20rocsparse_direction_NS_24const_host_device_scalarIT2_EEPKiS6_PKS3_S8_S4_PS3_21rocsparse_index_base_b
    .private_segment_fixed_size: 0
    .sgpr_count:     16
    .sgpr_spill_count: 0
    .symbol:         _ZN9rocsparseL19gebsrmvn_1xn_kernelILj128ELj14ELj32EfEEvi20rocsparse_direction_NS_24const_host_device_scalarIT2_EEPKiS6_PKS3_S8_S4_PS3_21rocsparse_index_base_b.kd
    .uniform_work_group_size: 1
    .uses_dynamic_stack: false
    .vgpr_count:     41
    .vgpr_spill_count: 0
    .wavefront_size: 32
    .workgroup_processor_mode: 1
  - .args:
      - .offset:         0
        .size:           4
        .value_kind:     by_value
      - .offset:         4
        .size:           4
        .value_kind:     by_value
      - .offset:         8
        .size:           8
        .value_kind:     by_value
      - .actual_access:  read_only
        .address_space:  global
        .offset:         16
        .size:           8
        .value_kind:     global_buffer
      - .actual_access:  read_only
        .address_space:  global
        .offset:         24
        .size:           8
        .value_kind:     global_buffer
      - .actual_access:  read_only
        .address_space:  global
        .offset:         32
        .size:           8
        .value_kind:     global_buffer
      - .actual_access:  read_only
        .address_space:  global
        .offset:         40
        .size:           8
        .value_kind:     global_buffer
      - .offset:         48
        .size:           8
        .value_kind:     by_value
      - .address_space:  global
        .offset:         56
        .size:           8
        .value_kind:     global_buffer
      - .offset:         64
        .size:           4
        .value_kind:     by_value
      - .offset:         68
        .size:           1
        .value_kind:     by_value
    .group_segment_fixed_size: 0
    .kernarg_segment_align: 8
    .kernarg_segment_size: 72
    .language:       OpenCL C
    .language_version:
      - 2
      - 0
    .max_flat_workgroup_size: 128
    .name:           _ZN9rocsparseL19gebsrmvn_1xn_kernelILj128ELj14ELj64EfEEvi20rocsparse_direction_NS_24const_host_device_scalarIT2_EEPKiS6_PKS3_S8_S4_PS3_21rocsparse_index_base_b
    .private_segment_fixed_size: 0
    .sgpr_count:     16
    .sgpr_spill_count: 0
    .symbol:         _ZN9rocsparseL19gebsrmvn_1xn_kernelILj128ELj14ELj64EfEEvi20rocsparse_direction_NS_24const_host_device_scalarIT2_EEPKiS6_PKS3_S8_S4_PS3_21rocsparse_index_base_b.kd
    .uniform_work_group_size: 1
    .uses_dynamic_stack: false
    .vgpr_count:     41
    .vgpr_spill_count: 0
    .wavefront_size: 32
    .workgroup_processor_mode: 1
  - .args:
      - .offset:         0
        .size:           4
        .value_kind:     by_value
      - .offset:         4
        .size:           4
        .value_kind:     by_value
      - .offset:         8
        .size:           8
        .value_kind:     by_value
      - .actual_access:  read_only
        .address_space:  global
        .offset:         16
        .size:           8
        .value_kind:     global_buffer
      - .actual_access:  read_only
        .address_space:  global
        .offset:         24
        .size:           8
        .value_kind:     global_buffer
      - .actual_access:  read_only
        .address_space:  global
        .offset:         32
        .size:           8
        .value_kind:     global_buffer
      - .actual_access:  read_only
        .address_space:  global
        .offset:         40
        .size:           8
        .value_kind:     global_buffer
      - .offset:         48
        .size:           8
        .value_kind:     by_value
      - .address_space:  global
        .offset:         56
        .size:           8
        .value_kind:     global_buffer
      - .offset:         64
        .size:           4
        .value_kind:     by_value
      - .offset:         68
        .size:           1
        .value_kind:     by_value
    .group_segment_fixed_size: 0
    .kernarg_segment_align: 8
    .kernarg_segment_size: 72
    .language:       OpenCL C
    .language_version:
      - 2
      - 0
    .max_flat_workgroup_size: 128
    .name:           _ZN9rocsparseL19gebsrmvn_1xn_kernelILj128ELj15ELj4EfEEvi20rocsparse_direction_NS_24const_host_device_scalarIT2_EEPKiS6_PKS3_S8_S4_PS3_21rocsparse_index_base_b
    .private_segment_fixed_size: 0
    .sgpr_count:     16
    .sgpr_spill_count: 0
    .symbol:         _ZN9rocsparseL19gebsrmvn_1xn_kernelILj128ELj15ELj4EfEEvi20rocsparse_direction_NS_24const_host_device_scalarIT2_EEPKiS6_PKS3_S8_S4_PS3_21rocsparse_index_base_b.kd
    .uniform_work_group_size: 1
    .uses_dynamic_stack: false
    .vgpr_count:     46
    .vgpr_spill_count: 0
    .wavefront_size: 32
    .workgroup_processor_mode: 1
  - .args:
      - .offset:         0
        .size:           4
        .value_kind:     by_value
      - .offset:         4
        .size:           4
        .value_kind:     by_value
      - .offset:         8
        .size:           8
        .value_kind:     by_value
      - .actual_access:  read_only
        .address_space:  global
        .offset:         16
        .size:           8
        .value_kind:     global_buffer
      - .actual_access:  read_only
        .address_space:  global
        .offset:         24
        .size:           8
        .value_kind:     global_buffer
      - .actual_access:  read_only
        .address_space:  global
        .offset:         32
        .size:           8
        .value_kind:     global_buffer
      - .actual_access:  read_only
        .address_space:  global
        .offset:         40
        .size:           8
        .value_kind:     global_buffer
      - .offset:         48
        .size:           8
        .value_kind:     by_value
      - .address_space:  global
        .offset:         56
        .size:           8
        .value_kind:     global_buffer
      - .offset:         64
        .size:           4
        .value_kind:     by_value
      - .offset:         68
        .size:           1
        .value_kind:     by_value
    .group_segment_fixed_size: 0
    .kernarg_segment_align: 8
    .kernarg_segment_size: 72
    .language:       OpenCL C
    .language_version:
      - 2
      - 0
    .max_flat_workgroup_size: 128
    .name:           _ZN9rocsparseL19gebsrmvn_1xn_kernelILj128ELj15ELj8EfEEvi20rocsparse_direction_NS_24const_host_device_scalarIT2_EEPKiS6_PKS3_S8_S4_PS3_21rocsparse_index_base_b
    .private_segment_fixed_size: 0
    .sgpr_count:     16
    .sgpr_spill_count: 0
    .symbol:         _ZN9rocsparseL19gebsrmvn_1xn_kernelILj128ELj15ELj8EfEEvi20rocsparse_direction_NS_24const_host_device_scalarIT2_EEPKiS6_PKS3_S8_S4_PS3_21rocsparse_index_base_b.kd
    .uniform_work_group_size: 1
    .uses_dynamic_stack: false
    .vgpr_count:     46
    .vgpr_spill_count: 0
    .wavefront_size: 32
    .workgroup_processor_mode: 1
  - .args:
      - .offset:         0
        .size:           4
        .value_kind:     by_value
      - .offset:         4
        .size:           4
        .value_kind:     by_value
      - .offset:         8
        .size:           8
        .value_kind:     by_value
      - .actual_access:  read_only
        .address_space:  global
        .offset:         16
        .size:           8
        .value_kind:     global_buffer
      - .actual_access:  read_only
        .address_space:  global
        .offset:         24
        .size:           8
        .value_kind:     global_buffer
      - .actual_access:  read_only
        .address_space:  global
        .offset:         32
        .size:           8
        .value_kind:     global_buffer
      - .actual_access:  read_only
        .address_space:  global
        .offset:         40
        .size:           8
        .value_kind:     global_buffer
      - .offset:         48
        .size:           8
        .value_kind:     by_value
      - .address_space:  global
        .offset:         56
        .size:           8
        .value_kind:     global_buffer
      - .offset:         64
        .size:           4
        .value_kind:     by_value
      - .offset:         68
        .size:           1
        .value_kind:     by_value
    .group_segment_fixed_size: 0
    .kernarg_segment_align: 8
    .kernarg_segment_size: 72
    .language:       OpenCL C
    .language_version:
      - 2
      - 0
    .max_flat_workgroup_size: 128
    .name:           _ZN9rocsparseL19gebsrmvn_1xn_kernelILj128ELj15ELj16EfEEvi20rocsparse_direction_NS_24const_host_device_scalarIT2_EEPKiS6_PKS3_S8_S4_PS3_21rocsparse_index_base_b
    .private_segment_fixed_size: 0
    .sgpr_count:     16
    .sgpr_spill_count: 0
    .symbol:         _ZN9rocsparseL19gebsrmvn_1xn_kernelILj128ELj15ELj16EfEEvi20rocsparse_direction_NS_24const_host_device_scalarIT2_EEPKiS6_PKS3_S8_S4_PS3_21rocsparse_index_base_b.kd
    .uniform_work_group_size: 1
    .uses_dynamic_stack: false
    .vgpr_count:     46
    .vgpr_spill_count: 0
    .wavefront_size: 32
    .workgroup_processor_mode: 1
  - .args:
      - .offset:         0
        .size:           4
        .value_kind:     by_value
      - .offset:         4
        .size:           4
        .value_kind:     by_value
      - .offset:         8
        .size:           8
        .value_kind:     by_value
      - .actual_access:  read_only
        .address_space:  global
        .offset:         16
        .size:           8
        .value_kind:     global_buffer
      - .actual_access:  read_only
        .address_space:  global
        .offset:         24
        .size:           8
        .value_kind:     global_buffer
      - .actual_access:  read_only
        .address_space:  global
        .offset:         32
        .size:           8
        .value_kind:     global_buffer
      - .actual_access:  read_only
        .address_space:  global
        .offset:         40
        .size:           8
        .value_kind:     global_buffer
      - .offset:         48
        .size:           8
        .value_kind:     by_value
      - .address_space:  global
        .offset:         56
        .size:           8
        .value_kind:     global_buffer
      - .offset:         64
        .size:           4
        .value_kind:     by_value
      - .offset:         68
        .size:           1
        .value_kind:     by_value
    .group_segment_fixed_size: 0
    .kernarg_segment_align: 8
    .kernarg_segment_size: 72
    .language:       OpenCL C
    .language_version:
      - 2
      - 0
    .max_flat_workgroup_size: 128
    .name:           _ZN9rocsparseL19gebsrmvn_1xn_kernelILj128ELj15ELj32EfEEvi20rocsparse_direction_NS_24const_host_device_scalarIT2_EEPKiS6_PKS3_S8_S4_PS3_21rocsparse_index_base_b
    .private_segment_fixed_size: 0
    .sgpr_count:     16
    .sgpr_spill_count: 0
    .symbol:         _ZN9rocsparseL19gebsrmvn_1xn_kernelILj128ELj15ELj32EfEEvi20rocsparse_direction_NS_24const_host_device_scalarIT2_EEPKiS6_PKS3_S8_S4_PS3_21rocsparse_index_base_b.kd
    .uniform_work_group_size: 1
    .uses_dynamic_stack: false
    .vgpr_count:     46
    .vgpr_spill_count: 0
    .wavefront_size: 32
    .workgroup_processor_mode: 1
  - .args:
      - .offset:         0
        .size:           4
        .value_kind:     by_value
      - .offset:         4
        .size:           4
        .value_kind:     by_value
      - .offset:         8
        .size:           8
        .value_kind:     by_value
      - .actual_access:  read_only
        .address_space:  global
        .offset:         16
        .size:           8
        .value_kind:     global_buffer
      - .actual_access:  read_only
        .address_space:  global
        .offset:         24
        .size:           8
        .value_kind:     global_buffer
      - .actual_access:  read_only
        .address_space:  global
        .offset:         32
        .size:           8
        .value_kind:     global_buffer
      - .actual_access:  read_only
        .address_space:  global
        .offset:         40
        .size:           8
        .value_kind:     global_buffer
      - .offset:         48
        .size:           8
        .value_kind:     by_value
      - .address_space:  global
        .offset:         56
        .size:           8
        .value_kind:     global_buffer
      - .offset:         64
        .size:           4
        .value_kind:     by_value
      - .offset:         68
        .size:           1
        .value_kind:     by_value
    .group_segment_fixed_size: 0
    .kernarg_segment_align: 8
    .kernarg_segment_size: 72
    .language:       OpenCL C
    .language_version:
      - 2
      - 0
    .max_flat_workgroup_size: 128
    .name:           _ZN9rocsparseL19gebsrmvn_1xn_kernelILj128ELj15ELj64EfEEvi20rocsparse_direction_NS_24const_host_device_scalarIT2_EEPKiS6_PKS3_S8_S4_PS3_21rocsparse_index_base_b
    .private_segment_fixed_size: 0
    .sgpr_count:     16
    .sgpr_spill_count: 0
    .symbol:         _ZN9rocsparseL19gebsrmvn_1xn_kernelILj128ELj15ELj64EfEEvi20rocsparse_direction_NS_24const_host_device_scalarIT2_EEPKiS6_PKS3_S8_S4_PS3_21rocsparse_index_base_b.kd
    .uniform_work_group_size: 1
    .uses_dynamic_stack: false
    .vgpr_count:     46
    .vgpr_spill_count: 0
    .wavefront_size: 32
    .workgroup_processor_mode: 1
  - .args:
      - .offset:         0
        .size:           4
        .value_kind:     by_value
      - .offset:         4
        .size:           4
        .value_kind:     by_value
      - .offset:         8
        .size:           8
        .value_kind:     by_value
      - .actual_access:  read_only
        .address_space:  global
        .offset:         16
        .size:           8
        .value_kind:     global_buffer
      - .actual_access:  read_only
        .address_space:  global
        .offset:         24
        .size:           8
        .value_kind:     global_buffer
      - .actual_access:  read_only
        .address_space:  global
        .offset:         32
        .size:           8
        .value_kind:     global_buffer
      - .actual_access:  read_only
        .address_space:  global
        .offset:         40
        .size:           8
        .value_kind:     global_buffer
      - .offset:         48
        .size:           8
        .value_kind:     by_value
      - .address_space:  global
        .offset:         56
        .size:           8
        .value_kind:     global_buffer
      - .offset:         64
        .size:           4
        .value_kind:     by_value
      - .offset:         68
        .size:           1
        .value_kind:     by_value
    .group_segment_fixed_size: 0
    .kernarg_segment_align: 8
    .kernarg_segment_size: 72
    .language:       OpenCL C
    .language_version:
      - 2
      - 0
    .max_flat_workgroup_size: 128
    .name:           _ZN9rocsparseL19gebsrmvn_1xn_kernelILj128ELj16ELj4EfEEvi20rocsparse_direction_NS_24const_host_device_scalarIT2_EEPKiS6_PKS3_S8_S4_PS3_21rocsparse_index_base_b
    .private_segment_fixed_size: 0
    .sgpr_count:     16
    .sgpr_spill_count: 0
    .symbol:         _ZN9rocsparseL19gebsrmvn_1xn_kernelILj128ELj16ELj4EfEEvi20rocsparse_direction_NS_24const_host_device_scalarIT2_EEPKiS6_PKS3_S8_S4_PS3_21rocsparse_index_base_b.kd
    .uniform_work_group_size: 1
    .uses_dynamic_stack: false
    .vgpr_count:     41
    .vgpr_spill_count: 0
    .wavefront_size: 32
    .workgroup_processor_mode: 1
  - .args:
      - .offset:         0
        .size:           4
        .value_kind:     by_value
      - .offset:         4
        .size:           4
        .value_kind:     by_value
      - .offset:         8
        .size:           8
        .value_kind:     by_value
      - .actual_access:  read_only
        .address_space:  global
        .offset:         16
        .size:           8
        .value_kind:     global_buffer
      - .actual_access:  read_only
        .address_space:  global
        .offset:         24
        .size:           8
        .value_kind:     global_buffer
      - .actual_access:  read_only
        .address_space:  global
        .offset:         32
        .size:           8
        .value_kind:     global_buffer
      - .actual_access:  read_only
        .address_space:  global
        .offset:         40
        .size:           8
        .value_kind:     global_buffer
      - .offset:         48
        .size:           8
        .value_kind:     by_value
      - .address_space:  global
        .offset:         56
        .size:           8
        .value_kind:     global_buffer
      - .offset:         64
        .size:           4
        .value_kind:     by_value
      - .offset:         68
        .size:           1
        .value_kind:     by_value
    .group_segment_fixed_size: 0
    .kernarg_segment_align: 8
    .kernarg_segment_size: 72
    .language:       OpenCL C
    .language_version:
      - 2
      - 0
    .max_flat_workgroup_size: 128
    .name:           _ZN9rocsparseL19gebsrmvn_1xn_kernelILj128ELj16ELj8EfEEvi20rocsparse_direction_NS_24const_host_device_scalarIT2_EEPKiS6_PKS3_S8_S4_PS3_21rocsparse_index_base_b
    .private_segment_fixed_size: 0
    .sgpr_count:     16
    .sgpr_spill_count: 0
    .symbol:         _ZN9rocsparseL19gebsrmvn_1xn_kernelILj128ELj16ELj8EfEEvi20rocsparse_direction_NS_24const_host_device_scalarIT2_EEPKiS6_PKS3_S8_S4_PS3_21rocsparse_index_base_b.kd
    .uniform_work_group_size: 1
    .uses_dynamic_stack: false
    .vgpr_count:     41
    .vgpr_spill_count: 0
    .wavefront_size: 32
    .workgroup_processor_mode: 1
  - .args:
      - .offset:         0
        .size:           4
        .value_kind:     by_value
      - .offset:         4
        .size:           4
        .value_kind:     by_value
      - .offset:         8
        .size:           8
        .value_kind:     by_value
      - .actual_access:  read_only
        .address_space:  global
        .offset:         16
        .size:           8
        .value_kind:     global_buffer
      - .actual_access:  read_only
        .address_space:  global
        .offset:         24
        .size:           8
        .value_kind:     global_buffer
      - .actual_access:  read_only
        .address_space:  global
        .offset:         32
        .size:           8
        .value_kind:     global_buffer
      - .actual_access:  read_only
        .address_space:  global
        .offset:         40
        .size:           8
        .value_kind:     global_buffer
      - .offset:         48
        .size:           8
        .value_kind:     by_value
      - .address_space:  global
        .offset:         56
        .size:           8
        .value_kind:     global_buffer
      - .offset:         64
        .size:           4
        .value_kind:     by_value
      - .offset:         68
        .size:           1
        .value_kind:     by_value
    .group_segment_fixed_size: 0
    .kernarg_segment_align: 8
    .kernarg_segment_size: 72
    .language:       OpenCL C
    .language_version:
      - 2
      - 0
    .max_flat_workgroup_size: 128
    .name:           _ZN9rocsparseL19gebsrmvn_1xn_kernelILj128ELj16ELj16EfEEvi20rocsparse_direction_NS_24const_host_device_scalarIT2_EEPKiS6_PKS3_S8_S4_PS3_21rocsparse_index_base_b
    .private_segment_fixed_size: 0
    .sgpr_count:     16
    .sgpr_spill_count: 0
    .symbol:         _ZN9rocsparseL19gebsrmvn_1xn_kernelILj128ELj16ELj16EfEEvi20rocsparse_direction_NS_24const_host_device_scalarIT2_EEPKiS6_PKS3_S8_S4_PS3_21rocsparse_index_base_b.kd
    .uniform_work_group_size: 1
    .uses_dynamic_stack: false
    .vgpr_count:     41
    .vgpr_spill_count: 0
    .wavefront_size: 32
    .workgroup_processor_mode: 1
  - .args:
      - .offset:         0
        .size:           4
        .value_kind:     by_value
      - .offset:         4
        .size:           4
        .value_kind:     by_value
      - .offset:         8
        .size:           8
        .value_kind:     by_value
      - .actual_access:  read_only
        .address_space:  global
        .offset:         16
        .size:           8
        .value_kind:     global_buffer
      - .actual_access:  read_only
        .address_space:  global
        .offset:         24
        .size:           8
        .value_kind:     global_buffer
      - .actual_access:  read_only
        .address_space:  global
        .offset:         32
        .size:           8
        .value_kind:     global_buffer
      - .actual_access:  read_only
        .address_space:  global
        .offset:         40
        .size:           8
        .value_kind:     global_buffer
      - .offset:         48
        .size:           8
        .value_kind:     by_value
      - .address_space:  global
        .offset:         56
        .size:           8
        .value_kind:     global_buffer
      - .offset:         64
        .size:           4
        .value_kind:     by_value
      - .offset:         68
        .size:           1
        .value_kind:     by_value
    .group_segment_fixed_size: 0
    .kernarg_segment_align: 8
    .kernarg_segment_size: 72
    .language:       OpenCL C
    .language_version:
      - 2
      - 0
    .max_flat_workgroup_size: 128
    .name:           _ZN9rocsparseL19gebsrmvn_1xn_kernelILj128ELj16ELj32EfEEvi20rocsparse_direction_NS_24const_host_device_scalarIT2_EEPKiS6_PKS3_S8_S4_PS3_21rocsparse_index_base_b
    .private_segment_fixed_size: 0
    .sgpr_count:     16
    .sgpr_spill_count: 0
    .symbol:         _ZN9rocsparseL19gebsrmvn_1xn_kernelILj128ELj16ELj32EfEEvi20rocsparse_direction_NS_24const_host_device_scalarIT2_EEPKiS6_PKS3_S8_S4_PS3_21rocsparse_index_base_b.kd
    .uniform_work_group_size: 1
    .uses_dynamic_stack: false
    .vgpr_count:     41
    .vgpr_spill_count: 0
    .wavefront_size: 32
    .workgroup_processor_mode: 1
  - .args:
      - .offset:         0
        .size:           4
        .value_kind:     by_value
      - .offset:         4
        .size:           4
        .value_kind:     by_value
      - .offset:         8
        .size:           8
        .value_kind:     by_value
      - .actual_access:  read_only
        .address_space:  global
        .offset:         16
        .size:           8
        .value_kind:     global_buffer
      - .actual_access:  read_only
        .address_space:  global
        .offset:         24
        .size:           8
        .value_kind:     global_buffer
      - .actual_access:  read_only
        .address_space:  global
        .offset:         32
        .size:           8
        .value_kind:     global_buffer
      - .actual_access:  read_only
        .address_space:  global
        .offset:         40
        .size:           8
        .value_kind:     global_buffer
      - .offset:         48
        .size:           8
        .value_kind:     by_value
      - .address_space:  global
        .offset:         56
        .size:           8
        .value_kind:     global_buffer
      - .offset:         64
        .size:           4
        .value_kind:     by_value
      - .offset:         68
        .size:           1
        .value_kind:     by_value
    .group_segment_fixed_size: 0
    .kernarg_segment_align: 8
    .kernarg_segment_size: 72
    .language:       OpenCL C
    .language_version:
      - 2
      - 0
    .max_flat_workgroup_size: 128
    .name:           _ZN9rocsparseL19gebsrmvn_1xn_kernelILj128ELj16ELj64EfEEvi20rocsparse_direction_NS_24const_host_device_scalarIT2_EEPKiS6_PKS3_S8_S4_PS3_21rocsparse_index_base_b
    .private_segment_fixed_size: 0
    .sgpr_count:     16
    .sgpr_spill_count: 0
    .symbol:         _ZN9rocsparseL19gebsrmvn_1xn_kernelILj128ELj16ELj64EfEEvi20rocsparse_direction_NS_24const_host_device_scalarIT2_EEPKiS6_PKS3_S8_S4_PS3_21rocsparse_index_base_b.kd
    .uniform_work_group_size: 1
    .uses_dynamic_stack: false
    .vgpr_count:     41
    .vgpr_spill_count: 0
    .wavefront_size: 32
    .workgroup_processor_mode: 1
  - .args:
      - .offset:         0
        .size:           4
        .value_kind:     by_value
      - .offset:         4
        .size:           4
        .value_kind:     by_value
      - .offset:         8
        .size:           8
        .value_kind:     by_value
      - .actual_access:  read_only
        .address_space:  global
        .offset:         16
        .size:           8
        .value_kind:     global_buffer
      - .actual_access:  read_only
        .address_space:  global
        .offset:         24
        .size:           8
        .value_kind:     global_buffer
      - .actual_access:  read_only
        .address_space:  global
        .offset:         32
        .size:           8
        .value_kind:     global_buffer
      - .offset:         40
        .size:           4
        .value_kind:     by_value
      - .offset:         44
        .size:           4
        .value_kind:     by_value
      - .actual_access:  read_only
        .address_space:  global
        .offset:         48
        .size:           8
        .value_kind:     global_buffer
      - .offset:         56
        .size:           8
        .value_kind:     by_value
      - .address_space:  global
        .offset:         64
        .size:           8
        .value_kind:     global_buffer
      - .offset:         72
        .size:           4
        .value_kind:     by_value
      - .offset:         76
        .size:           1
        .value_kind:     by_value
    .group_segment_fixed_size: 0
    .kernarg_segment_align: 8
    .kernarg_segment_size: 80
    .language:       OpenCL C
    .language_version:
      - 2
      - 0
    .max_flat_workgroup_size: 32
    .name:           _ZN9rocsparseL23gebsrmvn_general_kernelILj32ELj32EfEEvi20rocsparse_direction_NS_24const_host_device_scalarIT1_EEPKiS6_PKS3_iiS8_S4_PS3_21rocsparse_index_base_b
    .private_segment_fixed_size: 0
    .sgpr_count:     30
    .sgpr_spill_count: 0
    .symbol:         _ZN9rocsparseL23gebsrmvn_general_kernelILj32ELj32EfEEvi20rocsparse_direction_NS_24const_host_device_scalarIT1_EEPKiS6_PKS3_iiS8_S4_PS3_21rocsparse_index_base_b.kd
    .uniform_work_group_size: 1
    .uses_dynamic_stack: false
    .vgpr_count:     15
    .vgpr_spill_count: 0
    .wavefront_size: 32
    .workgroup_processor_mode: 1
  - .args:
      - .offset:         0
        .size:           4
        .value_kind:     by_value
      - .offset:         4
        .size:           4
        .value_kind:     by_value
      - .offset:         8
        .size:           8
        .value_kind:     by_value
      - .actual_access:  read_only
        .address_space:  global
        .offset:         16
        .size:           8
        .value_kind:     global_buffer
      - .actual_access:  read_only
        .address_space:  global
        .offset:         24
        .size:           8
        .value_kind:     global_buffer
      - .actual_access:  read_only
        .address_space:  global
        .offset:         32
        .size:           8
        .value_kind:     global_buffer
      - .actual_access:  read_only
        .address_space:  global
        .offset:         40
        .size:           8
        .value_kind:     global_buffer
      - .offset:         48
        .size:           8
        .value_kind:     by_value
      - .address_space:  global
        .offset:         56
        .size:           8
        .value_kind:     global_buffer
      - .offset:         64
        .size:           4
        .value_kind:     by_value
      - .offset:         68
        .size:           1
        .value_kind:     by_value
    .group_segment_fixed_size: 0
    .kernarg_segment_align: 8
    .kernarg_segment_size: 72
    .language:       OpenCL C
    .language_version:
      - 2
      - 0
    .max_flat_workgroup_size: 128
    .name:           _ZN9rocsparseL19gebsrmvn_1xn_kernelILj128ELj2ELj4EdEEvi20rocsparse_direction_NS_24const_host_device_scalarIT2_EEPKiS6_PKS3_S8_S4_PS3_21rocsparse_index_base_b
    .private_segment_fixed_size: 0
    .sgpr_count:     13
    .sgpr_spill_count: 0
    .symbol:         _ZN9rocsparseL19gebsrmvn_1xn_kernelILj128ELj2ELj4EdEEvi20rocsparse_direction_NS_24const_host_device_scalarIT2_EEPKiS6_PKS3_S8_S4_PS3_21rocsparse_index_base_b.kd
    .uniform_work_group_size: 1
    .uses_dynamic_stack: false
    .vgpr_count:     22
    .vgpr_spill_count: 0
    .wavefront_size: 32
    .workgroup_processor_mode: 1
  - .args:
      - .offset:         0
        .size:           4
        .value_kind:     by_value
      - .offset:         4
        .size:           4
        .value_kind:     by_value
      - .offset:         8
        .size:           8
        .value_kind:     by_value
      - .actual_access:  read_only
        .address_space:  global
        .offset:         16
        .size:           8
        .value_kind:     global_buffer
      - .actual_access:  read_only
        .address_space:  global
        .offset:         24
        .size:           8
        .value_kind:     global_buffer
      - .actual_access:  read_only
        .address_space:  global
        .offset:         32
        .size:           8
        .value_kind:     global_buffer
      - .actual_access:  read_only
        .address_space:  global
        .offset:         40
        .size:           8
        .value_kind:     global_buffer
      - .offset:         48
        .size:           8
        .value_kind:     by_value
      - .address_space:  global
        .offset:         56
        .size:           8
        .value_kind:     global_buffer
      - .offset:         64
        .size:           4
        .value_kind:     by_value
      - .offset:         68
        .size:           1
        .value_kind:     by_value
    .group_segment_fixed_size: 0
    .kernarg_segment_align: 8
    .kernarg_segment_size: 72
    .language:       OpenCL C
    .language_version:
      - 2
      - 0
    .max_flat_workgroup_size: 128
    .name:           _ZN9rocsparseL19gebsrmvn_1xn_kernelILj128ELj2ELj8EdEEvi20rocsparse_direction_NS_24const_host_device_scalarIT2_EEPKiS6_PKS3_S8_S4_PS3_21rocsparse_index_base_b
    .private_segment_fixed_size: 0
    .sgpr_count:     13
    .sgpr_spill_count: 0
    .symbol:         _ZN9rocsparseL19gebsrmvn_1xn_kernelILj128ELj2ELj8EdEEvi20rocsparse_direction_NS_24const_host_device_scalarIT2_EEPKiS6_PKS3_S8_S4_PS3_21rocsparse_index_base_b.kd
    .uniform_work_group_size: 1
    .uses_dynamic_stack: false
    .vgpr_count:     22
    .vgpr_spill_count: 0
    .wavefront_size: 32
    .workgroup_processor_mode: 1
  - .args:
      - .offset:         0
        .size:           4
        .value_kind:     by_value
      - .offset:         4
        .size:           4
        .value_kind:     by_value
      - .offset:         8
        .size:           8
        .value_kind:     by_value
      - .actual_access:  read_only
        .address_space:  global
        .offset:         16
        .size:           8
        .value_kind:     global_buffer
      - .actual_access:  read_only
        .address_space:  global
        .offset:         24
        .size:           8
        .value_kind:     global_buffer
      - .actual_access:  read_only
        .address_space:  global
        .offset:         32
        .size:           8
        .value_kind:     global_buffer
      - .actual_access:  read_only
        .address_space:  global
        .offset:         40
        .size:           8
        .value_kind:     global_buffer
      - .offset:         48
        .size:           8
        .value_kind:     by_value
      - .address_space:  global
        .offset:         56
        .size:           8
        .value_kind:     global_buffer
      - .offset:         64
        .size:           4
        .value_kind:     by_value
      - .offset:         68
        .size:           1
        .value_kind:     by_value
    .group_segment_fixed_size: 0
    .kernarg_segment_align: 8
    .kernarg_segment_size: 72
    .language:       OpenCL C
    .language_version:
      - 2
      - 0
    .max_flat_workgroup_size: 128
    .name:           _ZN9rocsparseL19gebsrmvn_1xn_kernelILj128ELj2ELj16EdEEvi20rocsparse_direction_NS_24const_host_device_scalarIT2_EEPKiS6_PKS3_S8_S4_PS3_21rocsparse_index_base_b
    .private_segment_fixed_size: 0
    .sgpr_count:     13
    .sgpr_spill_count: 0
    .symbol:         _ZN9rocsparseL19gebsrmvn_1xn_kernelILj128ELj2ELj16EdEEvi20rocsparse_direction_NS_24const_host_device_scalarIT2_EEPKiS6_PKS3_S8_S4_PS3_21rocsparse_index_base_b.kd
    .uniform_work_group_size: 1
    .uses_dynamic_stack: false
    .vgpr_count:     22
    .vgpr_spill_count: 0
    .wavefront_size: 32
    .workgroup_processor_mode: 1
  - .args:
      - .offset:         0
        .size:           4
        .value_kind:     by_value
      - .offset:         4
        .size:           4
        .value_kind:     by_value
      - .offset:         8
        .size:           8
        .value_kind:     by_value
      - .actual_access:  read_only
        .address_space:  global
        .offset:         16
        .size:           8
        .value_kind:     global_buffer
      - .actual_access:  read_only
        .address_space:  global
        .offset:         24
        .size:           8
        .value_kind:     global_buffer
      - .actual_access:  read_only
        .address_space:  global
        .offset:         32
        .size:           8
        .value_kind:     global_buffer
      - .actual_access:  read_only
        .address_space:  global
        .offset:         40
        .size:           8
        .value_kind:     global_buffer
      - .offset:         48
        .size:           8
        .value_kind:     by_value
      - .address_space:  global
        .offset:         56
        .size:           8
        .value_kind:     global_buffer
      - .offset:         64
        .size:           4
        .value_kind:     by_value
      - .offset:         68
        .size:           1
        .value_kind:     by_value
    .group_segment_fixed_size: 0
    .kernarg_segment_align: 8
    .kernarg_segment_size: 72
    .language:       OpenCL C
    .language_version:
      - 2
      - 0
    .max_flat_workgroup_size: 128
    .name:           _ZN9rocsparseL19gebsrmvn_1xn_kernelILj128ELj2ELj32EdEEvi20rocsparse_direction_NS_24const_host_device_scalarIT2_EEPKiS6_PKS3_S8_S4_PS3_21rocsparse_index_base_b
    .private_segment_fixed_size: 0
    .sgpr_count:     13
    .sgpr_spill_count: 0
    .symbol:         _ZN9rocsparseL19gebsrmvn_1xn_kernelILj128ELj2ELj32EdEEvi20rocsparse_direction_NS_24const_host_device_scalarIT2_EEPKiS6_PKS3_S8_S4_PS3_21rocsparse_index_base_b.kd
    .uniform_work_group_size: 1
    .uses_dynamic_stack: false
    .vgpr_count:     22
    .vgpr_spill_count: 0
    .wavefront_size: 32
    .workgroup_processor_mode: 1
  - .args:
      - .offset:         0
        .size:           4
        .value_kind:     by_value
      - .offset:         4
        .size:           4
        .value_kind:     by_value
      - .offset:         8
        .size:           8
        .value_kind:     by_value
      - .actual_access:  read_only
        .address_space:  global
        .offset:         16
        .size:           8
        .value_kind:     global_buffer
      - .actual_access:  read_only
        .address_space:  global
        .offset:         24
        .size:           8
        .value_kind:     global_buffer
      - .actual_access:  read_only
        .address_space:  global
        .offset:         32
        .size:           8
        .value_kind:     global_buffer
      - .actual_access:  read_only
        .address_space:  global
        .offset:         40
        .size:           8
        .value_kind:     global_buffer
      - .offset:         48
        .size:           8
        .value_kind:     by_value
      - .address_space:  global
        .offset:         56
        .size:           8
        .value_kind:     global_buffer
      - .offset:         64
        .size:           4
        .value_kind:     by_value
      - .offset:         68
        .size:           1
        .value_kind:     by_value
    .group_segment_fixed_size: 0
    .kernarg_segment_align: 8
    .kernarg_segment_size: 72
    .language:       OpenCL C
    .language_version:
      - 2
      - 0
    .max_flat_workgroup_size: 128
    .name:           _ZN9rocsparseL19gebsrmvn_1xn_kernelILj128ELj2ELj64EdEEvi20rocsparse_direction_NS_24const_host_device_scalarIT2_EEPKiS6_PKS3_S8_S4_PS3_21rocsparse_index_base_b
    .private_segment_fixed_size: 0
    .sgpr_count:     13
    .sgpr_spill_count: 0
    .symbol:         _ZN9rocsparseL19gebsrmvn_1xn_kernelILj128ELj2ELj64EdEEvi20rocsparse_direction_NS_24const_host_device_scalarIT2_EEPKiS6_PKS3_S8_S4_PS3_21rocsparse_index_base_b.kd
    .uniform_work_group_size: 1
    .uses_dynamic_stack: false
    .vgpr_count:     22
    .vgpr_spill_count: 0
    .wavefront_size: 32
    .workgroup_processor_mode: 1
  - .args:
      - .offset:         0
        .size:           4
        .value_kind:     by_value
      - .offset:         4
        .size:           4
        .value_kind:     by_value
      - .offset:         8
        .size:           8
        .value_kind:     by_value
      - .actual_access:  read_only
        .address_space:  global
        .offset:         16
        .size:           8
        .value_kind:     global_buffer
      - .actual_access:  read_only
        .address_space:  global
        .offset:         24
        .size:           8
        .value_kind:     global_buffer
      - .actual_access:  read_only
        .address_space:  global
        .offset:         32
        .size:           8
        .value_kind:     global_buffer
      - .actual_access:  read_only
        .address_space:  global
        .offset:         40
        .size:           8
        .value_kind:     global_buffer
      - .offset:         48
        .size:           8
        .value_kind:     by_value
      - .address_space:  global
        .offset:         56
        .size:           8
        .value_kind:     global_buffer
      - .offset:         64
        .size:           4
        .value_kind:     by_value
      - .offset:         68
        .size:           1
        .value_kind:     by_value
    .group_segment_fixed_size: 0
    .kernarg_segment_align: 8
    .kernarg_segment_size: 72
    .language:       OpenCL C
    .language_version:
      - 2
      - 0
    .max_flat_workgroup_size: 128
    .name:           _ZN9rocsparseL19gebsrmvn_1xn_kernelILj128ELj3ELj4EdEEvi20rocsparse_direction_NS_24const_host_device_scalarIT2_EEPKiS6_PKS3_S8_S4_PS3_21rocsparse_index_base_b
    .private_segment_fixed_size: 0
    .sgpr_count:     13
    .sgpr_spill_count: 0
    .symbol:         _ZN9rocsparseL19gebsrmvn_1xn_kernelILj128ELj3ELj4EdEEvi20rocsparse_direction_NS_24const_host_device_scalarIT2_EEPKiS6_PKS3_S8_S4_PS3_21rocsparse_index_base_b.kd
    .uniform_work_group_size: 1
    .uses_dynamic_stack: false
    .vgpr_count:     28
    .vgpr_spill_count: 0
    .wavefront_size: 32
    .workgroup_processor_mode: 1
  - .args:
      - .offset:         0
        .size:           4
        .value_kind:     by_value
      - .offset:         4
        .size:           4
        .value_kind:     by_value
      - .offset:         8
        .size:           8
        .value_kind:     by_value
      - .actual_access:  read_only
        .address_space:  global
        .offset:         16
        .size:           8
        .value_kind:     global_buffer
      - .actual_access:  read_only
        .address_space:  global
        .offset:         24
        .size:           8
        .value_kind:     global_buffer
      - .actual_access:  read_only
        .address_space:  global
        .offset:         32
        .size:           8
        .value_kind:     global_buffer
      - .actual_access:  read_only
        .address_space:  global
        .offset:         40
        .size:           8
        .value_kind:     global_buffer
      - .offset:         48
        .size:           8
        .value_kind:     by_value
      - .address_space:  global
        .offset:         56
        .size:           8
        .value_kind:     global_buffer
      - .offset:         64
        .size:           4
        .value_kind:     by_value
      - .offset:         68
        .size:           1
        .value_kind:     by_value
    .group_segment_fixed_size: 0
    .kernarg_segment_align: 8
    .kernarg_segment_size: 72
    .language:       OpenCL C
    .language_version:
      - 2
      - 0
    .max_flat_workgroup_size: 128
    .name:           _ZN9rocsparseL19gebsrmvn_1xn_kernelILj128ELj3ELj8EdEEvi20rocsparse_direction_NS_24const_host_device_scalarIT2_EEPKiS6_PKS3_S8_S4_PS3_21rocsparse_index_base_b
    .private_segment_fixed_size: 0
    .sgpr_count:     13
    .sgpr_spill_count: 0
    .symbol:         _ZN9rocsparseL19gebsrmvn_1xn_kernelILj128ELj3ELj8EdEEvi20rocsparse_direction_NS_24const_host_device_scalarIT2_EEPKiS6_PKS3_S8_S4_PS3_21rocsparse_index_base_b.kd
    .uniform_work_group_size: 1
    .uses_dynamic_stack: false
    .vgpr_count:     28
    .vgpr_spill_count: 0
    .wavefront_size: 32
    .workgroup_processor_mode: 1
  - .args:
      - .offset:         0
        .size:           4
        .value_kind:     by_value
      - .offset:         4
        .size:           4
        .value_kind:     by_value
      - .offset:         8
        .size:           8
        .value_kind:     by_value
      - .actual_access:  read_only
        .address_space:  global
        .offset:         16
        .size:           8
        .value_kind:     global_buffer
      - .actual_access:  read_only
        .address_space:  global
        .offset:         24
        .size:           8
        .value_kind:     global_buffer
      - .actual_access:  read_only
        .address_space:  global
        .offset:         32
        .size:           8
        .value_kind:     global_buffer
      - .actual_access:  read_only
        .address_space:  global
        .offset:         40
        .size:           8
        .value_kind:     global_buffer
      - .offset:         48
        .size:           8
        .value_kind:     by_value
      - .address_space:  global
        .offset:         56
        .size:           8
        .value_kind:     global_buffer
      - .offset:         64
        .size:           4
        .value_kind:     by_value
      - .offset:         68
        .size:           1
        .value_kind:     by_value
    .group_segment_fixed_size: 0
    .kernarg_segment_align: 8
    .kernarg_segment_size: 72
    .language:       OpenCL C
    .language_version:
      - 2
      - 0
    .max_flat_workgroup_size: 128
    .name:           _ZN9rocsparseL19gebsrmvn_1xn_kernelILj128ELj3ELj16EdEEvi20rocsparse_direction_NS_24const_host_device_scalarIT2_EEPKiS6_PKS3_S8_S4_PS3_21rocsparse_index_base_b
    .private_segment_fixed_size: 0
    .sgpr_count:     13
    .sgpr_spill_count: 0
    .symbol:         _ZN9rocsparseL19gebsrmvn_1xn_kernelILj128ELj3ELj16EdEEvi20rocsparse_direction_NS_24const_host_device_scalarIT2_EEPKiS6_PKS3_S8_S4_PS3_21rocsparse_index_base_b.kd
    .uniform_work_group_size: 1
    .uses_dynamic_stack: false
    .vgpr_count:     28
    .vgpr_spill_count: 0
    .wavefront_size: 32
    .workgroup_processor_mode: 1
  - .args:
      - .offset:         0
        .size:           4
        .value_kind:     by_value
      - .offset:         4
        .size:           4
        .value_kind:     by_value
      - .offset:         8
        .size:           8
        .value_kind:     by_value
      - .actual_access:  read_only
        .address_space:  global
        .offset:         16
        .size:           8
        .value_kind:     global_buffer
      - .actual_access:  read_only
        .address_space:  global
        .offset:         24
        .size:           8
        .value_kind:     global_buffer
      - .actual_access:  read_only
        .address_space:  global
        .offset:         32
        .size:           8
        .value_kind:     global_buffer
      - .actual_access:  read_only
        .address_space:  global
        .offset:         40
        .size:           8
        .value_kind:     global_buffer
      - .offset:         48
        .size:           8
        .value_kind:     by_value
      - .address_space:  global
        .offset:         56
        .size:           8
        .value_kind:     global_buffer
      - .offset:         64
        .size:           4
        .value_kind:     by_value
      - .offset:         68
        .size:           1
        .value_kind:     by_value
    .group_segment_fixed_size: 0
    .kernarg_segment_align: 8
    .kernarg_segment_size: 72
    .language:       OpenCL C
    .language_version:
      - 2
      - 0
    .max_flat_workgroup_size: 128
    .name:           _ZN9rocsparseL19gebsrmvn_1xn_kernelILj128ELj3ELj32EdEEvi20rocsparse_direction_NS_24const_host_device_scalarIT2_EEPKiS6_PKS3_S8_S4_PS3_21rocsparse_index_base_b
    .private_segment_fixed_size: 0
    .sgpr_count:     13
    .sgpr_spill_count: 0
    .symbol:         _ZN9rocsparseL19gebsrmvn_1xn_kernelILj128ELj3ELj32EdEEvi20rocsparse_direction_NS_24const_host_device_scalarIT2_EEPKiS6_PKS3_S8_S4_PS3_21rocsparse_index_base_b.kd
    .uniform_work_group_size: 1
    .uses_dynamic_stack: false
    .vgpr_count:     28
    .vgpr_spill_count: 0
    .wavefront_size: 32
    .workgroup_processor_mode: 1
  - .args:
      - .offset:         0
        .size:           4
        .value_kind:     by_value
      - .offset:         4
        .size:           4
        .value_kind:     by_value
      - .offset:         8
        .size:           8
        .value_kind:     by_value
      - .actual_access:  read_only
        .address_space:  global
        .offset:         16
        .size:           8
        .value_kind:     global_buffer
      - .actual_access:  read_only
        .address_space:  global
        .offset:         24
        .size:           8
        .value_kind:     global_buffer
      - .actual_access:  read_only
        .address_space:  global
        .offset:         32
        .size:           8
        .value_kind:     global_buffer
      - .actual_access:  read_only
        .address_space:  global
        .offset:         40
        .size:           8
        .value_kind:     global_buffer
      - .offset:         48
        .size:           8
        .value_kind:     by_value
      - .address_space:  global
        .offset:         56
        .size:           8
        .value_kind:     global_buffer
      - .offset:         64
        .size:           4
        .value_kind:     by_value
      - .offset:         68
        .size:           1
        .value_kind:     by_value
    .group_segment_fixed_size: 0
    .kernarg_segment_align: 8
    .kernarg_segment_size: 72
    .language:       OpenCL C
    .language_version:
      - 2
      - 0
    .max_flat_workgroup_size: 128
    .name:           _ZN9rocsparseL19gebsrmvn_1xn_kernelILj128ELj3ELj64EdEEvi20rocsparse_direction_NS_24const_host_device_scalarIT2_EEPKiS6_PKS3_S8_S4_PS3_21rocsparse_index_base_b
    .private_segment_fixed_size: 0
    .sgpr_count:     13
    .sgpr_spill_count: 0
    .symbol:         _ZN9rocsparseL19gebsrmvn_1xn_kernelILj128ELj3ELj64EdEEvi20rocsparse_direction_NS_24const_host_device_scalarIT2_EEPKiS6_PKS3_S8_S4_PS3_21rocsparse_index_base_b.kd
    .uniform_work_group_size: 1
    .uses_dynamic_stack: false
    .vgpr_count:     28
    .vgpr_spill_count: 0
    .wavefront_size: 32
    .workgroup_processor_mode: 1
  - .args:
      - .offset:         0
        .size:           4
        .value_kind:     by_value
      - .offset:         4
        .size:           4
        .value_kind:     by_value
      - .offset:         8
        .size:           8
        .value_kind:     by_value
      - .actual_access:  read_only
        .address_space:  global
        .offset:         16
        .size:           8
        .value_kind:     global_buffer
      - .actual_access:  read_only
        .address_space:  global
        .offset:         24
        .size:           8
        .value_kind:     global_buffer
      - .actual_access:  read_only
        .address_space:  global
        .offset:         32
        .size:           8
        .value_kind:     global_buffer
      - .actual_access:  read_only
        .address_space:  global
        .offset:         40
        .size:           8
        .value_kind:     global_buffer
      - .offset:         48
        .size:           8
        .value_kind:     by_value
      - .address_space:  global
        .offset:         56
        .size:           8
        .value_kind:     global_buffer
      - .offset:         64
        .size:           4
        .value_kind:     by_value
      - .offset:         68
        .size:           1
        .value_kind:     by_value
    .group_segment_fixed_size: 0
    .kernarg_segment_align: 8
    .kernarg_segment_size: 72
    .language:       OpenCL C
    .language_version:
      - 2
      - 0
    .max_flat_workgroup_size: 128
    .name:           _ZN9rocsparseL19gebsrmvn_1xn_kernelILj128ELj4ELj4EdEEvi20rocsparse_direction_NS_24const_host_device_scalarIT2_EEPKiS6_PKS3_S8_S4_PS3_21rocsparse_index_base_b
    .private_segment_fixed_size: 0
    .sgpr_count:     13
    .sgpr_spill_count: 0
    .symbol:         _ZN9rocsparseL19gebsrmvn_1xn_kernelILj128ELj4ELj4EdEEvi20rocsparse_direction_NS_24const_host_device_scalarIT2_EEPKiS6_PKS3_S8_S4_PS3_21rocsparse_index_base_b.kd
    .uniform_work_group_size: 1
    .uses_dynamic_stack: false
    .vgpr_count:     30
    .vgpr_spill_count: 0
    .wavefront_size: 32
    .workgroup_processor_mode: 1
  - .args:
      - .offset:         0
        .size:           4
        .value_kind:     by_value
      - .offset:         4
        .size:           4
        .value_kind:     by_value
      - .offset:         8
        .size:           8
        .value_kind:     by_value
      - .actual_access:  read_only
        .address_space:  global
        .offset:         16
        .size:           8
        .value_kind:     global_buffer
      - .actual_access:  read_only
        .address_space:  global
        .offset:         24
        .size:           8
        .value_kind:     global_buffer
      - .actual_access:  read_only
        .address_space:  global
        .offset:         32
        .size:           8
        .value_kind:     global_buffer
      - .actual_access:  read_only
        .address_space:  global
        .offset:         40
        .size:           8
        .value_kind:     global_buffer
      - .offset:         48
        .size:           8
        .value_kind:     by_value
      - .address_space:  global
        .offset:         56
        .size:           8
        .value_kind:     global_buffer
      - .offset:         64
        .size:           4
        .value_kind:     by_value
      - .offset:         68
        .size:           1
        .value_kind:     by_value
    .group_segment_fixed_size: 0
    .kernarg_segment_align: 8
    .kernarg_segment_size: 72
    .language:       OpenCL C
    .language_version:
      - 2
      - 0
    .max_flat_workgroup_size: 128
    .name:           _ZN9rocsparseL19gebsrmvn_1xn_kernelILj128ELj4ELj8EdEEvi20rocsparse_direction_NS_24const_host_device_scalarIT2_EEPKiS6_PKS3_S8_S4_PS3_21rocsparse_index_base_b
    .private_segment_fixed_size: 0
    .sgpr_count:     13
    .sgpr_spill_count: 0
    .symbol:         _ZN9rocsparseL19gebsrmvn_1xn_kernelILj128ELj4ELj8EdEEvi20rocsparse_direction_NS_24const_host_device_scalarIT2_EEPKiS6_PKS3_S8_S4_PS3_21rocsparse_index_base_b.kd
    .uniform_work_group_size: 1
    .uses_dynamic_stack: false
    .vgpr_count:     30
    .vgpr_spill_count: 0
    .wavefront_size: 32
    .workgroup_processor_mode: 1
  - .args:
      - .offset:         0
        .size:           4
        .value_kind:     by_value
      - .offset:         4
        .size:           4
        .value_kind:     by_value
      - .offset:         8
        .size:           8
        .value_kind:     by_value
      - .actual_access:  read_only
        .address_space:  global
        .offset:         16
        .size:           8
        .value_kind:     global_buffer
      - .actual_access:  read_only
        .address_space:  global
        .offset:         24
        .size:           8
        .value_kind:     global_buffer
      - .actual_access:  read_only
        .address_space:  global
        .offset:         32
        .size:           8
        .value_kind:     global_buffer
      - .actual_access:  read_only
        .address_space:  global
        .offset:         40
        .size:           8
        .value_kind:     global_buffer
      - .offset:         48
        .size:           8
        .value_kind:     by_value
      - .address_space:  global
        .offset:         56
        .size:           8
        .value_kind:     global_buffer
      - .offset:         64
        .size:           4
        .value_kind:     by_value
      - .offset:         68
        .size:           1
        .value_kind:     by_value
    .group_segment_fixed_size: 0
    .kernarg_segment_align: 8
    .kernarg_segment_size: 72
    .language:       OpenCL C
    .language_version:
      - 2
      - 0
    .max_flat_workgroup_size: 128
    .name:           _ZN9rocsparseL19gebsrmvn_1xn_kernelILj128ELj4ELj16EdEEvi20rocsparse_direction_NS_24const_host_device_scalarIT2_EEPKiS6_PKS3_S8_S4_PS3_21rocsparse_index_base_b
    .private_segment_fixed_size: 0
    .sgpr_count:     13
    .sgpr_spill_count: 0
    .symbol:         _ZN9rocsparseL19gebsrmvn_1xn_kernelILj128ELj4ELj16EdEEvi20rocsparse_direction_NS_24const_host_device_scalarIT2_EEPKiS6_PKS3_S8_S4_PS3_21rocsparse_index_base_b.kd
    .uniform_work_group_size: 1
    .uses_dynamic_stack: false
    .vgpr_count:     30
    .vgpr_spill_count: 0
    .wavefront_size: 32
    .workgroup_processor_mode: 1
  - .args:
      - .offset:         0
        .size:           4
        .value_kind:     by_value
      - .offset:         4
        .size:           4
        .value_kind:     by_value
      - .offset:         8
        .size:           8
        .value_kind:     by_value
      - .actual_access:  read_only
        .address_space:  global
        .offset:         16
        .size:           8
        .value_kind:     global_buffer
      - .actual_access:  read_only
        .address_space:  global
        .offset:         24
        .size:           8
        .value_kind:     global_buffer
      - .actual_access:  read_only
        .address_space:  global
        .offset:         32
        .size:           8
        .value_kind:     global_buffer
      - .actual_access:  read_only
        .address_space:  global
        .offset:         40
        .size:           8
        .value_kind:     global_buffer
      - .offset:         48
        .size:           8
        .value_kind:     by_value
      - .address_space:  global
        .offset:         56
        .size:           8
        .value_kind:     global_buffer
      - .offset:         64
        .size:           4
        .value_kind:     by_value
      - .offset:         68
        .size:           1
        .value_kind:     by_value
    .group_segment_fixed_size: 0
    .kernarg_segment_align: 8
    .kernarg_segment_size: 72
    .language:       OpenCL C
    .language_version:
      - 2
      - 0
    .max_flat_workgroup_size: 128
    .name:           _ZN9rocsparseL19gebsrmvn_1xn_kernelILj128ELj4ELj32EdEEvi20rocsparse_direction_NS_24const_host_device_scalarIT2_EEPKiS6_PKS3_S8_S4_PS3_21rocsparse_index_base_b
    .private_segment_fixed_size: 0
    .sgpr_count:     13
    .sgpr_spill_count: 0
    .symbol:         _ZN9rocsparseL19gebsrmvn_1xn_kernelILj128ELj4ELj32EdEEvi20rocsparse_direction_NS_24const_host_device_scalarIT2_EEPKiS6_PKS3_S8_S4_PS3_21rocsparse_index_base_b.kd
    .uniform_work_group_size: 1
    .uses_dynamic_stack: false
    .vgpr_count:     30
    .vgpr_spill_count: 0
    .wavefront_size: 32
    .workgroup_processor_mode: 1
  - .args:
      - .offset:         0
        .size:           4
        .value_kind:     by_value
      - .offset:         4
        .size:           4
        .value_kind:     by_value
      - .offset:         8
        .size:           8
        .value_kind:     by_value
      - .actual_access:  read_only
        .address_space:  global
        .offset:         16
        .size:           8
        .value_kind:     global_buffer
      - .actual_access:  read_only
        .address_space:  global
        .offset:         24
        .size:           8
        .value_kind:     global_buffer
      - .actual_access:  read_only
        .address_space:  global
        .offset:         32
        .size:           8
        .value_kind:     global_buffer
      - .actual_access:  read_only
        .address_space:  global
        .offset:         40
        .size:           8
        .value_kind:     global_buffer
      - .offset:         48
        .size:           8
        .value_kind:     by_value
      - .address_space:  global
        .offset:         56
        .size:           8
        .value_kind:     global_buffer
      - .offset:         64
        .size:           4
        .value_kind:     by_value
      - .offset:         68
        .size:           1
        .value_kind:     by_value
    .group_segment_fixed_size: 0
    .kernarg_segment_align: 8
    .kernarg_segment_size: 72
    .language:       OpenCL C
    .language_version:
      - 2
      - 0
    .max_flat_workgroup_size: 128
    .name:           _ZN9rocsparseL19gebsrmvn_1xn_kernelILj128ELj4ELj64EdEEvi20rocsparse_direction_NS_24const_host_device_scalarIT2_EEPKiS6_PKS3_S8_S4_PS3_21rocsparse_index_base_b
    .private_segment_fixed_size: 0
    .sgpr_count:     13
    .sgpr_spill_count: 0
    .symbol:         _ZN9rocsparseL19gebsrmvn_1xn_kernelILj128ELj4ELj64EdEEvi20rocsparse_direction_NS_24const_host_device_scalarIT2_EEPKiS6_PKS3_S8_S4_PS3_21rocsparse_index_base_b.kd
    .uniform_work_group_size: 1
    .uses_dynamic_stack: false
    .vgpr_count:     30
    .vgpr_spill_count: 0
    .wavefront_size: 32
    .workgroup_processor_mode: 1
  - .args:
      - .offset:         0
        .size:           4
        .value_kind:     by_value
      - .offset:         4
        .size:           4
        .value_kind:     by_value
      - .offset:         8
        .size:           8
        .value_kind:     by_value
      - .actual_access:  read_only
        .address_space:  global
        .offset:         16
        .size:           8
        .value_kind:     global_buffer
      - .actual_access:  read_only
        .address_space:  global
        .offset:         24
        .size:           8
        .value_kind:     global_buffer
      - .actual_access:  read_only
        .address_space:  global
        .offset:         32
        .size:           8
        .value_kind:     global_buffer
      - .actual_access:  read_only
        .address_space:  global
        .offset:         40
        .size:           8
        .value_kind:     global_buffer
      - .offset:         48
        .size:           8
        .value_kind:     by_value
      - .address_space:  global
        .offset:         56
        .size:           8
        .value_kind:     global_buffer
      - .offset:         64
        .size:           4
        .value_kind:     by_value
      - .offset:         68
        .size:           1
        .value_kind:     by_value
    .group_segment_fixed_size: 0
    .kernarg_segment_align: 8
    .kernarg_segment_size: 72
    .language:       OpenCL C
    .language_version:
      - 2
      - 0
    .max_flat_workgroup_size: 128
    .name:           _ZN9rocsparseL19gebsrmvn_1xn_kernelILj128ELj5ELj4EdEEvi20rocsparse_direction_NS_24const_host_device_scalarIT2_EEPKiS6_PKS3_S8_S4_PS3_21rocsparse_index_base_b
    .private_segment_fixed_size: 0
    .sgpr_count:     16
    .sgpr_spill_count: 0
    .symbol:         _ZN9rocsparseL19gebsrmvn_1xn_kernelILj128ELj5ELj4EdEEvi20rocsparse_direction_NS_24const_host_device_scalarIT2_EEPKiS6_PKS3_S8_S4_PS3_21rocsparse_index_base_b.kd
    .uniform_work_group_size: 1
    .uses_dynamic_stack: false
    .vgpr_count:     36
    .vgpr_spill_count: 0
    .wavefront_size: 32
    .workgroup_processor_mode: 1
  - .args:
      - .offset:         0
        .size:           4
        .value_kind:     by_value
      - .offset:         4
        .size:           4
        .value_kind:     by_value
      - .offset:         8
        .size:           8
        .value_kind:     by_value
      - .actual_access:  read_only
        .address_space:  global
        .offset:         16
        .size:           8
        .value_kind:     global_buffer
      - .actual_access:  read_only
        .address_space:  global
        .offset:         24
        .size:           8
        .value_kind:     global_buffer
      - .actual_access:  read_only
        .address_space:  global
        .offset:         32
        .size:           8
        .value_kind:     global_buffer
      - .actual_access:  read_only
        .address_space:  global
        .offset:         40
        .size:           8
        .value_kind:     global_buffer
      - .offset:         48
        .size:           8
        .value_kind:     by_value
      - .address_space:  global
        .offset:         56
        .size:           8
        .value_kind:     global_buffer
      - .offset:         64
        .size:           4
        .value_kind:     by_value
      - .offset:         68
        .size:           1
        .value_kind:     by_value
    .group_segment_fixed_size: 0
    .kernarg_segment_align: 8
    .kernarg_segment_size: 72
    .language:       OpenCL C
    .language_version:
      - 2
      - 0
    .max_flat_workgroup_size: 128
    .name:           _ZN9rocsparseL19gebsrmvn_1xn_kernelILj128ELj5ELj8EdEEvi20rocsparse_direction_NS_24const_host_device_scalarIT2_EEPKiS6_PKS3_S8_S4_PS3_21rocsparse_index_base_b
    .private_segment_fixed_size: 0
    .sgpr_count:     16
    .sgpr_spill_count: 0
    .symbol:         _ZN9rocsparseL19gebsrmvn_1xn_kernelILj128ELj5ELj8EdEEvi20rocsparse_direction_NS_24const_host_device_scalarIT2_EEPKiS6_PKS3_S8_S4_PS3_21rocsparse_index_base_b.kd
    .uniform_work_group_size: 1
    .uses_dynamic_stack: false
    .vgpr_count:     36
    .vgpr_spill_count: 0
    .wavefront_size: 32
    .workgroup_processor_mode: 1
  - .args:
      - .offset:         0
        .size:           4
        .value_kind:     by_value
      - .offset:         4
        .size:           4
        .value_kind:     by_value
      - .offset:         8
        .size:           8
        .value_kind:     by_value
      - .actual_access:  read_only
        .address_space:  global
        .offset:         16
        .size:           8
        .value_kind:     global_buffer
      - .actual_access:  read_only
        .address_space:  global
        .offset:         24
        .size:           8
        .value_kind:     global_buffer
      - .actual_access:  read_only
        .address_space:  global
        .offset:         32
        .size:           8
        .value_kind:     global_buffer
      - .actual_access:  read_only
        .address_space:  global
        .offset:         40
        .size:           8
        .value_kind:     global_buffer
      - .offset:         48
        .size:           8
        .value_kind:     by_value
      - .address_space:  global
        .offset:         56
        .size:           8
        .value_kind:     global_buffer
      - .offset:         64
        .size:           4
        .value_kind:     by_value
      - .offset:         68
        .size:           1
        .value_kind:     by_value
    .group_segment_fixed_size: 0
    .kernarg_segment_align: 8
    .kernarg_segment_size: 72
    .language:       OpenCL C
    .language_version:
      - 2
      - 0
    .max_flat_workgroup_size: 128
    .name:           _ZN9rocsparseL19gebsrmvn_1xn_kernelILj128ELj5ELj16EdEEvi20rocsparse_direction_NS_24const_host_device_scalarIT2_EEPKiS6_PKS3_S8_S4_PS3_21rocsparse_index_base_b
    .private_segment_fixed_size: 0
    .sgpr_count:     16
    .sgpr_spill_count: 0
    .symbol:         _ZN9rocsparseL19gebsrmvn_1xn_kernelILj128ELj5ELj16EdEEvi20rocsparse_direction_NS_24const_host_device_scalarIT2_EEPKiS6_PKS3_S8_S4_PS3_21rocsparse_index_base_b.kd
    .uniform_work_group_size: 1
    .uses_dynamic_stack: false
    .vgpr_count:     36
    .vgpr_spill_count: 0
    .wavefront_size: 32
    .workgroup_processor_mode: 1
  - .args:
      - .offset:         0
        .size:           4
        .value_kind:     by_value
      - .offset:         4
        .size:           4
        .value_kind:     by_value
      - .offset:         8
        .size:           8
        .value_kind:     by_value
      - .actual_access:  read_only
        .address_space:  global
        .offset:         16
        .size:           8
        .value_kind:     global_buffer
      - .actual_access:  read_only
        .address_space:  global
        .offset:         24
        .size:           8
        .value_kind:     global_buffer
      - .actual_access:  read_only
        .address_space:  global
        .offset:         32
        .size:           8
        .value_kind:     global_buffer
      - .actual_access:  read_only
        .address_space:  global
        .offset:         40
        .size:           8
        .value_kind:     global_buffer
      - .offset:         48
        .size:           8
        .value_kind:     by_value
      - .address_space:  global
        .offset:         56
        .size:           8
        .value_kind:     global_buffer
      - .offset:         64
        .size:           4
        .value_kind:     by_value
      - .offset:         68
        .size:           1
        .value_kind:     by_value
    .group_segment_fixed_size: 0
    .kernarg_segment_align: 8
    .kernarg_segment_size: 72
    .language:       OpenCL C
    .language_version:
      - 2
      - 0
    .max_flat_workgroup_size: 128
    .name:           _ZN9rocsparseL19gebsrmvn_1xn_kernelILj128ELj5ELj32EdEEvi20rocsparse_direction_NS_24const_host_device_scalarIT2_EEPKiS6_PKS3_S8_S4_PS3_21rocsparse_index_base_b
    .private_segment_fixed_size: 0
    .sgpr_count:     16
    .sgpr_spill_count: 0
    .symbol:         _ZN9rocsparseL19gebsrmvn_1xn_kernelILj128ELj5ELj32EdEEvi20rocsparse_direction_NS_24const_host_device_scalarIT2_EEPKiS6_PKS3_S8_S4_PS3_21rocsparse_index_base_b.kd
    .uniform_work_group_size: 1
    .uses_dynamic_stack: false
    .vgpr_count:     36
    .vgpr_spill_count: 0
    .wavefront_size: 32
    .workgroup_processor_mode: 1
  - .args:
      - .offset:         0
        .size:           4
        .value_kind:     by_value
      - .offset:         4
        .size:           4
        .value_kind:     by_value
      - .offset:         8
        .size:           8
        .value_kind:     by_value
      - .actual_access:  read_only
        .address_space:  global
        .offset:         16
        .size:           8
        .value_kind:     global_buffer
      - .actual_access:  read_only
        .address_space:  global
        .offset:         24
        .size:           8
        .value_kind:     global_buffer
      - .actual_access:  read_only
        .address_space:  global
        .offset:         32
        .size:           8
        .value_kind:     global_buffer
      - .actual_access:  read_only
        .address_space:  global
        .offset:         40
        .size:           8
        .value_kind:     global_buffer
      - .offset:         48
        .size:           8
        .value_kind:     by_value
      - .address_space:  global
        .offset:         56
        .size:           8
        .value_kind:     global_buffer
      - .offset:         64
        .size:           4
        .value_kind:     by_value
      - .offset:         68
        .size:           1
        .value_kind:     by_value
    .group_segment_fixed_size: 0
    .kernarg_segment_align: 8
    .kernarg_segment_size: 72
    .language:       OpenCL C
    .language_version:
      - 2
      - 0
    .max_flat_workgroup_size: 128
    .name:           _ZN9rocsparseL19gebsrmvn_1xn_kernelILj128ELj5ELj64EdEEvi20rocsparse_direction_NS_24const_host_device_scalarIT2_EEPKiS6_PKS3_S8_S4_PS3_21rocsparse_index_base_b
    .private_segment_fixed_size: 0
    .sgpr_count:     16
    .sgpr_spill_count: 0
    .symbol:         _ZN9rocsparseL19gebsrmvn_1xn_kernelILj128ELj5ELj64EdEEvi20rocsparse_direction_NS_24const_host_device_scalarIT2_EEPKiS6_PKS3_S8_S4_PS3_21rocsparse_index_base_b.kd
    .uniform_work_group_size: 1
    .uses_dynamic_stack: false
    .vgpr_count:     36
    .vgpr_spill_count: 0
    .wavefront_size: 32
    .workgroup_processor_mode: 1
  - .args:
      - .offset:         0
        .size:           4
        .value_kind:     by_value
      - .offset:         4
        .size:           4
        .value_kind:     by_value
      - .offset:         8
        .size:           8
        .value_kind:     by_value
      - .actual_access:  read_only
        .address_space:  global
        .offset:         16
        .size:           8
        .value_kind:     global_buffer
      - .actual_access:  read_only
        .address_space:  global
        .offset:         24
        .size:           8
        .value_kind:     global_buffer
      - .actual_access:  read_only
        .address_space:  global
        .offset:         32
        .size:           8
        .value_kind:     global_buffer
      - .actual_access:  read_only
        .address_space:  global
        .offset:         40
        .size:           8
        .value_kind:     global_buffer
      - .offset:         48
        .size:           8
        .value_kind:     by_value
      - .address_space:  global
        .offset:         56
        .size:           8
        .value_kind:     global_buffer
      - .offset:         64
        .size:           4
        .value_kind:     by_value
      - .offset:         68
        .size:           1
        .value_kind:     by_value
    .group_segment_fixed_size: 0
    .kernarg_segment_align: 8
    .kernarg_segment_size: 72
    .language:       OpenCL C
    .language_version:
      - 2
      - 0
    .max_flat_workgroup_size: 128
    .name:           _ZN9rocsparseL19gebsrmvn_1xn_kernelILj128ELj6ELj4EdEEvi20rocsparse_direction_NS_24const_host_device_scalarIT2_EEPKiS6_PKS3_S8_S4_PS3_21rocsparse_index_base_b
    .private_segment_fixed_size: 0
    .sgpr_count:     13
    .sgpr_spill_count: 0
    .symbol:         _ZN9rocsparseL19gebsrmvn_1xn_kernelILj128ELj6ELj4EdEEvi20rocsparse_direction_NS_24const_host_device_scalarIT2_EEPKiS6_PKS3_S8_S4_PS3_21rocsparse_index_base_b.kd
    .uniform_work_group_size: 1
    .uses_dynamic_stack: false
    .vgpr_count:     39
    .vgpr_spill_count: 0
    .wavefront_size: 32
    .workgroup_processor_mode: 1
  - .args:
      - .offset:         0
        .size:           4
        .value_kind:     by_value
      - .offset:         4
        .size:           4
        .value_kind:     by_value
      - .offset:         8
        .size:           8
        .value_kind:     by_value
      - .actual_access:  read_only
        .address_space:  global
        .offset:         16
        .size:           8
        .value_kind:     global_buffer
      - .actual_access:  read_only
        .address_space:  global
        .offset:         24
        .size:           8
        .value_kind:     global_buffer
      - .actual_access:  read_only
        .address_space:  global
        .offset:         32
        .size:           8
        .value_kind:     global_buffer
      - .actual_access:  read_only
        .address_space:  global
        .offset:         40
        .size:           8
        .value_kind:     global_buffer
      - .offset:         48
        .size:           8
        .value_kind:     by_value
      - .address_space:  global
        .offset:         56
        .size:           8
        .value_kind:     global_buffer
      - .offset:         64
        .size:           4
        .value_kind:     by_value
      - .offset:         68
        .size:           1
        .value_kind:     by_value
    .group_segment_fixed_size: 0
    .kernarg_segment_align: 8
    .kernarg_segment_size: 72
    .language:       OpenCL C
    .language_version:
      - 2
      - 0
    .max_flat_workgroup_size: 128
    .name:           _ZN9rocsparseL19gebsrmvn_1xn_kernelILj128ELj6ELj8EdEEvi20rocsparse_direction_NS_24const_host_device_scalarIT2_EEPKiS6_PKS3_S8_S4_PS3_21rocsparse_index_base_b
    .private_segment_fixed_size: 0
    .sgpr_count:     13
    .sgpr_spill_count: 0
    .symbol:         _ZN9rocsparseL19gebsrmvn_1xn_kernelILj128ELj6ELj8EdEEvi20rocsparse_direction_NS_24const_host_device_scalarIT2_EEPKiS6_PKS3_S8_S4_PS3_21rocsparse_index_base_b.kd
    .uniform_work_group_size: 1
    .uses_dynamic_stack: false
    .vgpr_count:     39
    .vgpr_spill_count: 0
    .wavefront_size: 32
    .workgroup_processor_mode: 1
  - .args:
      - .offset:         0
        .size:           4
        .value_kind:     by_value
      - .offset:         4
        .size:           4
        .value_kind:     by_value
      - .offset:         8
        .size:           8
        .value_kind:     by_value
      - .actual_access:  read_only
        .address_space:  global
        .offset:         16
        .size:           8
        .value_kind:     global_buffer
      - .actual_access:  read_only
        .address_space:  global
        .offset:         24
        .size:           8
        .value_kind:     global_buffer
      - .actual_access:  read_only
        .address_space:  global
        .offset:         32
        .size:           8
        .value_kind:     global_buffer
      - .actual_access:  read_only
        .address_space:  global
        .offset:         40
        .size:           8
        .value_kind:     global_buffer
      - .offset:         48
        .size:           8
        .value_kind:     by_value
      - .address_space:  global
        .offset:         56
        .size:           8
        .value_kind:     global_buffer
      - .offset:         64
        .size:           4
        .value_kind:     by_value
      - .offset:         68
        .size:           1
        .value_kind:     by_value
    .group_segment_fixed_size: 0
    .kernarg_segment_align: 8
    .kernarg_segment_size: 72
    .language:       OpenCL C
    .language_version:
      - 2
      - 0
    .max_flat_workgroup_size: 128
    .name:           _ZN9rocsparseL19gebsrmvn_1xn_kernelILj128ELj6ELj16EdEEvi20rocsparse_direction_NS_24const_host_device_scalarIT2_EEPKiS6_PKS3_S8_S4_PS3_21rocsparse_index_base_b
    .private_segment_fixed_size: 0
    .sgpr_count:     13
    .sgpr_spill_count: 0
    .symbol:         _ZN9rocsparseL19gebsrmvn_1xn_kernelILj128ELj6ELj16EdEEvi20rocsparse_direction_NS_24const_host_device_scalarIT2_EEPKiS6_PKS3_S8_S4_PS3_21rocsparse_index_base_b.kd
    .uniform_work_group_size: 1
    .uses_dynamic_stack: false
    .vgpr_count:     39
    .vgpr_spill_count: 0
    .wavefront_size: 32
    .workgroup_processor_mode: 1
  - .args:
      - .offset:         0
        .size:           4
        .value_kind:     by_value
      - .offset:         4
        .size:           4
        .value_kind:     by_value
      - .offset:         8
        .size:           8
        .value_kind:     by_value
      - .actual_access:  read_only
        .address_space:  global
        .offset:         16
        .size:           8
        .value_kind:     global_buffer
      - .actual_access:  read_only
        .address_space:  global
        .offset:         24
        .size:           8
        .value_kind:     global_buffer
      - .actual_access:  read_only
        .address_space:  global
        .offset:         32
        .size:           8
        .value_kind:     global_buffer
      - .actual_access:  read_only
        .address_space:  global
        .offset:         40
        .size:           8
        .value_kind:     global_buffer
      - .offset:         48
        .size:           8
        .value_kind:     by_value
      - .address_space:  global
        .offset:         56
        .size:           8
        .value_kind:     global_buffer
      - .offset:         64
        .size:           4
        .value_kind:     by_value
      - .offset:         68
        .size:           1
        .value_kind:     by_value
    .group_segment_fixed_size: 0
    .kernarg_segment_align: 8
    .kernarg_segment_size: 72
    .language:       OpenCL C
    .language_version:
      - 2
      - 0
    .max_flat_workgroup_size: 128
    .name:           _ZN9rocsparseL19gebsrmvn_1xn_kernelILj128ELj6ELj32EdEEvi20rocsparse_direction_NS_24const_host_device_scalarIT2_EEPKiS6_PKS3_S8_S4_PS3_21rocsparse_index_base_b
    .private_segment_fixed_size: 0
    .sgpr_count:     13
    .sgpr_spill_count: 0
    .symbol:         _ZN9rocsparseL19gebsrmvn_1xn_kernelILj128ELj6ELj32EdEEvi20rocsparse_direction_NS_24const_host_device_scalarIT2_EEPKiS6_PKS3_S8_S4_PS3_21rocsparse_index_base_b.kd
    .uniform_work_group_size: 1
    .uses_dynamic_stack: false
    .vgpr_count:     39
    .vgpr_spill_count: 0
    .wavefront_size: 32
    .workgroup_processor_mode: 1
  - .args:
      - .offset:         0
        .size:           4
        .value_kind:     by_value
      - .offset:         4
        .size:           4
        .value_kind:     by_value
      - .offset:         8
        .size:           8
        .value_kind:     by_value
      - .actual_access:  read_only
        .address_space:  global
        .offset:         16
        .size:           8
        .value_kind:     global_buffer
      - .actual_access:  read_only
        .address_space:  global
        .offset:         24
        .size:           8
        .value_kind:     global_buffer
      - .actual_access:  read_only
        .address_space:  global
        .offset:         32
        .size:           8
        .value_kind:     global_buffer
      - .actual_access:  read_only
        .address_space:  global
        .offset:         40
        .size:           8
        .value_kind:     global_buffer
      - .offset:         48
        .size:           8
        .value_kind:     by_value
      - .address_space:  global
        .offset:         56
        .size:           8
        .value_kind:     global_buffer
      - .offset:         64
        .size:           4
        .value_kind:     by_value
      - .offset:         68
        .size:           1
        .value_kind:     by_value
    .group_segment_fixed_size: 0
    .kernarg_segment_align: 8
    .kernarg_segment_size: 72
    .language:       OpenCL C
    .language_version:
      - 2
      - 0
    .max_flat_workgroup_size: 128
    .name:           _ZN9rocsparseL19gebsrmvn_1xn_kernelILj128ELj6ELj64EdEEvi20rocsparse_direction_NS_24const_host_device_scalarIT2_EEPKiS6_PKS3_S8_S4_PS3_21rocsparse_index_base_b
    .private_segment_fixed_size: 0
    .sgpr_count:     13
    .sgpr_spill_count: 0
    .symbol:         _ZN9rocsparseL19gebsrmvn_1xn_kernelILj128ELj6ELj64EdEEvi20rocsparse_direction_NS_24const_host_device_scalarIT2_EEPKiS6_PKS3_S8_S4_PS3_21rocsparse_index_base_b.kd
    .uniform_work_group_size: 1
    .uses_dynamic_stack: false
    .vgpr_count:     39
    .vgpr_spill_count: 0
    .wavefront_size: 32
    .workgroup_processor_mode: 1
  - .args:
      - .offset:         0
        .size:           4
        .value_kind:     by_value
      - .offset:         4
        .size:           4
        .value_kind:     by_value
      - .offset:         8
        .size:           8
        .value_kind:     by_value
      - .actual_access:  read_only
        .address_space:  global
        .offset:         16
        .size:           8
        .value_kind:     global_buffer
      - .actual_access:  read_only
        .address_space:  global
        .offset:         24
        .size:           8
        .value_kind:     global_buffer
      - .actual_access:  read_only
        .address_space:  global
        .offset:         32
        .size:           8
        .value_kind:     global_buffer
      - .actual_access:  read_only
        .address_space:  global
        .offset:         40
        .size:           8
        .value_kind:     global_buffer
      - .offset:         48
        .size:           8
        .value_kind:     by_value
      - .address_space:  global
        .offset:         56
        .size:           8
        .value_kind:     global_buffer
      - .offset:         64
        .size:           4
        .value_kind:     by_value
      - .offset:         68
        .size:           1
        .value_kind:     by_value
    .group_segment_fixed_size: 0
    .kernarg_segment_align: 8
    .kernarg_segment_size: 72
    .language:       OpenCL C
    .language_version:
      - 2
      - 0
    .max_flat_workgroup_size: 128
    .name:           _ZN9rocsparseL19gebsrmvn_1xn_kernelILj128ELj7ELj4EdEEvi20rocsparse_direction_NS_24const_host_device_scalarIT2_EEPKiS6_PKS3_S8_S4_PS3_21rocsparse_index_base_b
    .private_segment_fixed_size: 0
    .sgpr_count:     16
    .sgpr_spill_count: 0
    .symbol:         _ZN9rocsparseL19gebsrmvn_1xn_kernelILj128ELj7ELj4EdEEvi20rocsparse_direction_NS_24const_host_device_scalarIT2_EEPKiS6_PKS3_S8_S4_PS3_21rocsparse_index_base_b.kd
    .uniform_work_group_size: 1
    .uses_dynamic_stack: false
    .vgpr_count:     44
    .vgpr_spill_count: 0
    .wavefront_size: 32
    .workgroup_processor_mode: 1
  - .args:
      - .offset:         0
        .size:           4
        .value_kind:     by_value
      - .offset:         4
        .size:           4
        .value_kind:     by_value
      - .offset:         8
        .size:           8
        .value_kind:     by_value
      - .actual_access:  read_only
        .address_space:  global
        .offset:         16
        .size:           8
        .value_kind:     global_buffer
      - .actual_access:  read_only
        .address_space:  global
        .offset:         24
        .size:           8
        .value_kind:     global_buffer
      - .actual_access:  read_only
        .address_space:  global
        .offset:         32
        .size:           8
        .value_kind:     global_buffer
      - .actual_access:  read_only
        .address_space:  global
        .offset:         40
        .size:           8
        .value_kind:     global_buffer
      - .offset:         48
        .size:           8
        .value_kind:     by_value
      - .address_space:  global
        .offset:         56
        .size:           8
        .value_kind:     global_buffer
      - .offset:         64
        .size:           4
        .value_kind:     by_value
      - .offset:         68
        .size:           1
        .value_kind:     by_value
    .group_segment_fixed_size: 0
    .kernarg_segment_align: 8
    .kernarg_segment_size: 72
    .language:       OpenCL C
    .language_version:
      - 2
      - 0
    .max_flat_workgroup_size: 128
    .name:           _ZN9rocsparseL19gebsrmvn_1xn_kernelILj128ELj7ELj8EdEEvi20rocsparse_direction_NS_24const_host_device_scalarIT2_EEPKiS6_PKS3_S8_S4_PS3_21rocsparse_index_base_b
    .private_segment_fixed_size: 0
    .sgpr_count:     16
    .sgpr_spill_count: 0
    .symbol:         _ZN9rocsparseL19gebsrmvn_1xn_kernelILj128ELj7ELj8EdEEvi20rocsparse_direction_NS_24const_host_device_scalarIT2_EEPKiS6_PKS3_S8_S4_PS3_21rocsparse_index_base_b.kd
    .uniform_work_group_size: 1
    .uses_dynamic_stack: false
    .vgpr_count:     44
    .vgpr_spill_count: 0
    .wavefront_size: 32
    .workgroup_processor_mode: 1
  - .args:
      - .offset:         0
        .size:           4
        .value_kind:     by_value
      - .offset:         4
        .size:           4
        .value_kind:     by_value
      - .offset:         8
        .size:           8
        .value_kind:     by_value
      - .actual_access:  read_only
        .address_space:  global
        .offset:         16
        .size:           8
        .value_kind:     global_buffer
      - .actual_access:  read_only
        .address_space:  global
        .offset:         24
        .size:           8
        .value_kind:     global_buffer
      - .actual_access:  read_only
        .address_space:  global
        .offset:         32
        .size:           8
        .value_kind:     global_buffer
      - .actual_access:  read_only
        .address_space:  global
        .offset:         40
        .size:           8
        .value_kind:     global_buffer
      - .offset:         48
        .size:           8
        .value_kind:     by_value
      - .address_space:  global
        .offset:         56
        .size:           8
        .value_kind:     global_buffer
      - .offset:         64
        .size:           4
        .value_kind:     by_value
      - .offset:         68
        .size:           1
        .value_kind:     by_value
    .group_segment_fixed_size: 0
    .kernarg_segment_align: 8
    .kernarg_segment_size: 72
    .language:       OpenCL C
    .language_version:
      - 2
      - 0
    .max_flat_workgroup_size: 128
    .name:           _ZN9rocsparseL19gebsrmvn_1xn_kernelILj128ELj7ELj16EdEEvi20rocsparse_direction_NS_24const_host_device_scalarIT2_EEPKiS6_PKS3_S8_S4_PS3_21rocsparse_index_base_b
    .private_segment_fixed_size: 0
    .sgpr_count:     16
    .sgpr_spill_count: 0
    .symbol:         _ZN9rocsparseL19gebsrmvn_1xn_kernelILj128ELj7ELj16EdEEvi20rocsparse_direction_NS_24const_host_device_scalarIT2_EEPKiS6_PKS3_S8_S4_PS3_21rocsparse_index_base_b.kd
    .uniform_work_group_size: 1
    .uses_dynamic_stack: false
    .vgpr_count:     44
    .vgpr_spill_count: 0
    .wavefront_size: 32
    .workgroup_processor_mode: 1
  - .args:
      - .offset:         0
        .size:           4
        .value_kind:     by_value
      - .offset:         4
        .size:           4
        .value_kind:     by_value
      - .offset:         8
        .size:           8
        .value_kind:     by_value
      - .actual_access:  read_only
        .address_space:  global
        .offset:         16
        .size:           8
        .value_kind:     global_buffer
      - .actual_access:  read_only
        .address_space:  global
        .offset:         24
        .size:           8
        .value_kind:     global_buffer
      - .actual_access:  read_only
        .address_space:  global
        .offset:         32
        .size:           8
        .value_kind:     global_buffer
      - .actual_access:  read_only
        .address_space:  global
        .offset:         40
        .size:           8
        .value_kind:     global_buffer
      - .offset:         48
        .size:           8
        .value_kind:     by_value
      - .address_space:  global
        .offset:         56
        .size:           8
        .value_kind:     global_buffer
      - .offset:         64
        .size:           4
        .value_kind:     by_value
      - .offset:         68
        .size:           1
        .value_kind:     by_value
    .group_segment_fixed_size: 0
    .kernarg_segment_align: 8
    .kernarg_segment_size: 72
    .language:       OpenCL C
    .language_version:
      - 2
      - 0
    .max_flat_workgroup_size: 128
    .name:           _ZN9rocsparseL19gebsrmvn_1xn_kernelILj128ELj7ELj32EdEEvi20rocsparse_direction_NS_24const_host_device_scalarIT2_EEPKiS6_PKS3_S8_S4_PS3_21rocsparse_index_base_b
    .private_segment_fixed_size: 0
    .sgpr_count:     16
    .sgpr_spill_count: 0
    .symbol:         _ZN9rocsparseL19gebsrmvn_1xn_kernelILj128ELj7ELj32EdEEvi20rocsparse_direction_NS_24const_host_device_scalarIT2_EEPKiS6_PKS3_S8_S4_PS3_21rocsparse_index_base_b.kd
    .uniform_work_group_size: 1
    .uses_dynamic_stack: false
    .vgpr_count:     44
    .vgpr_spill_count: 0
    .wavefront_size: 32
    .workgroup_processor_mode: 1
  - .args:
      - .offset:         0
        .size:           4
        .value_kind:     by_value
      - .offset:         4
        .size:           4
        .value_kind:     by_value
      - .offset:         8
        .size:           8
        .value_kind:     by_value
      - .actual_access:  read_only
        .address_space:  global
        .offset:         16
        .size:           8
        .value_kind:     global_buffer
      - .actual_access:  read_only
        .address_space:  global
        .offset:         24
        .size:           8
        .value_kind:     global_buffer
      - .actual_access:  read_only
        .address_space:  global
        .offset:         32
        .size:           8
        .value_kind:     global_buffer
      - .actual_access:  read_only
        .address_space:  global
        .offset:         40
        .size:           8
        .value_kind:     global_buffer
      - .offset:         48
        .size:           8
        .value_kind:     by_value
      - .address_space:  global
        .offset:         56
        .size:           8
        .value_kind:     global_buffer
      - .offset:         64
        .size:           4
        .value_kind:     by_value
      - .offset:         68
        .size:           1
        .value_kind:     by_value
    .group_segment_fixed_size: 0
    .kernarg_segment_align: 8
    .kernarg_segment_size: 72
    .language:       OpenCL C
    .language_version:
      - 2
      - 0
    .max_flat_workgroup_size: 128
    .name:           _ZN9rocsparseL19gebsrmvn_1xn_kernelILj128ELj7ELj64EdEEvi20rocsparse_direction_NS_24const_host_device_scalarIT2_EEPKiS6_PKS3_S8_S4_PS3_21rocsparse_index_base_b
    .private_segment_fixed_size: 0
    .sgpr_count:     16
    .sgpr_spill_count: 0
    .symbol:         _ZN9rocsparseL19gebsrmvn_1xn_kernelILj128ELj7ELj64EdEEvi20rocsparse_direction_NS_24const_host_device_scalarIT2_EEPKiS6_PKS3_S8_S4_PS3_21rocsparse_index_base_b.kd
    .uniform_work_group_size: 1
    .uses_dynamic_stack: false
    .vgpr_count:     44
    .vgpr_spill_count: 0
    .wavefront_size: 32
    .workgroup_processor_mode: 1
  - .args:
      - .offset:         0
        .size:           4
        .value_kind:     by_value
      - .offset:         4
        .size:           4
        .value_kind:     by_value
      - .offset:         8
        .size:           8
        .value_kind:     by_value
      - .actual_access:  read_only
        .address_space:  global
        .offset:         16
        .size:           8
        .value_kind:     global_buffer
      - .actual_access:  read_only
        .address_space:  global
        .offset:         24
        .size:           8
        .value_kind:     global_buffer
      - .actual_access:  read_only
        .address_space:  global
        .offset:         32
        .size:           8
        .value_kind:     global_buffer
      - .actual_access:  read_only
        .address_space:  global
        .offset:         40
        .size:           8
        .value_kind:     global_buffer
      - .offset:         48
        .size:           8
        .value_kind:     by_value
      - .address_space:  global
        .offset:         56
        .size:           8
        .value_kind:     global_buffer
      - .offset:         64
        .size:           4
        .value_kind:     by_value
      - .offset:         68
        .size:           1
        .value_kind:     by_value
    .group_segment_fixed_size: 0
    .kernarg_segment_align: 8
    .kernarg_segment_size: 72
    .language:       OpenCL C
    .language_version:
      - 2
      - 0
    .max_flat_workgroup_size: 128
    .name:           _ZN9rocsparseL19gebsrmvn_1xn_kernelILj128ELj8ELj4EdEEvi20rocsparse_direction_NS_24const_host_device_scalarIT2_EEPKiS6_PKS3_S8_S4_PS3_21rocsparse_index_base_b
    .private_segment_fixed_size: 0
    .sgpr_count:     13
    .sgpr_spill_count: 0
    .symbol:         _ZN9rocsparseL19gebsrmvn_1xn_kernelILj128ELj8ELj4EdEEvi20rocsparse_direction_NS_24const_host_device_scalarIT2_EEPKiS6_PKS3_S8_S4_PS3_21rocsparse_index_base_b.kd
    .uniform_work_group_size: 1
    .uses_dynamic_stack: false
    .vgpr_count:     46
    .vgpr_spill_count: 0
    .wavefront_size: 32
    .workgroup_processor_mode: 1
  - .args:
      - .offset:         0
        .size:           4
        .value_kind:     by_value
      - .offset:         4
        .size:           4
        .value_kind:     by_value
      - .offset:         8
        .size:           8
        .value_kind:     by_value
      - .actual_access:  read_only
        .address_space:  global
        .offset:         16
        .size:           8
        .value_kind:     global_buffer
      - .actual_access:  read_only
        .address_space:  global
        .offset:         24
        .size:           8
        .value_kind:     global_buffer
      - .actual_access:  read_only
        .address_space:  global
        .offset:         32
        .size:           8
        .value_kind:     global_buffer
      - .actual_access:  read_only
        .address_space:  global
        .offset:         40
        .size:           8
        .value_kind:     global_buffer
      - .offset:         48
        .size:           8
        .value_kind:     by_value
      - .address_space:  global
        .offset:         56
        .size:           8
        .value_kind:     global_buffer
      - .offset:         64
        .size:           4
        .value_kind:     by_value
      - .offset:         68
        .size:           1
        .value_kind:     by_value
    .group_segment_fixed_size: 0
    .kernarg_segment_align: 8
    .kernarg_segment_size: 72
    .language:       OpenCL C
    .language_version:
      - 2
      - 0
    .max_flat_workgroup_size: 128
    .name:           _ZN9rocsparseL19gebsrmvn_1xn_kernelILj128ELj8ELj8EdEEvi20rocsparse_direction_NS_24const_host_device_scalarIT2_EEPKiS6_PKS3_S8_S4_PS3_21rocsparse_index_base_b
    .private_segment_fixed_size: 0
    .sgpr_count:     13
    .sgpr_spill_count: 0
    .symbol:         _ZN9rocsparseL19gebsrmvn_1xn_kernelILj128ELj8ELj8EdEEvi20rocsparse_direction_NS_24const_host_device_scalarIT2_EEPKiS6_PKS3_S8_S4_PS3_21rocsparse_index_base_b.kd
    .uniform_work_group_size: 1
    .uses_dynamic_stack: false
    .vgpr_count:     46
    .vgpr_spill_count: 0
    .wavefront_size: 32
    .workgroup_processor_mode: 1
  - .args:
      - .offset:         0
        .size:           4
        .value_kind:     by_value
      - .offset:         4
        .size:           4
        .value_kind:     by_value
      - .offset:         8
        .size:           8
        .value_kind:     by_value
      - .actual_access:  read_only
        .address_space:  global
        .offset:         16
        .size:           8
        .value_kind:     global_buffer
      - .actual_access:  read_only
        .address_space:  global
        .offset:         24
        .size:           8
        .value_kind:     global_buffer
      - .actual_access:  read_only
        .address_space:  global
        .offset:         32
        .size:           8
        .value_kind:     global_buffer
      - .actual_access:  read_only
        .address_space:  global
        .offset:         40
        .size:           8
        .value_kind:     global_buffer
      - .offset:         48
        .size:           8
        .value_kind:     by_value
      - .address_space:  global
        .offset:         56
        .size:           8
        .value_kind:     global_buffer
      - .offset:         64
        .size:           4
        .value_kind:     by_value
      - .offset:         68
        .size:           1
        .value_kind:     by_value
    .group_segment_fixed_size: 0
    .kernarg_segment_align: 8
    .kernarg_segment_size: 72
    .language:       OpenCL C
    .language_version:
      - 2
      - 0
    .max_flat_workgroup_size: 128
    .name:           _ZN9rocsparseL19gebsrmvn_1xn_kernelILj128ELj8ELj16EdEEvi20rocsparse_direction_NS_24const_host_device_scalarIT2_EEPKiS6_PKS3_S8_S4_PS3_21rocsparse_index_base_b
    .private_segment_fixed_size: 0
    .sgpr_count:     13
    .sgpr_spill_count: 0
    .symbol:         _ZN9rocsparseL19gebsrmvn_1xn_kernelILj128ELj8ELj16EdEEvi20rocsparse_direction_NS_24const_host_device_scalarIT2_EEPKiS6_PKS3_S8_S4_PS3_21rocsparse_index_base_b.kd
    .uniform_work_group_size: 1
    .uses_dynamic_stack: false
    .vgpr_count:     46
    .vgpr_spill_count: 0
    .wavefront_size: 32
    .workgroup_processor_mode: 1
  - .args:
      - .offset:         0
        .size:           4
        .value_kind:     by_value
      - .offset:         4
        .size:           4
        .value_kind:     by_value
      - .offset:         8
        .size:           8
        .value_kind:     by_value
      - .actual_access:  read_only
        .address_space:  global
        .offset:         16
        .size:           8
        .value_kind:     global_buffer
      - .actual_access:  read_only
        .address_space:  global
        .offset:         24
        .size:           8
        .value_kind:     global_buffer
      - .actual_access:  read_only
        .address_space:  global
        .offset:         32
        .size:           8
        .value_kind:     global_buffer
      - .actual_access:  read_only
        .address_space:  global
        .offset:         40
        .size:           8
        .value_kind:     global_buffer
      - .offset:         48
        .size:           8
        .value_kind:     by_value
      - .address_space:  global
        .offset:         56
        .size:           8
        .value_kind:     global_buffer
      - .offset:         64
        .size:           4
        .value_kind:     by_value
      - .offset:         68
        .size:           1
        .value_kind:     by_value
    .group_segment_fixed_size: 0
    .kernarg_segment_align: 8
    .kernarg_segment_size: 72
    .language:       OpenCL C
    .language_version:
      - 2
      - 0
    .max_flat_workgroup_size: 128
    .name:           _ZN9rocsparseL19gebsrmvn_1xn_kernelILj128ELj8ELj32EdEEvi20rocsparse_direction_NS_24const_host_device_scalarIT2_EEPKiS6_PKS3_S8_S4_PS3_21rocsparse_index_base_b
    .private_segment_fixed_size: 0
    .sgpr_count:     13
    .sgpr_spill_count: 0
    .symbol:         _ZN9rocsparseL19gebsrmvn_1xn_kernelILj128ELj8ELj32EdEEvi20rocsparse_direction_NS_24const_host_device_scalarIT2_EEPKiS6_PKS3_S8_S4_PS3_21rocsparse_index_base_b.kd
    .uniform_work_group_size: 1
    .uses_dynamic_stack: false
    .vgpr_count:     46
    .vgpr_spill_count: 0
    .wavefront_size: 32
    .workgroup_processor_mode: 1
  - .args:
      - .offset:         0
        .size:           4
        .value_kind:     by_value
      - .offset:         4
        .size:           4
        .value_kind:     by_value
      - .offset:         8
        .size:           8
        .value_kind:     by_value
      - .actual_access:  read_only
        .address_space:  global
        .offset:         16
        .size:           8
        .value_kind:     global_buffer
      - .actual_access:  read_only
        .address_space:  global
        .offset:         24
        .size:           8
        .value_kind:     global_buffer
      - .actual_access:  read_only
        .address_space:  global
        .offset:         32
        .size:           8
        .value_kind:     global_buffer
      - .actual_access:  read_only
        .address_space:  global
        .offset:         40
        .size:           8
        .value_kind:     global_buffer
      - .offset:         48
        .size:           8
        .value_kind:     by_value
      - .address_space:  global
        .offset:         56
        .size:           8
        .value_kind:     global_buffer
      - .offset:         64
        .size:           4
        .value_kind:     by_value
      - .offset:         68
        .size:           1
        .value_kind:     by_value
    .group_segment_fixed_size: 0
    .kernarg_segment_align: 8
    .kernarg_segment_size: 72
    .language:       OpenCL C
    .language_version:
      - 2
      - 0
    .max_flat_workgroup_size: 128
    .name:           _ZN9rocsparseL19gebsrmvn_1xn_kernelILj128ELj8ELj64EdEEvi20rocsparse_direction_NS_24const_host_device_scalarIT2_EEPKiS6_PKS3_S8_S4_PS3_21rocsparse_index_base_b
    .private_segment_fixed_size: 0
    .sgpr_count:     13
    .sgpr_spill_count: 0
    .symbol:         _ZN9rocsparseL19gebsrmvn_1xn_kernelILj128ELj8ELj64EdEEvi20rocsparse_direction_NS_24const_host_device_scalarIT2_EEPKiS6_PKS3_S8_S4_PS3_21rocsparse_index_base_b.kd
    .uniform_work_group_size: 1
    .uses_dynamic_stack: false
    .vgpr_count:     46
    .vgpr_spill_count: 0
    .wavefront_size: 32
    .workgroup_processor_mode: 1
  - .args:
      - .offset:         0
        .size:           4
        .value_kind:     by_value
      - .offset:         4
        .size:           4
        .value_kind:     by_value
      - .offset:         8
        .size:           8
        .value_kind:     by_value
      - .actual_access:  read_only
        .address_space:  global
        .offset:         16
        .size:           8
        .value_kind:     global_buffer
      - .actual_access:  read_only
        .address_space:  global
        .offset:         24
        .size:           8
        .value_kind:     global_buffer
      - .actual_access:  read_only
        .address_space:  global
        .offset:         32
        .size:           8
        .value_kind:     global_buffer
      - .actual_access:  read_only
        .address_space:  global
        .offset:         40
        .size:           8
        .value_kind:     global_buffer
      - .offset:         48
        .size:           8
        .value_kind:     by_value
      - .address_space:  global
        .offset:         56
        .size:           8
        .value_kind:     global_buffer
      - .offset:         64
        .size:           4
        .value_kind:     by_value
      - .offset:         68
        .size:           1
        .value_kind:     by_value
    .group_segment_fixed_size: 0
    .kernarg_segment_align: 8
    .kernarg_segment_size: 72
    .language:       OpenCL C
    .language_version:
      - 2
      - 0
    .max_flat_workgroup_size: 128
    .name:           _ZN9rocsparseL19gebsrmvn_1xn_kernelILj128ELj9ELj4EdEEvi20rocsparse_direction_NS_24const_host_device_scalarIT2_EEPKiS6_PKS3_S8_S4_PS3_21rocsparse_index_base_b
    .private_segment_fixed_size: 0
    .sgpr_count:     16
    .sgpr_spill_count: 0
    .symbol:         _ZN9rocsparseL19gebsrmvn_1xn_kernelILj128ELj9ELj4EdEEvi20rocsparse_direction_NS_24const_host_device_scalarIT2_EEPKiS6_PKS3_S8_S4_PS3_21rocsparse_index_base_b.kd
    .uniform_work_group_size: 1
    .uses_dynamic_stack: false
    .vgpr_count:     52
    .vgpr_spill_count: 0
    .wavefront_size: 32
    .workgroup_processor_mode: 1
  - .args:
      - .offset:         0
        .size:           4
        .value_kind:     by_value
      - .offset:         4
        .size:           4
        .value_kind:     by_value
      - .offset:         8
        .size:           8
        .value_kind:     by_value
      - .actual_access:  read_only
        .address_space:  global
        .offset:         16
        .size:           8
        .value_kind:     global_buffer
      - .actual_access:  read_only
        .address_space:  global
        .offset:         24
        .size:           8
        .value_kind:     global_buffer
      - .actual_access:  read_only
        .address_space:  global
        .offset:         32
        .size:           8
        .value_kind:     global_buffer
      - .actual_access:  read_only
        .address_space:  global
        .offset:         40
        .size:           8
        .value_kind:     global_buffer
      - .offset:         48
        .size:           8
        .value_kind:     by_value
      - .address_space:  global
        .offset:         56
        .size:           8
        .value_kind:     global_buffer
      - .offset:         64
        .size:           4
        .value_kind:     by_value
      - .offset:         68
        .size:           1
        .value_kind:     by_value
    .group_segment_fixed_size: 0
    .kernarg_segment_align: 8
    .kernarg_segment_size: 72
    .language:       OpenCL C
    .language_version:
      - 2
      - 0
    .max_flat_workgroup_size: 128
    .name:           _ZN9rocsparseL19gebsrmvn_1xn_kernelILj128ELj9ELj8EdEEvi20rocsparse_direction_NS_24const_host_device_scalarIT2_EEPKiS6_PKS3_S8_S4_PS3_21rocsparse_index_base_b
    .private_segment_fixed_size: 0
    .sgpr_count:     16
    .sgpr_spill_count: 0
    .symbol:         _ZN9rocsparseL19gebsrmvn_1xn_kernelILj128ELj9ELj8EdEEvi20rocsparse_direction_NS_24const_host_device_scalarIT2_EEPKiS6_PKS3_S8_S4_PS3_21rocsparse_index_base_b.kd
    .uniform_work_group_size: 1
    .uses_dynamic_stack: false
    .vgpr_count:     52
    .vgpr_spill_count: 0
    .wavefront_size: 32
    .workgroup_processor_mode: 1
  - .args:
      - .offset:         0
        .size:           4
        .value_kind:     by_value
      - .offset:         4
        .size:           4
        .value_kind:     by_value
      - .offset:         8
        .size:           8
        .value_kind:     by_value
      - .actual_access:  read_only
        .address_space:  global
        .offset:         16
        .size:           8
        .value_kind:     global_buffer
      - .actual_access:  read_only
        .address_space:  global
        .offset:         24
        .size:           8
        .value_kind:     global_buffer
      - .actual_access:  read_only
        .address_space:  global
        .offset:         32
        .size:           8
        .value_kind:     global_buffer
      - .actual_access:  read_only
        .address_space:  global
        .offset:         40
        .size:           8
        .value_kind:     global_buffer
      - .offset:         48
        .size:           8
        .value_kind:     by_value
      - .address_space:  global
        .offset:         56
        .size:           8
        .value_kind:     global_buffer
      - .offset:         64
        .size:           4
        .value_kind:     by_value
      - .offset:         68
        .size:           1
        .value_kind:     by_value
    .group_segment_fixed_size: 0
    .kernarg_segment_align: 8
    .kernarg_segment_size: 72
    .language:       OpenCL C
    .language_version:
      - 2
      - 0
    .max_flat_workgroup_size: 128
    .name:           _ZN9rocsparseL19gebsrmvn_1xn_kernelILj128ELj9ELj16EdEEvi20rocsparse_direction_NS_24const_host_device_scalarIT2_EEPKiS6_PKS3_S8_S4_PS3_21rocsparse_index_base_b
    .private_segment_fixed_size: 0
    .sgpr_count:     16
    .sgpr_spill_count: 0
    .symbol:         _ZN9rocsparseL19gebsrmvn_1xn_kernelILj128ELj9ELj16EdEEvi20rocsparse_direction_NS_24const_host_device_scalarIT2_EEPKiS6_PKS3_S8_S4_PS3_21rocsparse_index_base_b.kd
    .uniform_work_group_size: 1
    .uses_dynamic_stack: false
    .vgpr_count:     52
    .vgpr_spill_count: 0
    .wavefront_size: 32
    .workgroup_processor_mode: 1
  - .args:
      - .offset:         0
        .size:           4
        .value_kind:     by_value
      - .offset:         4
        .size:           4
        .value_kind:     by_value
      - .offset:         8
        .size:           8
        .value_kind:     by_value
      - .actual_access:  read_only
        .address_space:  global
        .offset:         16
        .size:           8
        .value_kind:     global_buffer
      - .actual_access:  read_only
        .address_space:  global
        .offset:         24
        .size:           8
        .value_kind:     global_buffer
      - .actual_access:  read_only
        .address_space:  global
        .offset:         32
        .size:           8
        .value_kind:     global_buffer
      - .actual_access:  read_only
        .address_space:  global
        .offset:         40
        .size:           8
        .value_kind:     global_buffer
      - .offset:         48
        .size:           8
        .value_kind:     by_value
      - .address_space:  global
        .offset:         56
        .size:           8
        .value_kind:     global_buffer
      - .offset:         64
        .size:           4
        .value_kind:     by_value
      - .offset:         68
        .size:           1
        .value_kind:     by_value
    .group_segment_fixed_size: 0
    .kernarg_segment_align: 8
    .kernarg_segment_size: 72
    .language:       OpenCL C
    .language_version:
      - 2
      - 0
    .max_flat_workgroup_size: 128
    .name:           _ZN9rocsparseL19gebsrmvn_1xn_kernelILj128ELj9ELj32EdEEvi20rocsparse_direction_NS_24const_host_device_scalarIT2_EEPKiS6_PKS3_S8_S4_PS3_21rocsparse_index_base_b
    .private_segment_fixed_size: 0
    .sgpr_count:     16
    .sgpr_spill_count: 0
    .symbol:         _ZN9rocsparseL19gebsrmvn_1xn_kernelILj128ELj9ELj32EdEEvi20rocsparse_direction_NS_24const_host_device_scalarIT2_EEPKiS6_PKS3_S8_S4_PS3_21rocsparse_index_base_b.kd
    .uniform_work_group_size: 1
    .uses_dynamic_stack: false
    .vgpr_count:     52
    .vgpr_spill_count: 0
    .wavefront_size: 32
    .workgroup_processor_mode: 1
  - .args:
      - .offset:         0
        .size:           4
        .value_kind:     by_value
      - .offset:         4
        .size:           4
        .value_kind:     by_value
      - .offset:         8
        .size:           8
        .value_kind:     by_value
      - .actual_access:  read_only
        .address_space:  global
        .offset:         16
        .size:           8
        .value_kind:     global_buffer
      - .actual_access:  read_only
        .address_space:  global
        .offset:         24
        .size:           8
        .value_kind:     global_buffer
      - .actual_access:  read_only
        .address_space:  global
        .offset:         32
        .size:           8
        .value_kind:     global_buffer
      - .actual_access:  read_only
        .address_space:  global
        .offset:         40
        .size:           8
        .value_kind:     global_buffer
      - .offset:         48
        .size:           8
        .value_kind:     by_value
      - .address_space:  global
        .offset:         56
        .size:           8
        .value_kind:     global_buffer
      - .offset:         64
        .size:           4
        .value_kind:     by_value
      - .offset:         68
        .size:           1
        .value_kind:     by_value
    .group_segment_fixed_size: 0
    .kernarg_segment_align: 8
    .kernarg_segment_size: 72
    .language:       OpenCL C
    .language_version:
      - 2
      - 0
    .max_flat_workgroup_size: 128
    .name:           _ZN9rocsparseL19gebsrmvn_1xn_kernelILj128ELj9ELj64EdEEvi20rocsparse_direction_NS_24const_host_device_scalarIT2_EEPKiS6_PKS3_S8_S4_PS3_21rocsparse_index_base_b
    .private_segment_fixed_size: 0
    .sgpr_count:     16
    .sgpr_spill_count: 0
    .symbol:         _ZN9rocsparseL19gebsrmvn_1xn_kernelILj128ELj9ELj64EdEEvi20rocsparse_direction_NS_24const_host_device_scalarIT2_EEPKiS6_PKS3_S8_S4_PS3_21rocsparse_index_base_b.kd
    .uniform_work_group_size: 1
    .uses_dynamic_stack: false
    .vgpr_count:     52
    .vgpr_spill_count: 0
    .wavefront_size: 32
    .workgroup_processor_mode: 1
  - .args:
      - .offset:         0
        .size:           4
        .value_kind:     by_value
      - .offset:         4
        .size:           4
        .value_kind:     by_value
      - .offset:         8
        .size:           8
        .value_kind:     by_value
      - .actual_access:  read_only
        .address_space:  global
        .offset:         16
        .size:           8
        .value_kind:     global_buffer
      - .actual_access:  read_only
        .address_space:  global
        .offset:         24
        .size:           8
        .value_kind:     global_buffer
      - .actual_access:  read_only
        .address_space:  global
        .offset:         32
        .size:           8
        .value_kind:     global_buffer
      - .actual_access:  read_only
        .address_space:  global
        .offset:         40
        .size:           8
        .value_kind:     global_buffer
      - .offset:         48
        .size:           8
        .value_kind:     by_value
      - .address_space:  global
        .offset:         56
        .size:           8
        .value_kind:     global_buffer
      - .offset:         64
        .size:           4
        .value_kind:     by_value
      - .offset:         68
        .size:           1
        .value_kind:     by_value
    .group_segment_fixed_size: 0
    .kernarg_segment_align: 8
    .kernarg_segment_size: 72
    .language:       OpenCL C
    .language_version:
      - 2
      - 0
    .max_flat_workgroup_size: 128
    .name:           _ZN9rocsparseL19gebsrmvn_1xn_kernelILj128ELj10ELj4EdEEvi20rocsparse_direction_NS_24const_host_device_scalarIT2_EEPKiS6_PKS3_S8_S4_PS3_21rocsparse_index_base_b
    .private_segment_fixed_size: 0
    .sgpr_count:     13
    .sgpr_spill_count: 0
    .symbol:         _ZN9rocsparseL19gebsrmvn_1xn_kernelILj128ELj10ELj4EdEEvi20rocsparse_direction_NS_24const_host_device_scalarIT2_EEPKiS6_PKS3_S8_S4_PS3_21rocsparse_index_base_b.kd
    .uniform_work_group_size: 1
    .uses_dynamic_stack: false
    .vgpr_count:     55
    .vgpr_spill_count: 0
    .wavefront_size: 32
    .workgroup_processor_mode: 1
  - .args:
      - .offset:         0
        .size:           4
        .value_kind:     by_value
      - .offset:         4
        .size:           4
        .value_kind:     by_value
      - .offset:         8
        .size:           8
        .value_kind:     by_value
      - .actual_access:  read_only
        .address_space:  global
        .offset:         16
        .size:           8
        .value_kind:     global_buffer
      - .actual_access:  read_only
        .address_space:  global
        .offset:         24
        .size:           8
        .value_kind:     global_buffer
      - .actual_access:  read_only
        .address_space:  global
        .offset:         32
        .size:           8
        .value_kind:     global_buffer
      - .actual_access:  read_only
        .address_space:  global
        .offset:         40
        .size:           8
        .value_kind:     global_buffer
      - .offset:         48
        .size:           8
        .value_kind:     by_value
      - .address_space:  global
        .offset:         56
        .size:           8
        .value_kind:     global_buffer
      - .offset:         64
        .size:           4
        .value_kind:     by_value
      - .offset:         68
        .size:           1
        .value_kind:     by_value
    .group_segment_fixed_size: 0
    .kernarg_segment_align: 8
    .kernarg_segment_size: 72
    .language:       OpenCL C
    .language_version:
      - 2
      - 0
    .max_flat_workgroup_size: 128
    .name:           _ZN9rocsparseL19gebsrmvn_1xn_kernelILj128ELj10ELj8EdEEvi20rocsparse_direction_NS_24const_host_device_scalarIT2_EEPKiS6_PKS3_S8_S4_PS3_21rocsparse_index_base_b
    .private_segment_fixed_size: 0
    .sgpr_count:     13
    .sgpr_spill_count: 0
    .symbol:         _ZN9rocsparseL19gebsrmvn_1xn_kernelILj128ELj10ELj8EdEEvi20rocsparse_direction_NS_24const_host_device_scalarIT2_EEPKiS6_PKS3_S8_S4_PS3_21rocsparse_index_base_b.kd
    .uniform_work_group_size: 1
    .uses_dynamic_stack: false
    .vgpr_count:     55
    .vgpr_spill_count: 0
    .wavefront_size: 32
    .workgroup_processor_mode: 1
  - .args:
      - .offset:         0
        .size:           4
        .value_kind:     by_value
      - .offset:         4
        .size:           4
        .value_kind:     by_value
      - .offset:         8
        .size:           8
        .value_kind:     by_value
      - .actual_access:  read_only
        .address_space:  global
        .offset:         16
        .size:           8
        .value_kind:     global_buffer
      - .actual_access:  read_only
        .address_space:  global
        .offset:         24
        .size:           8
        .value_kind:     global_buffer
      - .actual_access:  read_only
        .address_space:  global
        .offset:         32
        .size:           8
        .value_kind:     global_buffer
      - .actual_access:  read_only
        .address_space:  global
        .offset:         40
        .size:           8
        .value_kind:     global_buffer
      - .offset:         48
        .size:           8
        .value_kind:     by_value
      - .address_space:  global
        .offset:         56
        .size:           8
        .value_kind:     global_buffer
      - .offset:         64
        .size:           4
        .value_kind:     by_value
      - .offset:         68
        .size:           1
        .value_kind:     by_value
    .group_segment_fixed_size: 0
    .kernarg_segment_align: 8
    .kernarg_segment_size: 72
    .language:       OpenCL C
    .language_version:
      - 2
      - 0
    .max_flat_workgroup_size: 128
    .name:           _ZN9rocsparseL19gebsrmvn_1xn_kernelILj128ELj10ELj16EdEEvi20rocsparse_direction_NS_24const_host_device_scalarIT2_EEPKiS6_PKS3_S8_S4_PS3_21rocsparse_index_base_b
    .private_segment_fixed_size: 0
    .sgpr_count:     13
    .sgpr_spill_count: 0
    .symbol:         _ZN9rocsparseL19gebsrmvn_1xn_kernelILj128ELj10ELj16EdEEvi20rocsparse_direction_NS_24const_host_device_scalarIT2_EEPKiS6_PKS3_S8_S4_PS3_21rocsparse_index_base_b.kd
    .uniform_work_group_size: 1
    .uses_dynamic_stack: false
    .vgpr_count:     55
    .vgpr_spill_count: 0
    .wavefront_size: 32
    .workgroup_processor_mode: 1
  - .args:
      - .offset:         0
        .size:           4
        .value_kind:     by_value
      - .offset:         4
        .size:           4
        .value_kind:     by_value
      - .offset:         8
        .size:           8
        .value_kind:     by_value
      - .actual_access:  read_only
        .address_space:  global
        .offset:         16
        .size:           8
        .value_kind:     global_buffer
      - .actual_access:  read_only
        .address_space:  global
        .offset:         24
        .size:           8
        .value_kind:     global_buffer
      - .actual_access:  read_only
        .address_space:  global
        .offset:         32
        .size:           8
        .value_kind:     global_buffer
      - .actual_access:  read_only
        .address_space:  global
        .offset:         40
        .size:           8
        .value_kind:     global_buffer
      - .offset:         48
        .size:           8
        .value_kind:     by_value
      - .address_space:  global
        .offset:         56
        .size:           8
        .value_kind:     global_buffer
      - .offset:         64
        .size:           4
        .value_kind:     by_value
      - .offset:         68
        .size:           1
        .value_kind:     by_value
    .group_segment_fixed_size: 0
    .kernarg_segment_align: 8
    .kernarg_segment_size: 72
    .language:       OpenCL C
    .language_version:
      - 2
      - 0
    .max_flat_workgroup_size: 128
    .name:           _ZN9rocsparseL19gebsrmvn_1xn_kernelILj128ELj10ELj32EdEEvi20rocsparse_direction_NS_24const_host_device_scalarIT2_EEPKiS6_PKS3_S8_S4_PS3_21rocsparse_index_base_b
    .private_segment_fixed_size: 0
    .sgpr_count:     13
    .sgpr_spill_count: 0
    .symbol:         _ZN9rocsparseL19gebsrmvn_1xn_kernelILj128ELj10ELj32EdEEvi20rocsparse_direction_NS_24const_host_device_scalarIT2_EEPKiS6_PKS3_S8_S4_PS3_21rocsparse_index_base_b.kd
    .uniform_work_group_size: 1
    .uses_dynamic_stack: false
    .vgpr_count:     55
    .vgpr_spill_count: 0
    .wavefront_size: 32
    .workgroup_processor_mode: 1
  - .args:
      - .offset:         0
        .size:           4
        .value_kind:     by_value
      - .offset:         4
        .size:           4
        .value_kind:     by_value
      - .offset:         8
        .size:           8
        .value_kind:     by_value
      - .actual_access:  read_only
        .address_space:  global
        .offset:         16
        .size:           8
        .value_kind:     global_buffer
      - .actual_access:  read_only
        .address_space:  global
        .offset:         24
        .size:           8
        .value_kind:     global_buffer
      - .actual_access:  read_only
        .address_space:  global
        .offset:         32
        .size:           8
        .value_kind:     global_buffer
      - .actual_access:  read_only
        .address_space:  global
        .offset:         40
        .size:           8
        .value_kind:     global_buffer
      - .offset:         48
        .size:           8
        .value_kind:     by_value
      - .address_space:  global
        .offset:         56
        .size:           8
        .value_kind:     global_buffer
      - .offset:         64
        .size:           4
        .value_kind:     by_value
      - .offset:         68
        .size:           1
        .value_kind:     by_value
    .group_segment_fixed_size: 0
    .kernarg_segment_align: 8
    .kernarg_segment_size: 72
    .language:       OpenCL C
    .language_version:
      - 2
      - 0
    .max_flat_workgroup_size: 128
    .name:           _ZN9rocsparseL19gebsrmvn_1xn_kernelILj128ELj10ELj64EdEEvi20rocsparse_direction_NS_24const_host_device_scalarIT2_EEPKiS6_PKS3_S8_S4_PS3_21rocsparse_index_base_b
    .private_segment_fixed_size: 0
    .sgpr_count:     13
    .sgpr_spill_count: 0
    .symbol:         _ZN9rocsparseL19gebsrmvn_1xn_kernelILj128ELj10ELj64EdEEvi20rocsparse_direction_NS_24const_host_device_scalarIT2_EEPKiS6_PKS3_S8_S4_PS3_21rocsparse_index_base_b.kd
    .uniform_work_group_size: 1
    .uses_dynamic_stack: false
    .vgpr_count:     55
    .vgpr_spill_count: 0
    .wavefront_size: 32
    .workgroup_processor_mode: 1
  - .args:
      - .offset:         0
        .size:           4
        .value_kind:     by_value
      - .offset:         4
        .size:           4
        .value_kind:     by_value
      - .offset:         8
        .size:           8
        .value_kind:     by_value
      - .actual_access:  read_only
        .address_space:  global
        .offset:         16
        .size:           8
        .value_kind:     global_buffer
      - .actual_access:  read_only
        .address_space:  global
        .offset:         24
        .size:           8
        .value_kind:     global_buffer
      - .actual_access:  read_only
        .address_space:  global
        .offset:         32
        .size:           8
        .value_kind:     global_buffer
      - .actual_access:  read_only
        .address_space:  global
        .offset:         40
        .size:           8
        .value_kind:     global_buffer
      - .offset:         48
        .size:           8
        .value_kind:     by_value
      - .address_space:  global
        .offset:         56
        .size:           8
        .value_kind:     global_buffer
      - .offset:         64
        .size:           4
        .value_kind:     by_value
      - .offset:         68
        .size:           1
        .value_kind:     by_value
    .group_segment_fixed_size: 0
    .kernarg_segment_align: 8
    .kernarg_segment_size: 72
    .language:       OpenCL C
    .language_version:
      - 2
      - 0
    .max_flat_workgroup_size: 128
    .name:           _ZN9rocsparseL19gebsrmvn_1xn_kernelILj128ELj11ELj4EdEEvi20rocsparse_direction_NS_24const_host_device_scalarIT2_EEPKiS6_PKS3_S8_S4_PS3_21rocsparse_index_base_b
    .private_segment_fixed_size: 0
    .sgpr_count:     16
    .sgpr_spill_count: 0
    .symbol:         _ZN9rocsparseL19gebsrmvn_1xn_kernelILj128ELj11ELj4EdEEvi20rocsparse_direction_NS_24const_host_device_scalarIT2_EEPKiS6_PKS3_S8_S4_PS3_21rocsparse_index_base_b.kd
    .uniform_work_group_size: 1
    .uses_dynamic_stack: false
    .vgpr_count:     60
    .vgpr_spill_count: 0
    .wavefront_size: 32
    .workgroup_processor_mode: 1
  - .args:
      - .offset:         0
        .size:           4
        .value_kind:     by_value
      - .offset:         4
        .size:           4
        .value_kind:     by_value
      - .offset:         8
        .size:           8
        .value_kind:     by_value
      - .actual_access:  read_only
        .address_space:  global
        .offset:         16
        .size:           8
        .value_kind:     global_buffer
      - .actual_access:  read_only
        .address_space:  global
        .offset:         24
        .size:           8
        .value_kind:     global_buffer
      - .actual_access:  read_only
        .address_space:  global
        .offset:         32
        .size:           8
        .value_kind:     global_buffer
      - .actual_access:  read_only
        .address_space:  global
        .offset:         40
        .size:           8
        .value_kind:     global_buffer
      - .offset:         48
        .size:           8
        .value_kind:     by_value
      - .address_space:  global
        .offset:         56
        .size:           8
        .value_kind:     global_buffer
      - .offset:         64
        .size:           4
        .value_kind:     by_value
      - .offset:         68
        .size:           1
        .value_kind:     by_value
    .group_segment_fixed_size: 0
    .kernarg_segment_align: 8
    .kernarg_segment_size: 72
    .language:       OpenCL C
    .language_version:
      - 2
      - 0
    .max_flat_workgroup_size: 128
    .name:           _ZN9rocsparseL19gebsrmvn_1xn_kernelILj128ELj11ELj8EdEEvi20rocsparse_direction_NS_24const_host_device_scalarIT2_EEPKiS6_PKS3_S8_S4_PS3_21rocsparse_index_base_b
    .private_segment_fixed_size: 0
    .sgpr_count:     16
    .sgpr_spill_count: 0
    .symbol:         _ZN9rocsparseL19gebsrmvn_1xn_kernelILj128ELj11ELj8EdEEvi20rocsparse_direction_NS_24const_host_device_scalarIT2_EEPKiS6_PKS3_S8_S4_PS3_21rocsparse_index_base_b.kd
    .uniform_work_group_size: 1
    .uses_dynamic_stack: false
    .vgpr_count:     60
    .vgpr_spill_count: 0
    .wavefront_size: 32
    .workgroup_processor_mode: 1
  - .args:
      - .offset:         0
        .size:           4
        .value_kind:     by_value
      - .offset:         4
        .size:           4
        .value_kind:     by_value
      - .offset:         8
        .size:           8
        .value_kind:     by_value
      - .actual_access:  read_only
        .address_space:  global
        .offset:         16
        .size:           8
        .value_kind:     global_buffer
      - .actual_access:  read_only
        .address_space:  global
        .offset:         24
        .size:           8
        .value_kind:     global_buffer
      - .actual_access:  read_only
        .address_space:  global
        .offset:         32
        .size:           8
        .value_kind:     global_buffer
      - .actual_access:  read_only
        .address_space:  global
        .offset:         40
        .size:           8
        .value_kind:     global_buffer
      - .offset:         48
        .size:           8
        .value_kind:     by_value
      - .address_space:  global
        .offset:         56
        .size:           8
        .value_kind:     global_buffer
      - .offset:         64
        .size:           4
        .value_kind:     by_value
      - .offset:         68
        .size:           1
        .value_kind:     by_value
    .group_segment_fixed_size: 0
    .kernarg_segment_align: 8
    .kernarg_segment_size: 72
    .language:       OpenCL C
    .language_version:
      - 2
      - 0
    .max_flat_workgroup_size: 128
    .name:           _ZN9rocsparseL19gebsrmvn_1xn_kernelILj128ELj11ELj16EdEEvi20rocsparse_direction_NS_24const_host_device_scalarIT2_EEPKiS6_PKS3_S8_S4_PS3_21rocsparse_index_base_b
    .private_segment_fixed_size: 0
    .sgpr_count:     16
    .sgpr_spill_count: 0
    .symbol:         _ZN9rocsparseL19gebsrmvn_1xn_kernelILj128ELj11ELj16EdEEvi20rocsparse_direction_NS_24const_host_device_scalarIT2_EEPKiS6_PKS3_S8_S4_PS3_21rocsparse_index_base_b.kd
    .uniform_work_group_size: 1
    .uses_dynamic_stack: false
    .vgpr_count:     60
    .vgpr_spill_count: 0
    .wavefront_size: 32
    .workgroup_processor_mode: 1
  - .args:
      - .offset:         0
        .size:           4
        .value_kind:     by_value
      - .offset:         4
        .size:           4
        .value_kind:     by_value
      - .offset:         8
        .size:           8
        .value_kind:     by_value
      - .actual_access:  read_only
        .address_space:  global
        .offset:         16
        .size:           8
        .value_kind:     global_buffer
      - .actual_access:  read_only
        .address_space:  global
        .offset:         24
        .size:           8
        .value_kind:     global_buffer
      - .actual_access:  read_only
        .address_space:  global
        .offset:         32
        .size:           8
        .value_kind:     global_buffer
      - .actual_access:  read_only
        .address_space:  global
        .offset:         40
        .size:           8
        .value_kind:     global_buffer
      - .offset:         48
        .size:           8
        .value_kind:     by_value
      - .address_space:  global
        .offset:         56
        .size:           8
        .value_kind:     global_buffer
      - .offset:         64
        .size:           4
        .value_kind:     by_value
      - .offset:         68
        .size:           1
        .value_kind:     by_value
    .group_segment_fixed_size: 0
    .kernarg_segment_align: 8
    .kernarg_segment_size: 72
    .language:       OpenCL C
    .language_version:
      - 2
      - 0
    .max_flat_workgroup_size: 128
    .name:           _ZN9rocsparseL19gebsrmvn_1xn_kernelILj128ELj11ELj32EdEEvi20rocsparse_direction_NS_24const_host_device_scalarIT2_EEPKiS6_PKS3_S8_S4_PS3_21rocsparse_index_base_b
    .private_segment_fixed_size: 0
    .sgpr_count:     16
    .sgpr_spill_count: 0
    .symbol:         _ZN9rocsparseL19gebsrmvn_1xn_kernelILj128ELj11ELj32EdEEvi20rocsparse_direction_NS_24const_host_device_scalarIT2_EEPKiS6_PKS3_S8_S4_PS3_21rocsparse_index_base_b.kd
    .uniform_work_group_size: 1
    .uses_dynamic_stack: false
    .vgpr_count:     60
    .vgpr_spill_count: 0
    .wavefront_size: 32
    .workgroup_processor_mode: 1
  - .args:
      - .offset:         0
        .size:           4
        .value_kind:     by_value
      - .offset:         4
        .size:           4
        .value_kind:     by_value
      - .offset:         8
        .size:           8
        .value_kind:     by_value
      - .actual_access:  read_only
        .address_space:  global
        .offset:         16
        .size:           8
        .value_kind:     global_buffer
      - .actual_access:  read_only
        .address_space:  global
        .offset:         24
        .size:           8
        .value_kind:     global_buffer
      - .actual_access:  read_only
        .address_space:  global
        .offset:         32
        .size:           8
        .value_kind:     global_buffer
      - .actual_access:  read_only
        .address_space:  global
        .offset:         40
        .size:           8
        .value_kind:     global_buffer
      - .offset:         48
        .size:           8
        .value_kind:     by_value
      - .address_space:  global
        .offset:         56
        .size:           8
        .value_kind:     global_buffer
      - .offset:         64
        .size:           4
        .value_kind:     by_value
      - .offset:         68
        .size:           1
        .value_kind:     by_value
    .group_segment_fixed_size: 0
    .kernarg_segment_align: 8
    .kernarg_segment_size: 72
    .language:       OpenCL C
    .language_version:
      - 2
      - 0
    .max_flat_workgroup_size: 128
    .name:           _ZN9rocsparseL19gebsrmvn_1xn_kernelILj128ELj11ELj64EdEEvi20rocsparse_direction_NS_24const_host_device_scalarIT2_EEPKiS6_PKS3_S8_S4_PS3_21rocsparse_index_base_b
    .private_segment_fixed_size: 0
    .sgpr_count:     16
    .sgpr_spill_count: 0
    .symbol:         _ZN9rocsparseL19gebsrmvn_1xn_kernelILj128ELj11ELj64EdEEvi20rocsparse_direction_NS_24const_host_device_scalarIT2_EEPKiS6_PKS3_S8_S4_PS3_21rocsparse_index_base_b.kd
    .uniform_work_group_size: 1
    .uses_dynamic_stack: false
    .vgpr_count:     60
    .vgpr_spill_count: 0
    .wavefront_size: 32
    .workgroup_processor_mode: 1
  - .args:
      - .offset:         0
        .size:           4
        .value_kind:     by_value
      - .offset:         4
        .size:           4
        .value_kind:     by_value
      - .offset:         8
        .size:           8
        .value_kind:     by_value
      - .actual_access:  read_only
        .address_space:  global
        .offset:         16
        .size:           8
        .value_kind:     global_buffer
      - .actual_access:  read_only
        .address_space:  global
        .offset:         24
        .size:           8
        .value_kind:     global_buffer
      - .actual_access:  read_only
        .address_space:  global
        .offset:         32
        .size:           8
        .value_kind:     global_buffer
      - .actual_access:  read_only
        .address_space:  global
        .offset:         40
        .size:           8
        .value_kind:     global_buffer
      - .offset:         48
        .size:           8
        .value_kind:     by_value
      - .address_space:  global
        .offset:         56
        .size:           8
        .value_kind:     global_buffer
      - .offset:         64
        .size:           4
        .value_kind:     by_value
      - .offset:         68
        .size:           1
        .value_kind:     by_value
    .group_segment_fixed_size: 0
    .kernarg_segment_align: 8
    .kernarg_segment_size: 72
    .language:       OpenCL C
    .language_version:
      - 2
      - 0
    .max_flat_workgroup_size: 128
    .name:           _ZN9rocsparseL19gebsrmvn_1xn_kernelILj128ELj12ELj4EdEEvi20rocsparse_direction_NS_24const_host_device_scalarIT2_EEPKiS6_PKS3_S8_S4_PS3_21rocsparse_index_base_b
    .private_segment_fixed_size: 0
    .sgpr_count:     13
    .sgpr_spill_count: 0
    .symbol:         _ZN9rocsparseL19gebsrmvn_1xn_kernelILj128ELj12ELj4EdEEvi20rocsparse_direction_NS_24const_host_device_scalarIT2_EEPKiS6_PKS3_S8_S4_PS3_21rocsparse_index_base_b.kd
    .uniform_work_group_size: 1
    .uses_dynamic_stack: false
    .vgpr_count:     63
    .vgpr_spill_count: 0
    .wavefront_size: 32
    .workgroup_processor_mode: 1
  - .args:
      - .offset:         0
        .size:           4
        .value_kind:     by_value
      - .offset:         4
        .size:           4
        .value_kind:     by_value
      - .offset:         8
        .size:           8
        .value_kind:     by_value
      - .actual_access:  read_only
        .address_space:  global
        .offset:         16
        .size:           8
        .value_kind:     global_buffer
      - .actual_access:  read_only
        .address_space:  global
        .offset:         24
        .size:           8
        .value_kind:     global_buffer
      - .actual_access:  read_only
        .address_space:  global
        .offset:         32
        .size:           8
        .value_kind:     global_buffer
      - .actual_access:  read_only
        .address_space:  global
        .offset:         40
        .size:           8
        .value_kind:     global_buffer
      - .offset:         48
        .size:           8
        .value_kind:     by_value
      - .address_space:  global
        .offset:         56
        .size:           8
        .value_kind:     global_buffer
      - .offset:         64
        .size:           4
        .value_kind:     by_value
      - .offset:         68
        .size:           1
        .value_kind:     by_value
    .group_segment_fixed_size: 0
    .kernarg_segment_align: 8
    .kernarg_segment_size: 72
    .language:       OpenCL C
    .language_version:
      - 2
      - 0
    .max_flat_workgroup_size: 128
    .name:           _ZN9rocsparseL19gebsrmvn_1xn_kernelILj128ELj12ELj8EdEEvi20rocsparse_direction_NS_24const_host_device_scalarIT2_EEPKiS6_PKS3_S8_S4_PS3_21rocsparse_index_base_b
    .private_segment_fixed_size: 0
    .sgpr_count:     13
    .sgpr_spill_count: 0
    .symbol:         _ZN9rocsparseL19gebsrmvn_1xn_kernelILj128ELj12ELj8EdEEvi20rocsparse_direction_NS_24const_host_device_scalarIT2_EEPKiS6_PKS3_S8_S4_PS3_21rocsparse_index_base_b.kd
    .uniform_work_group_size: 1
    .uses_dynamic_stack: false
    .vgpr_count:     63
    .vgpr_spill_count: 0
    .wavefront_size: 32
    .workgroup_processor_mode: 1
  - .args:
      - .offset:         0
        .size:           4
        .value_kind:     by_value
      - .offset:         4
        .size:           4
        .value_kind:     by_value
      - .offset:         8
        .size:           8
        .value_kind:     by_value
      - .actual_access:  read_only
        .address_space:  global
        .offset:         16
        .size:           8
        .value_kind:     global_buffer
      - .actual_access:  read_only
        .address_space:  global
        .offset:         24
        .size:           8
        .value_kind:     global_buffer
      - .actual_access:  read_only
        .address_space:  global
        .offset:         32
        .size:           8
        .value_kind:     global_buffer
      - .actual_access:  read_only
        .address_space:  global
        .offset:         40
        .size:           8
        .value_kind:     global_buffer
      - .offset:         48
        .size:           8
        .value_kind:     by_value
      - .address_space:  global
        .offset:         56
        .size:           8
        .value_kind:     global_buffer
      - .offset:         64
        .size:           4
        .value_kind:     by_value
      - .offset:         68
        .size:           1
        .value_kind:     by_value
    .group_segment_fixed_size: 0
    .kernarg_segment_align: 8
    .kernarg_segment_size: 72
    .language:       OpenCL C
    .language_version:
      - 2
      - 0
    .max_flat_workgroup_size: 128
    .name:           _ZN9rocsparseL19gebsrmvn_1xn_kernelILj128ELj12ELj16EdEEvi20rocsparse_direction_NS_24const_host_device_scalarIT2_EEPKiS6_PKS3_S8_S4_PS3_21rocsparse_index_base_b
    .private_segment_fixed_size: 0
    .sgpr_count:     13
    .sgpr_spill_count: 0
    .symbol:         _ZN9rocsparseL19gebsrmvn_1xn_kernelILj128ELj12ELj16EdEEvi20rocsparse_direction_NS_24const_host_device_scalarIT2_EEPKiS6_PKS3_S8_S4_PS3_21rocsparse_index_base_b.kd
    .uniform_work_group_size: 1
    .uses_dynamic_stack: false
    .vgpr_count:     63
    .vgpr_spill_count: 0
    .wavefront_size: 32
    .workgroup_processor_mode: 1
  - .args:
      - .offset:         0
        .size:           4
        .value_kind:     by_value
      - .offset:         4
        .size:           4
        .value_kind:     by_value
      - .offset:         8
        .size:           8
        .value_kind:     by_value
      - .actual_access:  read_only
        .address_space:  global
        .offset:         16
        .size:           8
        .value_kind:     global_buffer
      - .actual_access:  read_only
        .address_space:  global
        .offset:         24
        .size:           8
        .value_kind:     global_buffer
      - .actual_access:  read_only
        .address_space:  global
        .offset:         32
        .size:           8
        .value_kind:     global_buffer
      - .actual_access:  read_only
        .address_space:  global
        .offset:         40
        .size:           8
        .value_kind:     global_buffer
      - .offset:         48
        .size:           8
        .value_kind:     by_value
      - .address_space:  global
        .offset:         56
        .size:           8
        .value_kind:     global_buffer
      - .offset:         64
        .size:           4
        .value_kind:     by_value
      - .offset:         68
        .size:           1
        .value_kind:     by_value
    .group_segment_fixed_size: 0
    .kernarg_segment_align: 8
    .kernarg_segment_size: 72
    .language:       OpenCL C
    .language_version:
      - 2
      - 0
    .max_flat_workgroup_size: 128
    .name:           _ZN9rocsparseL19gebsrmvn_1xn_kernelILj128ELj12ELj32EdEEvi20rocsparse_direction_NS_24const_host_device_scalarIT2_EEPKiS6_PKS3_S8_S4_PS3_21rocsparse_index_base_b
    .private_segment_fixed_size: 0
    .sgpr_count:     13
    .sgpr_spill_count: 0
    .symbol:         _ZN9rocsparseL19gebsrmvn_1xn_kernelILj128ELj12ELj32EdEEvi20rocsparse_direction_NS_24const_host_device_scalarIT2_EEPKiS6_PKS3_S8_S4_PS3_21rocsparse_index_base_b.kd
    .uniform_work_group_size: 1
    .uses_dynamic_stack: false
    .vgpr_count:     63
    .vgpr_spill_count: 0
    .wavefront_size: 32
    .workgroup_processor_mode: 1
  - .args:
      - .offset:         0
        .size:           4
        .value_kind:     by_value
      - .offset:         4
        .size:           4
        .value_kind:     by_value
      - .offset:         8
        .size:           8
        .value_kind:     by_value
      - .actual_access:  read_only
        .address_space:  global
        .offset:         16
        .size:           8
        .value_kind:     global_buffer
      - .actual_access:  read_only
        .address_space:  global
        .offset:         24
        .size:           8
        .value_kind:     global_buffer
      - .actual_access:  read_only
        .address_space:  global
        .offset:         32
        .size:           8
        .value_kind:     global_buffer
      - .actual_access:  read_only
        .address_space:  global
        .offset:         40
        .size:           8
        .value_kind:     global_buffer
      - .offset:         48
        .size:           8
        .value_kind:     by_value
      - .address_space:  global
        .offset:         56
        .size:           8
        .value_kind:     global_buffer
      - .offset:         64
        .size:           4
        .value_kind:     by_value
      - .offset:         68
        .size:           1
        .value_kind:     by_value
    .group_segment_fixed_size: 0
    .kernarg_segment_align: 8
    .kernarg_segment_size: 72
    .language:       OpenCL C
    .language_version:
      - 2
      - 0
    .max_flat_workgroup_size: 128
    .name:           _ZN9rocsparseL19gebsrmvn_1xn_kernelILj128ELj12ELj64EdEEvi20rocsparse_direction_NS_24const_host_device_scalarIT2_EEPKiS6_PKS3_S8_S4_PS3_21rocsparse_index_base_b
    .private_segment_fixed_size: 0
    .sgpr_count:     13
    .sgpr_spill_count: 0
    .symbol:         _ZN9rocsparseL19gebsrmvn_1xn_kernelILj128ELj12ELj64EdEEvi20rocsparse_direction_NS_24const_host_device_scalarIT2_EEPKiS6_PKS3_S8_S4_PS3_21rocsparse_index_base_b.kd
    .uniform_work_group_size: 1
    .uses_dynamic_stack: false
    .vgpr_count:     63
    .vgpr_spill_count: 0
    .wavefront_size: 32
    .workgroup_processor_mode: 1
  - .args:
      - .offset:         0
        .size:           4
        .value_kind:     by_value
      - .offset:         4
        .size:           4
        .value_kind:     by_value
      - .offset:         8
        .size:           8
        .value_kind:     by_value
      - .actual_access:  read_only
        .address_space:  global
        .offset:         16
        .size:           8
        .value_kind:     global_buffer
      - .actual_access:  read_only
        .address_space:  global
        .offset:         24
        .size:           8
        .value_kind:     global_buffer
      - .actual_access:  read_only
        .address_space:  global
        .offset:         32
        .size:           8
        .value_kind:     global_buffer
      - .actual_access:  read_only
        .address_space:  global
        .offset:         40
        .size:           8
        .value_kind:     global_buffer
      - .offset:         48
        .size:           8
        .value_kind:     by_value
      - .address_space:  global
        .offset:         56
        .size:           8
        .value_kind:     global_buffer
      - .offset:         64
        .size:           4
        .value_kind:     by_value
      - .offset:         68
        .size:           1
        .value_kind:     by_value
    .group_segment_fixed_size: 0
    .kernarg_segment_align: 8
    .kernarg_segment_size: 72
    .language:       OpenCL C
    .language_version:
      - 2
      - 0
    .max_flat_workgroup_size: 128
    .name:           _ZN9rocsparseL19gebsrmvn_1xn_kernelILj128ELj13ELj4EdEEvi20rocsparse_direction_NS_24const_host_device_scalarIT2_EEPKiS6_PKS3_S8_S4_PS3_21rocsparse_index_base_b
    .private_segment_fixed_size: 0
    .sgpr_count:     13
    .sgpr_spill_count: 0
    .symbol:         _ZN9rocsparseL19gebsrmvn_1xn_kernelILj128ELj13ELj4EdEEvi20rocsparse_direction_NS_24const_host_device_scalarIT2_EEPKiS6_PKS3_S8_S4_PS3_21rocsparse_index_base_b.kd
    .uniform_work_group_size: 1
    .uses_dynamic_stack: false
    .vgpr_count:     68
    .vgpr_spill_count: 0
    .wavefront_size: 32
    .workgroup_processor_mode: 1
  - .args:
      - .offset:         0
        .size:           4
        .value_kind:     by_value
      - .offset:         4
        .size:           4
        .value_kind:     by_value
      - .offset:         8
        .size:           8
        .value_kind:     by_value
      - .actual_access:  read_only
        .address_space:  global
        .offset:         16
        .size:           8
        .value_kind:     global_buffer
      - .actual_access:  read_only
        .address_space:  global
        .offset:         24
        .size:           8
        .value_kind:     global_buffer
      - .actual_access:  read_only
        .address_space:  global
        .offset:         32
        .size:           8
        .value_kind:     global_buffer
      - .actual_access:  read_only
        .address_space:  global
        .offset:         40
        .size:           8
        .value_kind:     global_buffer
      - .offset:         48
        .size:           8
        .value_kind:     by_value
      - .address_space:  global
        .offset:         56
        .size:           8
        .value_kind:     global_buffer
      - .offset:         64
        .size:           4
        .value_kind:     by_value
      - .offset:         68
        .size:           1
        .value_kind:     by_value
    .group_segment_fixed_size: 0
    .kernarg_segment_align: 8
    .kernarg_segment_size: 72
    .language:       OpenCL C
    .language_version:
      - 2
      - 0
    .max_flat_workgroup_size: 128
    .name:           _ZN9rocsparseL19gebsrmvn_1xn_kernelILj128ELj13ELj8EdEEvi20rocsparse_direction_NS_24const_host_device_scalarIT2_EEPKiS6_PKS3_S8_S4_PS3_21rocsparse_index_base_b
    .private_segment_fixed_size: 0
    .sgpr_count:     13
    .sgpr_spill_count: 0
    .symbol:         _ZN9rocsparseL19gebsrmvn_1xn_kernelILj128ELj13ELj8EdEEvi20rocsparse_direction_NS_24const_host_device_scalarIT2_EEPKiS6_PKS3_S8_S4_PS3_21rocsparse_index_base_b.kd
    .uniform_work_group_size: 1
    .uses_dynamic_stack: false
    .vgpr_count:     68
    .vgpr_spill_count: 0
    .wavefront_size: 32
    .workgroup_processor_mode: 1
  - .args:
      - .offset:         0
        .size:           4
        .value_kind:     by_value
      - .offset:         4
        .size:           4
        .value_kind:     by_value
      - .offset:         8
        .size:           8
        .value_kind:     by_value
      - .actual_access:  read_only
        .address_space:  global
        .offset:         16
        .size:           8
        .value_kind:     global_buffer
      - .actual_access:  read_only
        .address_space:  global
        .offset:         24
        .size:           8
        .value_kind:     global_buffer
      - .actual_access:  read_only
        .address_space:  global
        .offset:         32
        .size:           8
        .value_kind:     global_buffer
      - .actual_access:  read_only
        .address_space:  global
        .offset:         40
        .size:           8
        .value_kind:     global_buffer
      - .offset:         48
        .size:           8
        .value_kind:     by_value
      - .address_space:  global
        .offset:         56
        .size:           8
        .value_kind:     global_buffer
      - .offset:         64
        .size:           4
        .value_kind:     by_value
      - .offset:         68
        .size:           1
        .value_kind:     by_value
    .group_segment_fixed_size: 0
    .kernarg_segment_align: 8
    .kernarg_segment_size: 72
    .language:       OpenCL C
    .language_version:
      - 2
      - 0
    .max_flat_workgroup_size: 128
    .name:           _ZN9rocsparseL19gebsrmvn_1xn_kernelILj128ELj13ELj16EdEEvi20rocsparse_direction_NS_24const_host_device_scalarIT2_EEPKiS6_PKS3_S8_S4_PS3_21rocsparse_index_base_b
    .private_segment_fixed_size: 0
    .sgpr_count:     13
    .sgpr_spill_count: 0
    .symbol:         _ZN9rocsparseL19gebsrmvn_1xn_kernelILj128ELj13ELj16EdEEvi20rocsparse_direction_NS_24const_host_device_scalarIT2_EEPKiS6_PKS3_S8_S4_PS3_21rocsparse_index_base_b.kd
    .uniform_work_group_size: 1
    .uses_dynamic_stack: false
    .vgpr_count:     68
    .vgpr_spill_count: 0
    .wavefront_size: 32
    .workgroup_processor_mode: 1
  - .args:
      - .offset:         0
        .size:           4
        .value_kind:     by_value
      - .offset:         4
        .size:           4
        .value_kind:     by_value
      - .offset:         8
        .size:           8
        .value_kind:     by_value
      - .actual_access:  read_only
        .address_space:  global
        .offset:         16
        .size:           8
        .value_kind:     global_buffer
      - .actual_access:  read_only
        .address_space:  global
        .offset:         24
        .size:           8
        .value_kind:     global_buffer
      - .actual_access:  read_only
        .address_space:  global
        .offset:         32
        .size:           8
        .value_kind:     global_buffer
      - .actual_access:  read_only
        .address_space:  global
        .offset:         40
        .size:           8
        .value_kind:     global_buffer
      - .offset:         48
        .size:           8
        .value_kind:     by_value
      - .address_space:  global
        .offset:         56
        .size:           8
        .value_kind:     global_buffer
      - .offset:         64
        .size:           4
        .value_kind:     by_value
      - .offset:         68
        .size:           1
        .value_kind:     by_value
    .group_segment_fixed_size: 0
    .kernarg_segment_align: 8
    .kernarg_segment_size: 72
    .language:       OpenCL C
    .language_version:
      - 2
      - 0
    .max_flat_workgroup_size: 128
    .name:           _ZN9rocsparseL19gebsrmvn_1xn_kernelILj128ELj13ELj32EdEEvi20rocsparse_direction_NS_24const_host_device_scalarIT2_EEPKiS6_PKS3_S8_S4_PS3_21rocsparse_index_base_b
    .private_segment_fixed_size: 0
    .sgpr_count:     13
    .sgpr_spill_count: 0
    .symbol:         _ZN9rocsparseL19gebsrmvn_1xn_kernelILj128ELj13ELj32EdEEvi20rocsparse_direction_NS_24const_host_device_scalarIT2_EEPKiS6_PKS3_S8_S4_PS3_21rocsparse_index_base_b.kd
    .uniform_work_group_size: 1
    .uses_dynamic_stack: false
    .vgpr_count:     68
    .vgpr_spill_count: 0
    .wavefront_size: 32
    .workgroup_processor_mode: 1
  - .args:
      - .offset:         0
        .size:           4
        .value_kind:     by_value
      - .offset:         4
        .size:           4
        .value_kind:     by_value
      - .offset:         8
        .size:           8
        .value_kind:     by_value
      - .actual_access:  read_only
        .address_space:  global
        .offset:         16
        .size:           8
        .value_kind:     global_buffer
      - .actual_access:  read_only
        .address_space:  global
        .offset:         24
        .size:           8
        .value_kind:     global_buffer
      - .actual_access:  read_only
        .address_space:  global
        .offset:         32
        .size:           8
        .value_kind:     global_buffer
      - .actual_access:  read_only
        .address_space:  global
        .offset:         40
        .size:           8
        .value_kind:     global_buffer
      - .offset:         48
        .size:           8
        .value_kind:     by_value
      - .address_space:  global
        .offset:         56
        .size:           8
        .value_kind:     global_buffer
      - .offset:         64
        .size:           4
        .value_kind:     by_value
      - .offset:         68
        .size:           1
        .value_kind:     by_value
    .group_segment_fixed_size: 0
    .kernarg_segment_align: 8
    .kernarg_segment_size: 72
    .language:       OpenCL C
    .language_version:
      - 2
      - 0
    .max_flat_workgroup_size: 128
    .name:           _ZN9rocsparseL19gebsrmvn_1xn_kernelILj128ELj13ELj64EdEEvi20rocsparse_direction_NS_24const_host_device_scalarIT2_EEPKiS6_PKS3_S8_S4_PS3_21rocsparse_index_base_b
    .private_segment_fixed_size: 0
    .sgpr_count:     13
    .sgpr_spill_count: 0
    .symbol:         _ZN9rocsparseL19gebsrmvn_1xn_kernelILj128ELj13ELj64EdEEvi20rocsparse_direction_NS_24const_host_device_scalarIT2_EEPKiS6_PKS3_S8_S4_PS3_21rocsparse_index_base_b.kd
    .uniform_work_group_size: 1
    .uses_dynamic_stack: false
    .vgpr_count:     68
    .vgpr_spill_count: 0
    .wavefront_size: 32
    .workgroup_processor_mode: 1
  - .args:
      - .offset:         0
        .size:           4
        .value_kind:     by_value
      - .offset:         4
        .size:           4
        .value_kind:     by_value
      - .offset:         8
        .size:           8
        .value_kind:     by_value
      - .actual_access:  read_only
        .address_space:  global
        .offset:         16
        .size:           8
        .value_kind:     global_buffer
      - .actual_access:  read_only
        .address_space:  global
        .offset:         24
        .size:           8
        .value_kind:     global_buffer
      - .actual_access:  read_only
        .address_space:  global
        .offset:         32
        .size:           8
        .value_kind:     global_buffer
      - .actual_access:  read_only
        .address_space:  global
        .offset:         40
        .size:           8
        .value_kind:     global_buffer
      - .offset:         48
        .size:           8
        .value_kind:     by_value
      - .address_space:  global
        .offset:         56
        .size:           8
        .value_kind:     global_buffer
      - .offset:         64
        .size:           4
        .value_kind:     by_value
      - .offset:         68
        .size:           1
        .value_kind:     by_value
    .group_segment_fixed_size: 0
    .kernarg_segment_align: 8
    .kernarg_segment_size: 72
    .language:       OpenCL C
    .language_version:
      - 2
      - 0
    .max_flat_workgroup_size: 128
    .name:           _ZN9rocsparseL19gebsrmvn_1xn_kernelILj128ELj14ELj4EdEEvi20rocsparse_direction_NS_24const_host_device_scalarIT2_EEPKiS6_PKS3_S8_S4_PS3_21rocsparse_index_base_b
    .private_segment_fixed_size: 0
    .sgpr_count:     13
    .sgpr_spill_count: 0
    .symbol:         _ZN9rocsparseL19gebsrmvn_1xn_kernelILj128ELj14ELj4EdEEvi20rocsparse_direction_NS_24const_host_device_scalarIT2_EEPKiS6_PKS3_S8_S4_PS3_21rocsparse_index_base_b.kd
    .uniform_work_group_size: 1
    .uses_dynamic_stack: false
    .vgpr_count:     65
    .vgpr_spill_count: 0
    .wavefront_size: 32
    .workgroup_processor_mode: 1
  - .args:
      - .offset:         0
        .size:           4
        .value_kind:     by_value
      - .offset:         4
        .size:           4
        .value_kind:     by_value
      - .offset:         8
        .size:           8
        .value_kind:     by_value
      - .actual_access:  read_only
        .address_space:  global
        .offset:         16
        .size:           8
        .value_kind:     global_buffer
      - .actual_access:  read_only
        .address_space:  global
        .offset:         24
        .size:           8
        .value_kind:     global_buffer
      - .actual_access:  read_only
        .address_space:  global
        .offset:         32
        .size:           8
        .value_kind:     global_buffer
      - .actual_access:  read_only
        .address_space:  global
        .offset:         40
        .size:           8
        .value_kind:     global_buffer
      - .offset:         48
        .size:           8
        .value_kind:     by_value
      - .address_space:  global
        .offset:         56
        .size:           8
        .value_kind:     global_buffer
      - .offset:         64
        .size:           4
        .value_kind:     by_value
      - .offset:         68
        .size:           1
        .value_kind:     by_value
    .group_segment_fixed_size: 0
    .kernarg_segment_align: 8
    .kernarg_segment_size: 72
    .language:       OpenCL C
    .language_version:
      - 2
      - 0
    .max_flat_workgroup_size: 128
    .name:           _ZN9rocsparseL19gebsrmvn_1xn_kernelILj128ELj14ELj8EdEEvi20rocsparse_direction_NS_24const_host_device_scalarIT2_EEPKiS6_PKS3_S8_S4_PS3_21rocsparse_index_base_b
    .private_segment_fixed_size: 0
    .sgpr_count:     13
    .sgpr_spill_count: 0
    .symbol:         _ZN9rocsparseL19gebsrmvn_1xn_kernelILj128ELj14ELj8EdEEvi20rocsparse_direction_NS_24const_host_device_scalarIT2_EEPKiS6_PKS3_S8_S4_PS3_21rocsparse_index_base_b.kd
    .uniform_work_group_size: 1
    .uses_dynamic_stack: false
    .vgpr_count:     65
    .vgpr_spill_count: 0
    .wavefront_size: 32
    .workgroup_processor_mode: 1
  - .args:
      - .offset:         0
        .size:           4
        .value_kind:     by_value
      - .offset:         4
        .size:           4
        .value_kind:     by_value
      - .offset:         8
        .size:           8
        .value_kind:     by_value
      - .actual_access:  read_only
        .address_space:  global
        .offset:         16
        .size:           8
        .value_kind:     global_buffer
      - .actual_access:  read_only
        .address_space:  global
        .offset:         24
        .size:           8
        .value_kind:     global_buffer
      - .actual_access:  read_only
        .address_space:  global
        .offset:         32
        .size:           8
        .value_kind:     global_buffer
      - .actual_access:  read_only
        .address_space:  global
        .offset:         40
        .size:           8
        .value_kind:     global_buffer
      - .offset:         48
        .size:           8
        .value_kind:     by_value
      - .address_space:  global
        .offset:         56
        .size:           8
        .value_kind:     global_buffer
      - .offset:         64
        .size:           4
        .value_kind:     by_value
      - .offset:         68
        .size:           1
        .value_kind:     by_value
    .group_segment_fixed_size: 0
    .kernarg_segment_align: 8
    .kernarg_segment_size: 72
    .language:       OpenCL C
    .language_version:
      - 2
      - 0
    .max_flat_workgroup_size: 128
    .name:           _ZN9rocsparseL19gebsrmvn_1xn_kernelILj128ELj14ELj16EdEEvi20rocsparse_direction_NS_24const_host_device_scalarIT2_EEPKiS6_PKS3_S8_S4_PS3_21rocsparse_index_base_b
    .private_segment_fixed_size: 0
    .sgpr_count:     13
    .sgpr_spill_count: 0
    .symbol:         _ZN9rocsparseL19gebsrmvn_1xn_kernelILj128ELj14ELj16EdEEvi20rocsparse_direction_NS_24const_host_device_scalarIT2_EEPKiS6_PKS3_S8_S4_PS3_21rocsparse_index_base_b.kd
    .uniform_work_group_size: 1
    .uses_dynamic_stack: false
    .vgpr_count:     65
    .vgpr_spill_count: 0
    .wavefront_size: 32
    .workgroup_processor_mode: 1
  - .args:
      - .offset:         0
        .size:           4
        .value_kind:     by_value
      - .offset:         4
        .size:           4
        .value_kind:     by_value
      - .offset:         8
        .size:           8
        .value_kind:     by_value
      - .actual_access:  read_only
        .address_space:  global
        .offset:         16
        .size:           8
        .value_kind:     global_buffer
      - .actual_access:  read_only
        .address_space:  global
        .offset:         24
        .size:           8
        .value_kind:     global_buffer
      - .actual_access:  read_only
        .address_space:  global
        .offset:         32
        .size:           8
        .value_kind:     global_buffer
      - .actual_access:  read_only
        .address_space:  global
        .offset:         40
        .size:           8
        .value_kind:     global_buffer
      - .offset:         48
        .size:           8
        .value_kind:     by_value
      - .address_space:  global
        .offset:         56
        .size:           8
        .value_kind:     global_buffer
      - .offset:         64
        .size:           4
        .value_kind:     by_value
      - .offset:         68
        .size:           1
        .value_kind:     by_value
    .group_segment_fixed_size: 0
    .kernarg_segment_align: 8
    .kernarg_segment_size: 72
    .language:       OpenCL C
    .language_version:
      - 2
      - 0
    .max_flat_workgroup_size: 128
    .name:           _ZN9rocsparseL19gebsrmvn_1xn_kernelILj128ELj14ELj32EdEEvi20rocsparse_direction_NS_24const_host_device_scalarIT2_EEPKiS6_PKS3_S8_S4_PS3_21rocsparse_index_base_b
    .private_segment_fixed_size: 0
    .sgpr_count:     13
    .sgpr_spill_count: 0
    .symbol:         _ZN9rocsparseL19gebsrmvn_1xn_kernelILj128ELj14ELj32EdEEvi20rocsparse_direction_NS_24const_host_device_scalarIT2_EEPKiS6_PKS3_S8_S4_PS3_21rocsparse_index_base_b.kd
    .uniform_work_group_size: 1
    .uses_dynamic_stack: false
    .vgpr_count:     65
    .vgpr_spill_count: 0
    .wavefront_size: 32
    .workgroup_processor_mode: 1
  - .args:
      - .offset:         0
        .size:           4
        .value_kind:     by_value
      - .offset:         4
        .size:           4
        .value_kind:     by_value
      - .offset:         8
        .size:           8
        .value_kind:     by_value
      - .actual_access:  read_only
        .address_space:  global
        .offset:         16
        .size:           8
        .value_kind:     global_buffer
      - .actual_access:  read_only
        .address_space:  global
        .offset:         24
        .size:           8
        .value_kind:     global_buffer
      - .actual_access:  read_only
        .address_space:  global
        .offset:         32
        .size:           8
        .value_kind:     global_buffer
      - .actual_access:  read_only
        .address_space:  global
        .offset:         40
        .size:           8
        .value_kind:     global_buffer
      - .offset:         48
        .size:           8
        .value_kind:     by_value
      - .address_space:  global
        .offset:         56
        .size:           8
        .value_kind:     global_buffer
      - .offset:         64
        .size:           4
        .value_kind:     by_value
      - .offset:         68
        .size:           1
        .value_kind:     by_value
    .group_segment_fixed_size: 0
    .kernarg_segment_align: 8
    .kernarg_segment_size: 72
    .language:       OpenCL C
    .language_version:
      - 2
      - 0
    .max_flat_workgroup_size: 128
    .name:           _ZN9rocsparseL19gebsrmvn_1xn_kernelILj128ELj14ELj64EdEEvi20rocsparse_direction_NS_24const_host_device_scalarIT2_EEPKiS6_PKS3_S8_S4_PS3_21rocsparse_index_base_b
    .private_segment_fixed_size: 0
    .sgpr_count:     13
    .sgpr_spill_count: 0
    .symbol:         _ZN9rocsparseL19gebsrmvn_1xn_kernelILj128ELj14ELj64EdEEvi20rocsparse_direction_NS_24const_host_device_scalarIT2_EEPKiS6_PKS3_S8_S4_PS3_21rocsparse_index_base_b.kd
    .uniform_work_group_size: 1
    .uses_dynamic_stack: false
    .vgpr_count:     65
    .vgpr_spill_count: 0
    .wavefront_size: 32
    .workgroup_processor_mode: 1
  - .args:
      - .offset:         0
        .size:           4
        .value_kind:     by_value
      - .offset:         4
        .size:           4
        .value_kind:     by_value
      - .offset:         8
        .size:           8
        .value_kind:     by_value
      - .actual_access:  read_only
        .address_space:  global
        .offset:         16
        .size:           8
        .value_kind:     global_buffer
      - .actual_access:  read_only
        .address_space:  global
        .offset:         24
        .size:           8
        .value_kind:     global_buffer
      - .actual_access:  read_only
        .address_space:  global
        .offset:         32
        .size:           8
        .value_kind:     global_buffer
      - .actual_access:  read_only
        .address_space:  global
        .offset:         40
        .size:           8
        .value_kind:     global_buffer
      - .offset:         48
        .size:           8
        .value_kind:     by_value
      - .address_space:  global
        .offset:         56
        .size:           8
        .value_kind:     global_buffer
      - .offset:         64
        .size:           4
        .value_kind:     by_value
      - .offset:         68
        .size:           1
        .value_kind:     by_value
    .group_segment_fixed_size: 0
    .kernarg_segment_align: 8
    .kernarg_segment_size: 72
    .language:       OpenCL C
    .language_version:
      - 2
      - 0
    .max_flat_workgroup_size: 128
    .name:           _ZN9rocsparseL19gebsrmvn_1xn_kernelILj128ELj15ELj4EdEEvi20rocsparse_direction_NS_24const_host_device_scalarIT2_EEPKiS6_PKS3_S8_S4_PS3_21rocsparse_index_base_b
    .private_segment_fixed_size: 0
    .sgpr_count:     13
    .sgpr_spill_count: 0
    .symbol:         _ZN9rocsparseL19gebsrmvn_1xn_kernelILj128ELj15ELj4EdEEvi20rocsparse_direction_NS_24const_host_device_scalarIT2_EEPKiS6_PKS3_S8_S4_PS3_21rocsparse_index_base_b.kd
    .uniform_work_group_size: 1
    .uses_dynamic_stack: false
    .vgpr_count:     66
    .vgpr_spill_count: 0
    .wavefront_size: 32
    .workgroup_processor_mode: 1
  - .args:
      - .offset:         0
        .size:           4
        .value_kind:     by_value
      - .offset:         4
        .size:           4
        .value_kind:     by_value
      - .offset:         8
        .size:           8
        .value_kind:     by_value
      - .actual_access:  read_only
        .address_space:  global
        .offset:         16
        .size:           8
        .value_kind:     global_buffer
      - .actual_access:  read_only
        .address_space:  global
        .offset:         24
        .size:           8
        .value_kind:     global_buffer
      - .actual_access:  read_only
        .address_space:  global
        .offset:         32
        .size:           8
        .value_kind:     global_buffer
      - .actual_access:  read_only
        .address_space:  global
        .offset:         40
        .size:           8
        .value_kind:     global_buffer
      - .offset:         48
        .size:           8
        .value_kind:     by_value
      - .address_space:  global
        .offset:         56
        .size:           8
        .value_kind:     global_buffer
      - .offset:         64
        .size:           4
        .value_kind:     by_value
      - .offset:         68
        .size:           1
        .value_kind:     by_value
    .group_segment_fixed_size: 0
    .kernarg_segment_align: 8
    .kernarg_segment_size: 72
    .language:       OpenCL C
    .language_version:
      - 2
      - 0
    .max_flat_workgroup_size: 128
    .name:           _ZN9rocsparseL19gebsrmvn_1xn_kernelILj128ELj15ELj8EdEEvi20rocsparse_direction_NS_24const_host_device_scalarIT2_EEPKiS6_PKS3_S8_S4_PS3_21rocsparse_index_base_b
    .private_segment_fixed_size: 0
    .sgpr_count:     13
    .sgpr_spill_count: 0
    .symbol:         _ZN9rocsparseL19gebsrmvn_1xn_kernelILj128ELj15ELj8EdEEvi20rocsparse_direction_NS_24const_host_device_scalarIT2_EEPKiS6_PKS3_S8_S4_PS3_21rocsparse_index_base_b.kd
    .uniform_work_group_size: 1
    .uses_dynamic_stack: false
    .vgpr_count:     66
    .vgpr_spill_count: 0
    .wavefront_size: 32
    .workgroup_processor_mode: 1
  - .args:
      - .offset:         0
        .size:           4
        .value_kind:     by_value
      - .offset:         4
        .size:           4
        .value_kind:     by_value
      - .offset:         8
        .size:           8
        .value_kind:     by_value
      - .actual_access:  read_only
        .address_space:  global
        .offset:         16
        .size:           8
        .value_kind:     global_buffer
      - .actual_access:  read_only
        .address_space:  global
        .offset:         24
        .size:           8
        .value_kind:     global_buffer
      - .actual_access:  read_only
        .address_space:  global
        .offset:         32
        .size:           8
        .value_kind:     global_buffer
      - .actual_access:  read_only
        .address_space:  global
        .offset:         40
        .size:           8
        .value_kind:     global_buffer
      - .offset:         48
        .size:           8
        .value_kind:     by_value
      - .address_space:  global
        .offset:         56
        .size:           8
        .value_kind:     global_buffer
      - .offset:         64
        .size:           4
        .value_kind:     by_value
      - .offset:         68
        .size:           1
        .value_kind:     by_value
    .group_segment_fixed_size: 0
    .kernarg_segment_align: 8
    .kernarg_segment_size: 72
    .language:       OpenCL C
    .language_version:
      - 2
      - 0
    .max_flat_workgroup_size: 128
    .name:           _ZN9rocsparseL19gebsrmvn_1xn_kernelILj128ELj15ELj16EdEEvi20rocsparse_direction_NS_24const_host_device_scalarIT2_EEPKiS6_PKS3_S8_S4_PS3_21rocsparse_index_base_b
    .private_segment_fixed_size: 0
    .sgpr_count:     13
    .sgpr_spill_count: 0
    .symbol:         _ZN9rocsparseL19gebsrmvn_1xn_kernelILj128ELj15ELj16EdEEvi20rocsparse_direction_NS_24const_host_device_scalarIT2_EEPKiS6_PKS3_S8_S4_PS3_21rocsparse_index_base_b.kd
    .uniform_work_group_size: 1
    .uses_dynamic_stack: false
    .vgpr_count:     66
    .vgpr_spill_count: 0
    .wavefront_size: 32
    .workgroup_processor_mode: 1
  - .args:
      - .offset:         0
        .size:           4
        .value_kind:     by_value
      - .offset:         4
        .size:           4
        .value_kind:     by_value
      - .offset:         8
        .size:           8
        .value_kind:     by_value
      - .actual_access:  read_only
        .address_space:  global
        .offset:         16
        .size:           8
        .value_kind:     global_buffer
      - .actual_access:  read_only
        .address_space:  global
        .offset:         24
        .size:           8
        .value_kind:     global_buffer
      - .actual_access:  read_only
        .address_space:  global
        .offset:         32
        .size:           8
        .value_kind:     global_buffer
      - .actual_access:  read_only
        .address_space:  global
        .offset:         40
        .size:           8
        .value_kind:     global_buffer
      - .offset:         48
        .size:           8
        .value_kind:     by_value
      - .address_space:  global
        .offset:         56
        .size:           8
        .value_kind:     global_buffer
      - .offset:         64
        .size:           4
        .value_kind:     by_value
      - .offset:         68
        .size:           1
        .value_kind:     by_value
    .group_segment_fixed_size: 0
    .kernarg_segment_align: 8
    .kernarg_segment_size: 72
    .language:       OpenCL C
    .language_version:
      - 2
      - 0
    .max_flat_workgroup_size: 128
    .name:           _ZN9rocsparseL19gebsrmvn_1xn_kernelILj128ELj15ELj32EdEEvi20rocsparse_direction_NS_24const_host_device_scalarIT2_EEPKiS6_PKS3_S8_S4_PS3_21rocsparse_index_base_b
    .private_segment_fixed_size: 0
    .sgpr_count:     13
    .sgpr_spill_count: 0
    .symbol:         _ZN9rocsparseL19gebsrmvn_1xn_kernelILj128ELj15ELj32EdEEvi20rocsparse_direction_NS_24const_host_device_scalarIT2_EEPKiS6_PKS3_S8_S4_PS3_21rocsparse_index_base_b.kd
    .uniform_work_group_size: 1
    .uses_dynamic_stack: false
    .vgpr_count:     66
    .vgpr_spill_count: 0
    .wavefront_size: 32
    .workgroup_processor_mode: 1
  - .args:
      - .offset:         0
        .size:           4
        .value_kind:     by_value
      - .offset:         4
        .size:           4
        .value_kind:     by_value
      - .offset:         8
        .size:           8
        .value_kind:     by_value
      - .actual_access:  read_only
        .address_space:  global
        .offset:         16
        .size:           8
        .value_kind:     global_buffer
      - .actual_access:  read_only
        .address_space:  global
        .offset:         24
        .size:           8
        .value_kind:     global_buffer
      - .actual_access:  read_only
        .address_space:  global
        .offset:         32
        .size:           8
        .value_kind:     global_buffer
      - .actual_access:  read_only
        .address_space:  global
        .offset:         40
        .size:           8
        .value_kind:     global_buffer
      - .offset:         48
        .size:           8
        .value_kind:     by_value
      - .address_space:  global
        .offset:         56
        .size:           8
        .value_kind:     global_buffer
      - .offset:         64
        .size:           4
        .value_kind:     by_value
      - .offset:         68
        .size:           1
        .value_kind:     by_value
    .group_segment_fixed_size: 0
    .kernarg_segment_align: 8
    .kernarg_segment_size: 72
    .language:       OpenCL C
    .language_version:
      - 2
      - 0
    .max_flat_workgroup_size: 128
    .name:           _ZN9rocsparseL19gebsrmvn_1xn_kernelILj128ELj15ELj64EdEEvi20rocsparse_direction_NS_24const_host_device_scalarIT2_EEPKiS6_PKS3_S8_S4_PS3_21rocsparse_index_base_b
    .private_segment_fixed_size: 0
    .sgpr_count:     13
    .sgpr_spill_count: 0
    .symbol:         _ZN9rocsparseL19gebsrmvn_1xn_kernelILj128ELj15ELj64EdEEvi20rocsparse_direction_NS_24const_host_device_scalarIT2_EEPKiS6_PKS3_S8_S4_PS3_21rocsparse_index_base_b.kd
    .uniform_work_group_size: 1
    .uses_dynamic_stack: false
    .vgpr_count:     66
    .vgpr_spill_count: 0
    .wavefront_size: 32
    .workgroup_processor_mode: 1
  - .args:
      - .offset:         0
        .size:           4
        .value_kind:     by_value
      - .offset:         4
        .size:           4
        .value_kind:     by_value
      - .offset:         8
        .size:           8
        .value_kind:     by_value
      - .actual_access:  read_only
        .address_space:  global
        .offset:         16
        .size:           8
        .value_kind:     global_buffer
      - .actual_access:  read_only
        .address_space:  global
        .offset:         24
        .size:           8
        .value_kind:     global_buffer
      - .actual_access:  read_only
        .address_space:  global
        .offset:         32
        .size:           8
        .value_kind:     global_buffer
      - .actual_access:  read_only
        .address_space:  global
        .offset:         40
        .size:           8
        .value_kind:     global_buffer
      - .offset:         48
        .size:           8
        .value_kind:     by_value
      - .address_space:  global
        .offset:         56
        .size:           8
        .value_kind:     global_buffer
      - .offset:         64
        .size:           4
        .value_kind:     by_value
      - .offset:         68
        .size:           1
        .value_kind:     by_value
    .group_segment_fixed_size: 0
    .kernarg_segment_align: 8
    .kernarg_segment_size: 72
    .language:       OpenCL C
    .language_version:
      - 2
      - 0
    .max_flat_workgroup_size: 128
    .name:           _ZN9rocsparseL19gebsrmvn_1xn_kernelILj128ELj16ELj4EdEEvi20rocsparse_direction_NS_24const_host_device_scalarIT2_EEPKiS6_PKS3_S8_S4_PS3_21rocsparse_index_base_b
    .private_segment_fixed_size: 0
    .sgpr_count:     13
    .sgpr_spill_count: 0
    .symbol:         _ZN9rocsparseL19gebsrmvn_1xn_kernelILj128ELj16ELj4EdEEvi20rocsparse_direction_NS_24const_host_device_scalarIT2_EEPKiS6_PKS3_S8_S4_PS3_21rocsparse_index_base_b.kd
    .uniform_work_group_size: 1
    .uses_dynamic_stack: false
    .vgpr_count:     66
    .vgpr_spill_count: 0
    .wavefront_size: 32
    .workgroup_processor_mode: 1
  - .args:
      - .offset:         0
        .size:           4
        .value_kind:     by_value
      - .offset:         4
        .size:           4
        .value_kind:     by_value
      - .offset:         8
        .size:           8
        .value_kind:     by_value
      - .actual_access:  read_only
        .address_space:  global
        .offset:         16
        .size:           8
        .value_kind:     global_buffer
      - .actual_access:  read_only
        .address_space:  global
        .offset:         24
        .size:           8
        .value_kind:     global_buffer
      - .actual_access:  read_only
        .address_space:  global
        .offset:         32
        .size:           8
        .value_kind:     global_buffer
      - .actual_access:  read_only
        .address_space:  global
        .offset:         40
        .size:           8
        .value_kind:     global_buffer
      - .offset:         48
        .size:           8
        .value_kind:     by_value
      - .address_space:  global
        .offset:         56
        .size:           8
        .value_kind:     global_buffer
      - .offset:         64
        .size:           4
        .value_kind:     by_value
      - .offset:         68
        .size:           1
        .value_kind:     by_value
    .group_segment_fixed_size: 0
    .kernarg_segment_align: 8
    .kernarg_segment_size: 72
    .language:       OpenCL C
    .language_version:
      - 2
      - 0
    .max_flat_workgroup_size: 128
    .name:           _ZN9rocsparseL19gebsrmvn_1xn_kernelILj128ELj16ELj8EdEEvi20rocsparse_direction_NS_24const_host_device_scalarIT2_EEPKiS6_PKS3_S8_S4_PS3_21rocsparse_index_base_b
    .private_segment_fixed_size: 0
    .sgpr_count:     13
    .sgpr_spill_count: 0
    .symbol:         _ZN9rocsparseL19gebsrmvn_1xn_kernelILj128ELj16ELj8EdEEvi20rocsparse_direction_NS_24const_host_device_scalarIT2_EEPKiS6_PKS3_S8_S4_PS3_21rocsparse_index_base_b.kd
    .uniform_work_group_size: 1
    .uses_dynamic_stack: false
    .vgpr_count:     66
    .vgpr_spill_count: 0
    .wavefront_size: 32
    .workgroup_processor_mode: 1
  - .args:
      - .offset:         0
        .size:           4
        .value_kind:     by_value
      - .offset:         4
        .size:           4
        .value_kind:     by_value
      - .offset:         8
        .size:           8
        .value_kind:     by_value
      - .actual_access:  read_only
        .address_space:  global
        .offset:         16
        .size:           8
        .value_kind:     global_buffer
      - .actual_access:  read_only
        .address_space:  global
        .offset:         24
        .size:           8
        .value_kind:     global_buffer
      - .actual_access:  read_only
        .address_space:  global
        .offset:         32
        .size:           8
        .value_kind:     global_buffer
      - .actual_access:  read_only
        .address_space:  global
        .offset:         40
        .size:           8
        .value_kind:     global_buffer
      - .offset:         48
        .size:           8
        .value_kind:     by_value
      - .address_space:  global
        .offset:         56
        .size:           8
        .value_kind:     global_buffer
      - .offset:         64
        .size:           4
        .value_kind:     by_value
      - .offset:         68
        .size:           1
        .value_kind:     by_value
    .group_segment_fixed_size: 0
    .kernarg_segment_align: 8
    .kernarg_segment_size: 72
    .language:       OpenCL C
    .language_version:
      - 2
      - 0
    .max_flat_workgroup_size: 128
    .name:           _ZN9rocsparseL19gebsrmvn_1xn_kernelILj128ELj16ELj16EdEEvi20rocsparse_direction_NS_24const_host_device_scalarIT2_EEPKiS6_PKS3_S8_S4_PS3_21rocsparse_index_base_b
    .private_segment_fixed_size: 0
    .sgpr_count:     13
    .sgpr_spill_count: 0
    .symbol:         _ZN9rocsparseL19gebsrmvn_1xn_kernelILj128ELj16ELj16EdEEvi20rocsparse_direction_NS_24const_host_device_scalarIT2_EEPKiS6_PKS3_S8_S4_PS3_21rocsparse_index_base_b.kd
    .uniform_work_group_size: 1
    .uses_dynamic_stack: false
    .vgpr_count:     66
    .vgpr_spill_count: 0
    .wavefront_size: 32
    .workgroup_processor_mode: 1
  - .args:
      - .offset:         0
        .size:           4
        .value_kind:     by_value
      - .offset:         4
        .size:           4
        .value_kind:     by_value
      - .offset:         8
        .size:           8
        .value_kind:     by_value
      - .actual_access:  read_only
        .address_space:  global
        .offset:         16
        .size:           8
        .value_kind:     global_buffer
      - .actual_access:  read_only
        .address_space:  global
        .offset:         24
        .size:           8
        .value_kind:     global_buffer
      - .actual_access:  read_only
        .address_space:  global
        .offset:         32
        .size:           8
        .value_kind:     global_buffer
      - .actual_access:  read_only
        .address_space:  global
        .offset:         40
        .size:           8
        .value_kind:     global_buffer
      - .offset:         48
        .size:           8
        .value_kind:     by_value
      - .address_space:  global
        .offset:         56
        .size:           8
        .value_kind:     global_buffer
      - .offset:         64
        .size:           4
        .value_kind:     by_value
      - .offset:         68
        .size:           1
        .value_kind:     by_value
    .group_segment_fixed_size: 0
    .kernarg_segment_align: 8
    .kernarg_segment_size: 72
    .language:       OpenCL C
    .language_version:
      - 2
      - 0
    .max_flat_workgroup_size: 128
    .name:           _ZN9rocsparseL19gebsrmvn_1xn_kernelILj128ELj16ELj32EdEEvi20rocsparse_direction_NS_24const_host_device_scalarIT2_EEPKiS6_PKS3_S8_S4_PS3_21rocsparse_index_base_b
    .private_segment_fixed_size: 0
    .sgpr_count:     13
    .sgpr_spill_count: 0
    .symbol:         _ZN9rocsparseL19gebsrmvn_1xn_kernelILj128ELj16ELj32EdEEvi20rocsparse_direction_NS_24const_host_device_scalarIT2_EEPKiS6_PKS3_S8_S4_PS3_21rocsparse_index_base_b.kd
    .uniform_work_group_size: 1
    .uses_dynamic_stack: false
    .vgpr_count:     66
    .vgpr_spill_count: 0
    .wavefront_size: 32
    .workgroup_processor_mode: 1
  - .args:
      - .offset:         0
        .size:           4
        .value_kind:     by_value
      - .offset:         4
        .size:           4
        .value_kind:     by_value
      - .offset:         8
        .size:           8
        .value_kind:     by_value
      - .actual_access:  read_only
        .address_space:  global
        .offset:         16
        .size:           8
        .value_kind:     global_buffer
      - .actual_access:  read_only
        .address_space:  global
        .offset:         24
        .size:           8
        .value_kind:     global_buffer
      - .actual_access:  read_only
        .address_space:  global
        .offset:         32
        .size:           8
        .value_kind:     global_buffer
      - .actual_access:  read_only
        .address_space:  global
        .offset:         40
        .size:           8
        .value_kind:     global_buffer
      - .offset:         48
        .size:           8
        .value_kind:     by_value
      - .address_space:  global
        .offset:         56
        .size:           8
        .value_kind:     global_buffer
      - .offset:         64
        .size:           4
        .value_kind:     by_value
      - .offset:         68
        .size:           1
        .value_kind:     by_value
    .group_segment_fixed_size: 0
    .kernarg_segment_align: 8
    .kernarg_segment_size: 72
    .language:       OpenCL C
    .language_version:
      - 2
      - 0
    .max_flat_workgroup_size: 128
    .name:           _ZN9rocsparseL19gebsrmvn_1xn_kernelILj128ELj16ELj64EdEEvi20rocsparse_direction_NS_24const_host_device_scalarIT2_EEPKiS6_PKS3_S8_S4_PS3_21rocsparse_index_base_b
    .private_segment_fixed_size: 0
    .sgpr_count:     13
    .sgpr_spill_count: 0
    .symbol:         _ZN9rocsparseL19gebsrmvn_1xn_kernelILj128ELj16ELj64EdEEvi20rocsparse_direction_NS_24const_host_device_scalarIT2_EEPKiS6_PKS3_S8_S4_PS3_21rocsparse_index_base_b.kd
    .uniform_work_group_size: 1
    .uses_dynamic_stack: false
    .vgpr_count:     66
    .vgpr_spill_count: 0
    .wavefront_size: 32
    .workgroup_processor_mode: 1
  - .args:
      - .offset:         0
        .size:           4
        .value_kind:     by_value
      - .offset:         4
        .size:           4
        .value_kind:     by_value
      - .offset:         8
        .size:           8
        .value_kind:     by_value
      - .actual_access:  read_only
        .address_space:  global
        .offset:         16
        .size:           8
        .value_kind:     global_buffer
      - .actual_access:  read_only
        .address_space:  global
        .offset:         24
        .size:           8
        .value_kind:     global_buffer
      - .actual_access:  read_only
        .address_space:  global
        .offset:         32
        .size:           8
        .value_kind:     global_buffer
      - .offset:         40
        .size:           4
        .value_kind:     by_value
      - .offset:         44
        .size:           4
        .value_kind:     by_value
      - .actual_access:  read_only
        .address_space:  global
        .offset:         48
        .size:           8
        .value_kind:     global_buffer
      - .offset:         56
        .size:           8
        .value_kind:     by_value
      - .address_space:  global
        .offset:         64
        .size:           8
        .value_kind:     global_buffer
      - .offset:         72
        .size:           4
        .value_kind:     by_value
      - .offset:         76
        .size:           1
        .value_kind:     by_value
    .group_segment_fixed_size: 0
    .kernarg_segment_align: 8
    .kernarg_segment_size: 80
    .language:       OpenCL C
    .language_version:
      - 2
      - 0
    .max_flat_workgroup_size: 32
    .name:           _ZN9rocsparseL23gebsrmvn_general_kernelILj32ELj32EdEEvi20rocsparse_direction_NS_24const_host_device_scalarIT1_EEPKiS6_PKS3_iiS8_S4_PS3_21rocsparse_index_base_b
    .private_segment_fixed_size: 0
    .sgpr_count:     28
    .sgpr_spill_count: 0
    .symbol:         _ZN9rocsparseL23gebsrmvn_general_kernelILj32ELj32EdEEvi20rocsparse_direction_NS_24const_host_device_scalarIT1_EEPKiS6_PKS3_iiS8_S4_PS3_21rocsparse_index_base_b.kd
    .uniform_work_group_size: 1
    .uses_dynamic_stack: false
    .vgpr_count:     20
    .vgpr_spill_count: 0
    .wavefront_size: 32
    .workgroup_processor_mode: 1
  - .args:
      - .offset:         0
        .size:           4
        .value_kind:     by_value
      - .offset:         4
        .size:           4
        .value_kind:     by_value
      - .offset:         8
        .size:           8
        .value_kind:     by_value
      - .actual_access:  read_only
        .address_space:  global
        .offset:         16
        .size:           8
        .value_kind:     global_buffer
      - .actual_access:  read_only
        .address_space:  global
        .offset:         24
        .size:           8
        .value_kind:     global_buffer
      - .actual_access:  read_only
        .address_space:  global
        .offset:         32
        .size:           8
        .value_kind:     global_buffer
      - .actual_access:  read_only
        .address_space:  global
        .offset:         40
        .size:           8
        .value_kind:     global_buffer
      - .offset:         48
        .size:           8
        .value_kind:     by_value
      - .address_space:  global
        .offset:         56
        .size:           8
        .value_kind:     global_buffer
      - .offset:         64
        .size:           4
        .value_kind:     by_value
      - .offset:         68
        .size:           1
        .value_kind:     by_value
    .group_segment_fixed_size: 0
    .kernarg_segment_align: 8
    .kernarg_segment_size: 72
    .language:       OpenCL C
    .language_version:
      - 2
      - 0
    .max_flat_workgroup_size: 128
    .name:           _ZN9rocsparseL19gebsrmvn_1xn_kernelILj128ELj2ELj4E21rocsparse_complex_numIfEEEvi20rocsparse_direction_NS_24const_host_device_scalarIT2_EEPKiS8_PKS5_SA_S6_PS5_21rocsparse_index_base_b
    .private_segment_fixed_size: 0
    .sgpr_count:     15
    .sgpr_spill_count: 0
    .symbol:         _ZN9rocsparseL19gebsrmvn_1xn_kernelILj128ELj2ELj4E21rocsparse_complex_numIfEEEvi20rocsparse_direction_NS_24const_host_device_scalarIT2_EEPKiS8_PKS5_SA_S6_PS5_21rocsparse_index_base_b.kd
    .uniform_work_group_size: 1
    .uses_dynamic_stack: false
    .vgpr_count:     22
    .vgpr_spill_count: 0
    .wavefront_size: 32
    .workgroup_processor_mode: 1
  - .args:
      - .offset:         0
        .size:           4
        .value_kind:     by_value
      - .offset:         4
        .size:           4
        .value_kind:     by_value
      - .offset:         8
        .size:           8
        .value_kind:     by_value
      - .actual_access:  read_only
        .address_space:  global
        .offset:         16
        .size:           8
        .value_kind:     global_buffer
      - .actual_access:  read_only
        .address_space:  global
        .offset:         24
        .size:           8
        .value_kind:     global_buffer
      - .actual_access:  read_only
        .address_space:  global
        .offset:         32
        .size:           8
        .value_kind:     global_buffer
      - .actual_access:  read_only
        .address_space:  global
        .offset:         40
        .size:           8
        .value_kind:     global_buffer
      - .offset:         48
        .size:           8
        .value_kind:     by_value
      - .address_space:  global
        .offset:         56
        .size:           8
        .value_kind:     global_buffer
      - .offset:         64
        .size:           4
        .value_kind:     by_value
      - .offset:         68
        .size:           1
        .value_kind:     by_value
    .group_segment_fixed_size: 0
    .kernarg_segment_align: 8
    .kernarg_segment_size: 72
    .language:       OpenCL C
    .language_version:
      - 2
      - 0
    .max_flat_workgroup_size: 128
    .name:           _ZN9rocsparseL19gebsrmvn_1xn_kernelILj128ELj2ELj8E21rocsparse_complex_numIfEEEvi20rocsparse_direction_NS_24const_host_device_scalarIT2_EEPKiS8_PKS5_SA_S6_PS5_21rocsparse_index_base_b
    .private_segment_fixed_size: 0
    .sgpr_count:     15
    .sgpr_spill_count: 0
    .symbol:         _ZN9rocsparseL19gebsrmvn_1xn_kernelILj128ELj2ELj8E21rocsparse_complex_numIfEEEvi20rocsparse_direction_NS_24const_host_device_scalarIT2_EEPKiS8_PKS5_SA_S6_PS5_21rocsparse_index_base_b.kd
    .uniform_work_group_size: 1
    .uses_dynamic_stack: false
    .vgpr_count:     22
    .vgpr_spill_count: 0
    .wavefront_size: 32
    .workgroup_processor_mode: 1
  - .args:
      - .offset:         0
        .size:           4
        .value_kind:     by_value
      - .offset:         4
        .size:           4
        .value_kind:     by_value
      - .offset:         8
        .size:           8
        .value_kind:     by_value
      - .actual_access:  read_only
        .address_space:  global
        .offset:         16
        .size:           8
        .value_kind:     global_buffer
      - .actual_access:  read_only
        .address_space:  global
        .offset:         24
        .size:           8
        .value_kind:     global_buffer
      - .actual_access:  read_only
        .address_space:  global
        .offset:         32
        .size:           8
        .value_kind:     global_buffer
      - .actual_access:  read_only
        .address_space:  global
        .offset:         40
        .size:           8
        .value_kind:     global_buffer
      - .offset:         48
        .size:           8
        .value_kind:     by_value
      - .address_space:  global
        .offset:         56
        .size:           8
        .value_kind:     global_buffer
      - .offset:         64
        .size:           4
        .value_kind:     by_value
      - .offset:         68
        .size:           1
        .value_kind:     by_value
    .group_segment_fixed_size: 0
    .kernarg_segment_align: 8
    .kernarg_segment_size: 72
    .language:       OpenCL C
    .language_version:
      - 2
      - 0
    .max_flat_workgroup_size: 128
    .name:           _ZN9rocsparseL19gebsrmvn_1xn_kernelILj128ELj2ELj16E21rocsparse_complex_numIfEEEvi20rocsparse_direction_NS_24const_host_device_scalarIT2_EEPKiS8_PKS5_SA_S6_PS5_21rocsparse_index_base_b
    .private_segment_fixed_size: 0
    .sgpr_count:     15
    .sgpr_spill_count: 0
    .symbol:         _ZN9rocsparseL19gebsrmvn_1xn_kernelILj128ELj2ELj16E21rocsparse_complex_numIfEEEvi20rocsparse_direction_NS_24const_host_device_scalarIT2_EEPKiS8_PKS5_SA_S6_PS5_21rocsparse_index_base_b.kd
    .uniform_work_group_size: 1
    .uses_dynamic_stack: false
    .vgpr_count:     22
    .vgpr_spill_count: 0
    .wavefront_size: 32
    .workgroup_processor_mode: 1
  - .args:
      - .offset:         0
        .size:           4
        .value_kind:     by_value
      - .offset:         4
        .size:           4
        .value_kind:     by_value
      - .offset:         8
        .size:           8
        .value_kind:     by_value
      - .actual_access:  read_only
        .address_space:  global
        .offset:         16
        .size:           8
        .value_kind:     global_buffer
      - .actual_access:  read_only
        .address_space:  global
        .offset:         24
        .size:           8
        .value_kind:     global_buffer
      - .actual_access:  read_only
        .address_space:  global
        .offset:         32
        .size:           8
        .value_kind:     global_buffer
      - .actual_access:  read_only
        .address_space:  global
        .offset:         40
        .size:           8
        .value_kind:     global_buffer
      - .offset:         48
        .size:           8
        .value_kind:     by_value
      - .address_space:  global
        .offset:         56
        .size:           8
        .value_kind:     global_buffer
      - .offset:         64
        .size:           4
        .value_kind:     by_value
      - .offset:         68
        .size:           1
        .value_kind:     by_value
    .group_segment_fixed_size: 0
    .kernarg_segment_align: 8
    .kernarg_segment_size: 72
    .language:       OpenCL C
    .language_version:
      - 2
      - 0
    .max_flat_workgroup_size: 128
    .name:           _ZN9rocsparseL19gebsrmvn_1xn_kernelILj128ELj2ELj32E21rocsparse_complex_numIfEEEvi20rocsparse_direction_NS_24const_host_device_scalarIT2_EEPKiS8_PKS5_SA_S6_PS5_21rocsparse_index_base_b
    .private_segment_fixed_size: 0
    .sgpr_count:     15
    .sgpr_spill_count: 0
    .symbol:         _ZN9rocsparseL19gebsrmvn_1xn_kernelILj128ELj2ELj32E21rocsparse_complex_numIfEEEvi20rocsparse_direction_NS_24const_host_device_scalarIT2_EEPKiS8_PKS5_SA_S6_PS5_21rocsparse_index_base_b.kd
    .uniform_work_group_size: 1
    .uses_dynamic_stack: false
    .vgpr_count:     22
    .vgpr_spill_count: 0
    .wavefront_size: 32
    .workgroup_processor_mode: 1
  - .args:
      - .offset:         0
        .size:           4
        .value_kind:     by_value
      - .offset:         4
        .size:           4
        .value_kind:     by_value
      - .offset:         8
        .size:           8
        .value_kind:     by_value
      - .actual_access:  read_only
        .address_space:  global
        .offset:         16
        .size:           8
        .value_kind:     global_buffer
      - .actual_access:  read_only
        .address_space:  global
        .offset:         24
        .size:           8
        .value_kind:     global_buffer
      - .actual_access:  read_only
        .address_space:  global
        .offset:         32
        .size:           8
        .value_kind:     global_buffer
      - .actual_access:  read_only
        .address_space:  global
        .offset:         40
        .size:           8
        .value_kind:     global_buffer
      - .offset:         48
        .size:           8
        .value_kind:     by_value
      - .address_space:  global
        .offset:         56
        .size:           8
        .value_kind:     global_buffer
      - .offset:         64
        .size:           4
        .value_kind:     by_value
      - .offset:         68
        .size:           1
        .value_kind:     by_value
    .group_segment_fixed_size: 0
    .kernarg_segment_align: 8
    .kernarg_segment_size: 72
    .language:       OpenCL C
    .language_version:
      - 2
      - 0
    .max_flat_workgroup_size: 128
    .name:           _ZN9rocsparseL19gebsrmvn_1xn_kernelILj128ELj2ELj64E21rocsparse_complex_numIfEEEvi20rocsparse_direction_NS_24const_host_device_scalarIT2_EEPKiS8_PKS5_SA_S6_PS5_21rocsparse_index_base_b
    .private_segment_fixed_size: 0
    .sgpr_count:     15
    .sgpr_spill_count: 0
    .symbol:         _ZN9rocsparseL19gebsrmvn_1xn_kernelILj128ELj2ELj64E21rocsparse_complex_numIfEEEvi20rocsparse_direction_NS_24const_host_device_scalarIT2_EEPKiS8_PKS5_SA_S6_PS5_21rocsparse_index_base_b.kd
    .uniform_work_group_size: 1
    .uses_dynamic_stack: false
    .vgpr_count:     22
    .vgpr_spill_count: 0
    .wavefront_size: 32
    .workgroup_processor_mode: 1
  - .args:
      - .offset:         0
        .size:           4
        .value_kind:     by_value
      - .offset:         4
        .size:           4
        .value_kind:     by_value
      - .offset:         8
        .size:           8
        .value_kind:     by_value
      - .actual_access:  read_only
        .address_space:  global
        .offset:         16
        .size:           8
        .value_kind:     global_buffer
      - .actual_access:  read_only
        .address_space:  global
        .offset:         24
        .size:           8
        .value_kind:     global_buffer
      - .actual_access:  read_only
        .address_space:  global
        .offset:         32
        .size:           8
        .value_kind:     global_buffer
      - .actual_access:  read_only
        .address_space:  global
        .offset:         40
        .size:           8
        .value_kind:     global_buffer
      - .offset:         48
        .size:           8
        .value_kind:     by_value
      - .address_space:  global
        .offset:         56
        .size:           8
        .value_kind:     global_buffer
      - .offset:         64
        .size:           4
        .value_kind:     by_value
      - .offset:         68
        .size:           1
        .value_kind:     by_value
    .group_segment_fixed_size: 0
    .kernarg_segment_align: 8
    .kernarg_segment_size: 72
    .language:       OpenCL C
    .language_version:
      - 2
      - 0
    .max_flat_workgroup_size: 128
    .name:           _ZN9rocsparseL19gebsrmvn_1xn_kernelILj128ELj3ELj4E21rocsparse_complex_numIfEEEvi20rocsparse_direction_NS_24const_host_device_scalarIT2_EEPKiS8_PKS5_SA_S6_PS5_21rocsparse_index_base_b
    .private_segment_fixed_size: 0
    .sgpr_count:     15
    .sgpr_spill_count: 0
    .symbol:         _ZN9rocsparseL19gebsrmvn_1xn_kernelILj128ELj3ELj4E21rocsparse_complex_numIfEEEvi20rocsparse_direction_NS_24const_host_device_scalarIT2_EEPKiS8_PKS5_SA_S6_PS5_21rocsparse_index_base_b.kd
    .uniform_work_group_size: 1
    .uses_dynamic_stack: false
    .vgpr_count:     28
    .vgpr_spill_count: 0
    .wavefront_size: 32
    .workgroup_processor_mode: 1
  - .args:
      - .offset:         0
        .size:           4
        .value_kind:     by_value
      - .offset:         4
        .size:           4
        .value_kind:     by_value
      - .offset:         8
        .size:           8
        .value_kind:     by_value
      - .actual_access:  read_only
        .address_space:  global
        .offset:         16
        .size:           8
        .value_kind:     global_buffer
      - .actual_access:  read_only
        .address_space:  global
        .offset:         24
        .size:           8
        .value_kind:     global_buffer
      - .actual_access:  read_only
        .address_space:  global
        .offset:         32
        .size:           8
        .value_kind:     global_buffer
      - .actual_access:  read_only
        .address_space:  global
        .offset:         40
        .size:           8
        .value_kind:     global_buffer
      - .offset:         48
        .size:           8
        .value_kind:     by_value
      - .address_space:  global
        .offset:         56
        .size:           8
        .value_kind:     global_buffer
      - .offset:         64
        .size:           4
        .value_kind:     by_value
      - .offset:         68
        .size:           1
        .value_kind:     by_value
    .group_segment_fixed_size: 0
    .kernarg_segment_align: 8
    .kernarg_segment_size: 72
    .language:       OpenCL C
    .language_version:
      - 2
      - 0
    .max_flat_workgroup_size: 128
    .name:           _ZN9rocsparseL19gebsrmvn_1xn_kernelILj128ELj3ELj8E21rocsparse_complex_numIfEEEvi20rocsparse_direction_NS_24const_host_device_scalarIT2_EEPKiS8_PKS5_SA_S6_PS5_21rocsparse_index_base_b
    .private_segment_fixed_size: 0
    .sgpr_count:     15
    .sgpr_spill_count: 0
    .symbol:         _ZN9rocsparseL19gebsrmvn_1xn_kernelILj128ELj3ELj8E21rocsparse_complex_numIfEEEvi20rocsparse_direction_NS_24const_host_device_scalarIT2_EEPKiS8_PKS5_SA_S6_PS5_21rocsparse_index_base_b.kd
    .uniform_work_group_size: 1
    .uses_dynamic_stack: false
    .vgpr_count:     28
    .vgpr_spill_count: 0
    .wavefront_size: 32
    .workgroup_processor_mode: 1
  - .args:
      - .offset:         0
        .size:           4
        .value_kind:     by_value
      - .offset:         4
        .size:           4
        .value_kind:     by_value
      - .offset:         8
        .size:           8
        .value_kind:     by_value
      - .actual_access:  read_only
        .address_space:  global
        .offset:         16
        .size:           8
        .value_kind:     global_buffer
      - .actual_access:  read_only
        .address_space:  global
        .offset:         24
        .size:           8
        .value_kind:     global_buffer
      - .actual_access:  read_only
        .address_space:  global
        .offset:         32
        .size:           8
        .value_kind:     global_buffer
      - .actual_access:  read_only
        .address_space:  global
        .offset:         40
        .size:           8
        .value_kind:     global_buffer
      - .offset:         48
        .size:           8
        .value_kind:     by_value
      - .address_space:  global
        .offset:         56
        .size:           8
        .value_kind:     global_buffer
      - .offset:         64
        .size:           4
        .value_kind:     by_value
      - .offset:         68
        .size:           1
        .value_kind:     by_value
    .group_segment_fixed_size: 0
    .kernarg_segment_align: 8
    .kernarg_segment_size: 72
    .language:       OpenCL C
    .language_version:
      - 2
      - 0
    .max_flat_workgroup_size: 128
    .name:           _ZN9rocsparseL19gebsrmvn_1xn_kernelILj128ELj3ELj16E21rocsparse_complex_numIfEEEvi20rocsparse_direction_NS_24const_host_device_scalarIT2_EEPKiS8_PKS5_SA_S6_PS5_21rocsparse_index_base_b
    .private_segment_fixed_size: 0
    .sgpr_count:     15
    .sgpr_spill_count: 0
    .symbol:         _ZN9rocsparseL19gebsrmvn_1xn_kernelILj128ELj3ELj16E21rocsparse_complex_numIfEEEvi20rocsparse_direction_NS_24const_host_device_scalarIT2_EEPKiS8_PKS5_SA_S6_PS5_21rocsparse_index_base_b.kd
    .uniform_work_group_size: 1
    .uses_dynamic_stack: false
    .vgpr_count:     28
    .vgpr_spill_count: 0
    .wavefront_size: 32
    .workgroup_processor_mode: 1
  - .args:
      - .offset:         0
        .size:           4
        .value_kind:     by_value
      - .offset:         4
        .size:           4
        .value_kind:     by_value
      - .offset:         8
        .size:           8
        .value_kind:     by_value
      - .actual_access:  read_only
        .address_space:  global
        .offset:         16
        .size:           8
        .value_kind:     global_buffer
      - .actual_access:  read_only
        .address_space:  global
        .offset:         24
        .size:           8
        .value_kind:     global_buffer
      - .actual_access:  read_only
        .address_space:  global
        .offset:         32
        .size:           8
        .value_kind:     global_buffer
      - .actual_access:  read_only
        .address_space:  global
        .offset:         40
        .size:           8
        .value_kind:     global_buffer
      - .offset:         48
        .size:           8
        .value_kind:     by_value
      - .address_space:  global
        .offset:         56
        .size:           8
        .value_kind:     global_buffer
      - .offset:         64
        .size:           4
        .value_kind:     by_value
      - .offset:         68
        .size:           1
        .value_kind:     by_value
    .group_segment_fixed_size: 0
    .kernarg_segment_align: 8
    .kernarg_segment_size: 72
    .language:       OpenCL C
    .language_version:
      - 2
      - 0
    .max_flat_workgroup_size: 128
    .name:           _ZN9rocsparseL19gebsrmvn_1xn_kernelILj128ELj3ELj32E21rocsparse_complex_numIfEEEvi20rocsparse_direction_NS_24const_host_device_scalarIT2_EEPKiS8_PKS5_SA_S6_PS5_21rocsparse_index_base_b
    .private_segment_fixed_size: 0
    .sgpr_count:     15
    .sgpr_spill_count: 0
    .symbol:         _ZN9rocsparseL19gebsrmvn_1xn_kernelILj128ELj3ELj32E21rocsparse_complex_numIfEEEvi20rocsparse_direction_NS_24const_host_device_scalarIT2_EEPKiS8_PKS5_SA_S6_PS5_21rocsparse_index_base_b.kd
    .uniform_work_group_size: 1
    .uses_dynamic_stack: false
    .vgpr_count:     28
    .vgpr_spill_count: 0
    .wavefront_size: 32
    .workgroup_processor_mode: 1
  - .args:
      - .offset:         0
        .size:           4
        .value_kind:     by_value
      - .offset:         4
        .size:           4
        .value_kind:     by_value
      - .offset:         8
        .size:           8
        .value_kind:     by_value
      - .actual_access:  read_only
        .address_space:  global
        .offset:         16
        .size:           8
        .value_kind:     global_buffer
      - .actual_access:  read_only
        .address_space:  global
        .offset:         24
        .size:           8
        .value_kind:     global_buffer
      - .actual_access:  read_only
        .address_space:  global
        .offset:         32
        .size:           8
        .value_kind:     global_buffer
      - .actual_access:  read_only
        .address_space:  global
        .offset:         40
        .size:           8
        .value_kind:     global_buffer
      - .offset:         48
        .size:           8
        .value_kind:     by_value
      - .address_space:  global
        .offset:         56
        .size:           8
        .value_kind:     global_buffer
      - .offset:         64
        .size:           4
        .value_kind:     by_value
      - .offset:         68
        .size:           1
        .value_kind:     by_value
    .group_segment_fixed_size: 0
    .kernarg_segment_align: 8
    .kernarg_segment_size: 72
    .language:       OpenCL C
    .language_version:
      - 2
      - 0
    .max_flat_workgroup_size: 128
    .name:           _ZN9rocsparseL19gebsrmvn_1xn_kernelILj128ELj3ELj64E21rocsparse_complex_numIfEEEvi20rocsparse_direction_NS_24const_host_device_scalarIT2_EEPKiS8_PKS5_SA_S6_PS5_21rocsparse_index_base_b
    .private_segment_fixed_size: 0
    .sgpr_count:     15
    .sgpr_spill_count: 0
    .symbol:         _ZN9rocsparseL19gebsrmvn_1xn_kernelILj128ELj3ELj64E21rocsparse_complex_numIfEEEvi20rocsparse_direction_NS_24const_host_device_scalarIT2_EEPKiS8_PKS5_SA_S6_PS5_21rocsparse_index_base_b.kd
    .uniform_work_group_size: 1
    .uses_dynamic_stack: false
    .vgpr_count:     28
    .vgpr_spill_count: 0
    .wavefront_size: 32
    .workgroup_processor_mode: 1
  - .args:
      - .offset:         0
        .size:           4
        .value_kind:     by_value
      - .offset:         4
        .size:           4
        .value_kind:     by_value
      - .offset:         8
        .size:           8
        .value_kind:     by_value
      - .actual_access:  read_only
        .address_space:  global
        .offset:         16
        .size:           8
        .value_kind:     global_buffer
      - .actual_access:  read_only
        .address_space:  global
        .offset:         24
        .size:           8
        .value_kind:     global_buffer
      - .actual_access:  read_only
        .address_space:  global
        .offset:         32
        .size:           8
        .value_kind:     global_buffer
      - .actual_access:  read_only
        .address_space:  global
        .offset:         40
        .size:           8
        .value_kind:     global_buffer
      - .offset:         48
        .size:           8
        .value_kind:     by_value
      - .address_space:  global
        .offset:         56
        .size:           8
        .value_kind:     global_buffer
      - .offset:         64
        .size:           4
        .value_kind:     by_value
      - .offset:         68
        .size:           1
        .value_kind:     by_value
    .group_segment_fixed_size: 0
    .kernarg_segment_align: 8
    .kernarg_segment_size: 72
    .language:       OpenCL C
    .language_version:
      - 2
      - 0
    .max_flat_workgroup_size: 128
    .name:           _ZN9rocsparseL19gebsrmvn_1xn_kernelILj128ELj4ELj4E21rocsparse_complex_numIfEEEvi20rocsparse_direction_NS_24const_host_device_scalarIT2_EEPKiS8_PKS5_SA_S6_PS5_21rocsparse_index_base_b
    .private_segment_fixed_size: 0
    .sgpr_count:     15
    .sgpr_spill_count: 0
    .symbol:         _ZN9rocsparseL19gebsrmvn_1xn_kernelILj128ELj4ELj4E21rocsparse_complex_numIfEEEvi20rocsparse_direction_NS_24const_host_device_scalarIT2_EEPKiS8_PKS5_SA_S6_PS5_21rocsparse_index_base_b.kd
    .uniform_work_group_size: 1
    .uses_dynamic_stack: false
    .vgpr_count:     30
    .vgpr_spill_count: 0
    .wavefront_size: 32
    .workgroup_processor_mode: 1
  - .args:
      - .offset:         0
        .size:           4
        .value_kind:     by_value
      - .offset:         4
        .size:           4
        .value_kind:     by_value
      - .offset:         8
        .size:           8
        .value_kind:     by_value
      - .actual_access:  read_only
        .address_space:  global
        .offset:         16
        .size:           8
        .value_kind:     global_buffer
      - .actual_access:  read_only
        .address_space:  global
        .offset:         24
        .size:           8
        .value_kind:     global_buffer
      - .actual_access:  read_only
        .address_space:  global
        .offset:         32
        .size:           8
        .value_kind:     global_buffer
      - .actual_access:  read_only
        .address_space:  global
        .offset:         40
        .size:           8
        .value_kind:     global_buffer
      - .offset:         48
        .size:           8
        .value_kind:     by_value
      - .address_space:  global
        .offset:         56
        .size:           8
        .value_kind:     global_buffer
      - .offset:         64
        .size:           4
        .value_kind:     by_value
      - .offset:         68
        .size:           1
        .value_kind:     by_value
    .group_segment_fixed_size: 0
    .kernarg_segment_align: 8
    .kernarg_segment_size: 72
    .language:       OpenCL C
    .language_version:
      - 2
      - 0
    .max_flat_workgroup_size: 128
    .name:           _ZN9rocsparseL19gebsrmvn_1xn_kernelILj128ELj4ELj8E21rocsparse_complex_numIfEEEvi20rocsparse_direction_NS_24const_host_device_scalarIT2_EEPKiS8_PKS5_SA_S6_PS5_21rocsparse_index_base_b
    .private_segment_fixed_size: 0
    .sgpr_count:     15
    .sgpr_spill_count: 0
    .symbol:         _ZN9rocsparseL19gebsrmvn_1xn_kernelILj128ELj4ELj8E21rocsparse_complex_numIfEEEvi20rocsparse_direction_NS_24const_host_device_scalarIT2_EEPKiS8_PKS5_SA_S6_PS5_21rocsparse_index_base_b.kd
    .uniform_work_group_size: 1
    .uses_dynamic_stack: false
    .vgpr_count:     30
    .vgpr_spill_count: 0
    .wavefront_size: 32
    .workgroup_processor_mode: 1
  - .args:
      - .offset:         0
        .size:           4
        .value_kind:     by_value
      - .offset:         4
        .size:           4
        .value_kind:     by_value
      - .offset:         8
        .size:           8
        .value_kind:     by_value
      - .actual_access:  read_only
        .address_space:  global
        .offset:         16
        .size:           8
        .value_kind:     global_buffer
      - .actual_access:  read_only
        .address_space:  global
        .offset:         24
        .size:           8
        .value_kind:     global_buffer
      - .actual_access:  read_only
        .address_space:  global
        .offset:         32
        .size:           8
        .value_kind:     global_buffer
      - .actual_access:  read_only
        .address_space:  global
        .offset:         40
        .size:           8
        .value_kind:     global_buffer
      - .offset:         48
        .size:           8
        .value_kind:     by_value
      - .address_space:  global
        .offset:         56
        .size:           8
        .value_kind:     global_buffer
      - .offset:         64
        .size:           4
        .value_kind:     by_value
      - .offset:         68
        .size:           1
        .value_kind:     by_value
    .group_segment_fixed_size: 0
    .kernarg_segment_align: 8
    .kernarg_segment_size: 72
    .language:       OpenCL C
    .language_version:
      - 2
      - 0
    .max_flat_workgroup_size: 128
    .name:           _ZN9rocsparseL19gebsrmvn_1xn_kernelILj128ELj4ELj16E21rocsparse_complex_numIfEEEvi20rocsparse_direction_NS_24const_host_device_scalarIT2_EEPKiS8_PKS5_SA_S6_PS5_21rocsparse_index_base_b
    .private_segment_fixed_size: 0
    .sgpr_count:     15
    .sgpr_spill_count: 0
    .symbol:         _ZN9rocsparseL19gebsrmvn_1xn_kernelILj128ELj4ELj16E21rocsparse_complex_numIfEEEvi20rocsparse_direction_NS_24const_host_device_scalarIT2_EEPKiS8_PKS5_SA_S6_PS5_21rocsparse_index_base_b.kd
    .uniform_work_group_size: 1
    .uses_dynamic_stack: false
    .vgpr_count:     30
    .vgpr_spill_count: 0
    .wavefront_size: 32
    .workgroup_processor_mode: 1
  - .args:
      - .offset:         0
        .size:           4
        .value_kind:     by_value
      - .offset:         4
        .size:           4
        .value_kind:     by_value
      - .offset:         8
        .size:           8
        .value_kind:     by_value
      - .actual_access:  read_only
        .address_space:  global
        .offset:         16
        .size:           8
        .value_kind:     global_buffer
      - .actual_access:  read_only
        .address_space:  global
        .offset:         24
        .size:           8
        .value_kind:     global_buffer
      - .actual_access:  read_only
        .address_space:  global
        .offset:         32
        .size:           8
        .value_kind:     global_buffer
      - .actual_access:  read_only
        .address_space:  global
        .offset:         40
        .size:           8
        .value_kind:     global_buffer
      - .offset:         48
        .size:           8
        .value_kind:     by_value
      - .address_space:  global
        .offset:         56
        .size:           8
        .value_kind:     global_buffer
      - .offset:         64
        .size:           4
        .value_kind:     by_value
      - .offset:         68
        .size:           1
        .value_kind:     by_value
    .group_segment_fixed_size: 0
    .kernarg_segment_align: 8
    .kernarg_segment_size: 72
    .language:       OpenCL C
    .language_version:
      - 2
      - 0
    .max_flat_workgroup_size: 128
    .name:           _ZN9rocsparseL19gebsrmvn_1xn_kernelILj128ELj4ELj32E21rocsparse_complex_numIfEEEvi20rocsparse_direction_NS_24const_host_device_scalarIT2_EEPKiS8_PKS5_SA_S6_PS5_21rocsparse_index_base_b
    .private_segment_fixed_size: 0
    .sgpr_count:     15
    .sgpr_spill_count: 0
    .symbol:         _ZN9rocsparseL19gebsrmvn_1xn_kernelILj128ELj4ELj32E21rocsparse_complex_numIfEEEvi20rocsparse_direction_NS_24const_host_device_scalarIT2_EEPKiS8_PKS5_SA_S6_PS5_21rocsparse_index_base_b.kd
    .uniform_work_group_size: 1
    .uses_dynamic_stack: false
    .vgpr_count:     30
    .vgpr_spill_count: 0
    .wavefront_size: 32
    .workgroup_processor_mode: 1
  - .args:
      - .offset:         0
        .size:           4
        .value_kind:     by_value
      - .offset:         4
        .size:           4
        .value_kind:     by_value
      - .offset:         8
        .size:           8
        .value_kind:     by_value
      - .actual_access:  read_only
        .address_space:  global
        .offset:         16
        .size:           8
        .value_kind:     global_buffer
      - .actual_access:  read_only
        .address_space:  global
        .offset:         24
        .size:           8
        .value_kind:     global_buffer
      - .actual_access:  read_only
        .address_space:  global
        .offset:         32
        .size:           8
        .value_kind:     global_buffer
      - .actual_access:  read_only
        .address_space:  global
        .offset:         40
        .size:           8
        .value_kind:     global_buffer
      - .offset:         48
        .size:           8
        .value_kind:     by_value
      - .address_space:  global
        .offset:         56
        .size:           8
        .value_kind:     global_buffer
      - .offset:         64
        .size:           4
        .value_kind:     by_value
      - .offset:         68
        .size:           1
        .value_kind:     by_value
    .group_segment_fixed_size: 0
    .kernarg_segment_align: 8
    .kernarg_segment_size: 72
    .language:       OpenCL C
    .language_version:
      - 2
      - 0
    .max_flat_workgroup_size: 128
    .name:           _ZN9rocsparseL19gebsrmvn_1xn_kernelILj128ELj4ELj64E21rocsparse_complex_numIfEEEvi20rocsparse_direction_NS_24const_host_device_scalarIT2_EEPKiS8_PKS5_SA_S6_PS5_21rocsparse_index_base_b
    .private_segment_fixed_size: 0
    .sgpr_count:     15
    .sgpr_spill_count: 0
    .symbol:         _ZN9rocsparseL19gebsrmvn_1xn_kernelILj128ELj4ELj64E21rocsparse_complex_numIfEEEvi20rocsparse_direction_NS_24const_host_device_scalarIT2_EEPKiS8_PKS5_SA_S6_PS5_21rocsparse_index_base_b.kd
    .uniform_work_group_size: 1
    .uses_dynamic_stack: false
    .vgpr_count:     30
    .vgpr_spill_count: 0
    .wavefront_size: 32
    .workgroup_processor_mode: 1
  - .args:
      - .offset:         0
        .size:           4
        .value_kind:     by_value
      - .offset:         4
        .size:           4
        .value_kind:     by_value
      - .offset:         8
        .size:           8
        .value_kind:     by_value
      - .actual_access:  read_only
        .address_space:  global
        .offset:         16
        .size:           8
        .value_kind:     global_buffer
      - .actual_access:  read_only
        .address_space:  global
        .offset:         24
        .size:           8
        .value_kind:     global_buffer
      - .actual_access:  read_only
        .address_space:  global
        .offset:         32
        .size:           8
        .value_kind:     global_buffer
      - .actual_access:  read_only
        .address_space:  global
        .offset:         40
        .size:           8
        .value_kind:     global_buffer
      - .offset:         48
        .size:           8
        .value_kind:     by_value
      - .address_space:  global
        .offset:         56
        .size:           8
        .value_kind:     global_buffer
      - .offset:         64
        .size:           4
        .value_kind:     by_value
      - .offset:         68
        .size:           1
        .value_kind:     by_value
    .group_segment_fixed_size: 0
    .kernarg_segment_align: 8
    .kernarg_segment_size: 72
    .language:       OpenCL C
    .language_version:
      - 2
      - 0
    .max_flat_workgroup_size: 128
    .name:           _ZN9rocsparseL19gebsrmvn_1xn_kernelILj128ELj5ELj4E21rocsparse_complex_numIfEEEvi20rocsparse_direction_NS_24const_host_device_scalarIT2_EEPKiS8_PKS5_SA_S6_PS5_21rocsparse_index_base_b
    .private_segment_fixed_size: 0
    .sgpr_count:     15
    .sgpr_spill_count: 0
    .symbol:         _ZN9rocsparseL19gebsrmvn_1xn_kernelILj128ELj5ELj4E21rocsparse_complex_numIfEEEvi20rocsparse_direction_NS_24const_host_device_scalarIT2_EEPKiS8_PKS5_SA_S6_PS5_21rocsparse_index_base_b.kd
    .uniform_work_group_size: 1
    .uses_dynamic_stack: false
    .vgpr_count:     36
    .vgpr_spill_count: 0
    .wavefront_size: 32
    .workgroup_processor_mode: 1
  - .args:
      - .offset:         0
        .size:           4
        .value_kind:     by_value
      - .offset:         4
        .size:           4
        .value_kind:     by_value
      - .offset:         8
        .size:           8
        .value_kind:     by_value
      - .actual_access:  read_only
        .address_space:  global
        .offset:         16
        .size:           8
        .value_kind:     global_buffer
      - .actual_access:  read_only
        .address_space:  global
        .offset:         24
        .size:           8
        .value_kind:     global_buffer
      - .actual_access:  read_only
        .address_space:  global
        .offset:         32
        .size:           8
        .value_kind:     global_buffer
      - .actual_access:  read_only
        .address_space:  global
        .offset:         40
        .size:           8
        .value_kind:     global_buffer
      - .offset:         48
        .size:           8
        .value_kind:     by_value
      - .address_space:  global
        .offset:         56
        .size:           8
        .value_kind:     global_buffer
      - .offset:         64
        .size:           4
        .value_kind:     by_value
      - .offset:         68
        .size:           1
        .value_kind:     by_value
    .group_segment_fixed_size: 0
    .kernarg_segment_align: 8
    .kernarg_segment_size: 72
    .language:       OpenCL C
    .language_version:
      - 2
      - 0
    .max_flat_workgroup_size: 128
    .name:           _ZN9rocsparseL19gebsrmvn_1xn_kernelILj128ELj5ELj8E21rocsparse_complex_numIfEEEvi20rocsparse_direction_NS_24const_host_device_scalarIT2_EEPKiS8_PKS5_SA_S6_PS5_21rocsparse_index_base_b
    .private_segment_fixed_size: 0
    .sgpr_count:     15
    .sgpr_spill_count: 0
    .symbol:         _ZN9rocsparseL19gebsrmvn_1xn_kernelILj128ELj5ELj8E21rocsparse_complex_numIfEEEvi20rocsparse_direction_NS_24const_host_device_scalarIT2_EEPKiS8_PKS5_SA_S6_PS5_21rocsparse_index_base_b.kd
    .uniform_work_group_size: 1
    .uses_dynamic_stack: false
    .vgpr_count:     36
    .vgpr_spill_count: 0
    .wavefront_size: 32
    .workgroup_processor_mode: 1
  - .args:
      - .offset:         0
        .size:           4
        .value_kind:     by_value
      - .offset:         4
        .size:           4
        .value_kind:     by_value
      - .offset:         8
        .size:           8
        .value_kind:     by_value
      - .actual_access:  read_only
        .address_space:  global
        .offset:         16
        .size:           8
        .value_kind:     global_buffer
      - .actual_access:  read_only
        .address_space:  global
        .offset:         24
        .size:           8
        .value_kind:     global_buffer
      - .actual_access:  read_only
        .address_space:  global
        .offset:         32
        .size:           8
        .value_kind:     global_buffer
      - .actual_access:  read_only
        .address_space:  global
        .offset:         40
        .size:           8
        .value_kind:     global_buffer
      - .offset:         48
        .size:           8
        .value_kind:     by_value
      - .address_space:  global
        .offset:         56
        .size:           8
        .value_kind:     global_buffer
      - .offset:         64
        .size:           4
        .value_kind:     by_value
      - .offset:         68
        .size:           1
        .value_kind:     by_value
    .group_segment_fixed_size: 0
    .kernarg_segment_align: 8
    .kernarg_segment_size: 72
    .language:       OpenCL C
    .language_version:
      - 2
      - 0
    .max_flat_workgroup_size: 128
    .name:           _ZN9rocsparseL19gebsrmvn_1xn_kernelILj128ELj5ELj16E21rocsparse_complex_numIfEEEvi20rocsparse_direction_NS_24const_host_device_scalarIT2_EEPKiS8_PKS5_SA_S6_PS5_21rocsparse_index_base_b
    .private_segment_fixed_size: 0
    .sgpr_count:     15
    .sgpr_spill_count: 0
    .symbol:         _ZN9rocsparseL19gebsrmvn_1xn_kernelILj128ELj5ELj16E21rocsparse_complex_numIfEEEvi20rocsparse_direction_NS_24const_host_device_scalarIT2_EEPKiS8_PKS5_SA_S6_PS5_21rocsparse_index_base_b.kd
    .uniform_work_group_size: 1
    .uses_dynamic_stack: false
    .vgpr_count:     36
    .vgpr_spill_count: 0
    .wavefront_size: 32
    .workgroup_processor_mode: 1
  - .args:
      - .offset:         0
        .size:           4
        .value_kind:     by_value
      - .offset:         4
        .size:           4
        .value_kind:     by_value
      - .offset:         8
        .size:           8
        .value_kind:     by_value
      - .actual_access:  read_only
        .address_space:  global
        .offset:         16
        .size:           8
        .value_kind:     global_buffer
      - .actual_access:  read_only
        .address_space:  global
        .offset:         24
        .size:           8
        .value_kind:     global_buffer
      - .actual_access:  read_only
        .address_space:  global
        .offset:         32
        .size:           8
        .value_kind:     global_buffer
      - .actual_access:  read_only
        .address_space:  global
        .offset:         40
        .size:           8
        .value_kind:     global_buffer
      - .offset:         48
        .size:           8
        .value_kind:     by_value
      - .address_space:  global
        .offset:         56
        .size:           8
        .value_kind:     global_buffer
      - .offset:         64
        .size:           4
        .value_kind:     by_value
      - .offset:         68
        .size:           1
        .value_kind:     by_value
    .group_segment_fixed_size: 0
    .kernarg_segment_align: 8
    .kernarg_segment_size: 72
    .language:       OpenCL C
    .language_version:
      - 2
      - 0
    .max_flat_workgroup_size: 128
    .name:           _ZN9rocsparseL19gebsrmvn_1xn_kernelILj128ELj5ELj32E21rocsparse_complex_numIfEEEvi20rocsparse_direction_NS_24const_host_device_scalarIT2_EEPKiS8_PKS5_SA_S6_PS5_21rocsparse_index_base_b
    .private_segment_fixed_size: 0
    .sgpr_count:     15
    .sgpr_spill_count: 0
    .symbol:         _ZN9rocsparseL19gebsrmvn_1xn_kernelILj128ELj5ELj32E21rocsparse_complex_numIfEEEvi20rocsparse_direction_NS_24const_host_device_scalarIT2_EEPKiS8_PKS5_SA_S6_PS5_21rocsparse_index_base_b.kd
    .uniform_work_group_size: 1
    .uses_dynamic_stack: false
    .vgpr_count:     36
    .vgpr_spill_count: 0
    .wavefront_size: 32
    .workgroup_processor_mode: 1
  - .args:
      - .offset:         0
        .size:           4
        .value_kind:     by_value
      - .offset:         4
        .size:           4
        .value_kind:     by_value
      - .offset:         8
        .size:           8
        .value_kind:     by_value
      - .actual_access:  read_only
        .address_space:  global
        .offset:         16
        .size:           8
        .value_kind:     global_buffer
      - .actual_access:  read_only
        .address_space:  global
        .offset:         24
        .size:           8
        .value_kind:     global_buffer
      - .actual_access:  read_only
        .address_space:  global
        .offset:         32
        .size:           8
        .value_kind:     global_buffer
      - .actual_access:  read_only
        .address_space:  global
        .offset:         40
        .size:           8
        .value_kind:     global_buffer
      - .offset:         48
        .size:           8
        .value_kind:     by_value
      - .address_space:  global
        .offset:         56
        .size:           8
        .value_kind:     global_buffer
      - .offset:         64
        .size:           4
        .value_kind:     by_value
      - .offset:         68
        .size:           1
        .value_kind:     by_value
    .group_segment_fixed_size: 0
    .kernarg_segment_align: 8
    .kernarg_segment_size: 72
    .language:       OpenCL C
    .language_version:
      - 2
      - 0
    .max_flat_workgroup_size: 128
    .name:           _ZN9rocsparseL19gebsrmvn_1xn_kernelILj128ELj5ELj64E21rocsparse_complex_numIfEEEvi20rocsparse_direction_NS_24const_host_device_scalarIT2_EEPKiS8_PKS5_SA_S6_PS5_21rocsparse_index_base_b
    .private_segment_fixed_size: 0
    .sgpr_count:     15
    .sgpr_spill_count: 0
    .symbol:         _ZN9rocsparseL19gebsrmvn_1xn_kernelILj128ELj5ELj64E21rocsparse_complex_numIfEEEvi20rocsparse_direction_NS_24const_host_device_scalarIT2_EEPKiS8_PKS5_SA_S6_PS5_21rocsparse_index_base_b.kd
    .uniform_work_group_size: 1
    .uses_dynamic_stack: false
    .vgpr_count:     36
    .vgpr_spill_count: 0
    .wavefront_size: 32
    .workgroup_processor_mode: 1
  - .args:
      - .offset:         0
        .size:           4
        .value_kind:     by_value
      - .offset:         4
        .size:           4
        .value_kind:     by_value
      - .offset:         8
        .size:           8
        .value_kind:     by_value
      - .actual_access:  read_only
        .address_space:  global
        .offset:         16
        .size:           8
        .value_kind:     global_buffer
      - .actual_access:  read_only
        .address_space:  global
        .offset:         24
        .size:           8
        .value_kind:     global_buffer
      - .actual_access:  read_only
        .address_space:  global
        .offset:         32
        .size:           8
        .value_kind:     global_buffer
      - .actual_access:  read_only
        .address_space:  global
        .offset:         40
        .size:           8
        .value_kind:     global_buffer
      - .offset:         48
        .size:           8
        .value_kind:     by_value
      - .address_space:  global
        .offset:         56
        .size:           8
        .value_kind:     global_buffer
      - .offset:         64
        .size:           4
        .value_kind:     by_value
      - .offset:         68
        .size:           1
        .value_kind:     by_value
    .group_segment_fixed_size: 0
    .kernarg_segment_align: 8
    .kernarg_segment_size: 72
    .language:       OpenCL C
    .language_version:
      - 2
      - 0
    .max_flat_workgroup_size: 128
    .name:           _ZN9rocsparseL19gebsrmvn_1xn_kernelILj128ELj6ELj4E21rocsparse_complex_numIfEEEvi20rocsparse_direction_NS_24const_host_device_scalarIT2_EEPKiS8_PKS5_SA_S6_PS5_21rocsparse_index_base_b
    .private_segment_fixed_size: 0
    .sgpr_count:     15
    .sgpr_spill_count: 0
    .symbol:         _ZN9rocsparseL19gebsrmvn_1xn_kernelILj128ELj6ELj4E21rocsparse_complex_numIfEEEvi20rocsparse_direction_NS_24const_host_device_scalarIT2_EEPKiS8_PKS5_SA_S6_PS5_21rocsparse_index_base_b.kd
    .uniform_work_group_size: 1
    .uses_dynamic_stack: false
    .vgpr_count:     38
    .vgpr_spill_count: 0
    .wavefront_size: 32
    .workgroup_processor_mode: 1
  - .args:
      - .offset:         0
        .size:           4
        .value_kind:     by_value
      - .offset:         4
        .size:           4
        .value_kind:     by_value
      - .offset:         8
        .size:           8
        .value_kind:     by_value
      - .actual_access:  read_only
        .address_space:  global
        .offset:         16
        .size:           8
        .value_kind:     global_buffer
      - .actual_access:  read_only
        .address_space:  global
        .offset:         24
        .size:           8
        .value_kind:     global_buffer
      - .actual_access:  read_only
        .address_space:  global
        .offset:         32
        .size:           8
        .value_kind:     global_buffer
      - .actual_access:  read_only
        .address_space:  global
        .offset:         40
        .size:           8
        .value_kind:     global_buffer
      - .offset:         48
        .size:           8
        .value_kind:     by_value
      - .address_space:  global
        .offset:         56
        .size:           8
        .value_kind:     global_buffer
      - .offset:         64
        .size:           4
        .value_kind:     by_value
      - .offset:         68
        .size:           1
        .value_kind:     by_value
    .group_segment_fixed_size: 0
    .kernarg_segment_align: 8
    .kernarg_segment_size: 72
    .language:       OpenCL C
    .language_version:
      - 2
      - 0
    .max_flat_workgroup_size: 128
    .name:           _ZN9rocsparseL19gebsrmvn_1xn_kernelILj128ELj6ELj8E21rocsparse_complex_numIfEEEvi20rocsparse_direction_NS_24const_host_device_scalarIT2_EEPKiS8_PKS5_SA_S6_PS5_21rocsparse_index_base_b
    .private_segment_fixed_size: 0
    .sgpr_count:     15
    .sgpr_spill_count: 0
    .symbol:         _ZN9rocsparseL19gebsrmvn_1xn_kernelILj128ELj6ELj8E21rocsparse_complex_numIfEEEvi20rocsparse_direction_NS_24const_host_device_scalarIT2_EEPKiS8_PKS5_SA_S6_PS5_21rocsparse_index_base_b.kd
    .uniform_work_group_size: 1
    .uses_dynamic_stack: false
    .vgpr_count:     38
    .vgpr_spill_count: 0
    .wavefront_size: 32
    .workgroup_processor_mode: 1
  - .args:
      - .offset:         0
        .size:           4
        .value_kind:     by_value
      - .offset:         4
        .size:           4
        .value_kind:     by_value
      - .offset:         8
        .size:           8
        .value_kind:     by_value
      - .actual_access:  read_only
        .address_space:  global
        .offset:         16
        .size:           8
        .value_kind:     global_buffer
      - .actual_access:  read_only
        .address_space:  global
        .offset:         24
        .size:           8
        .value_kind:     global_buffer
      - .actual_access:  read_only
        .address_space:  global
        .offset:         32
        .size:           8
        .value_kind:     global_buffer
      - .actual_access:  read_only
        .address_space:  global
        .offset:         40
        .size:           8
        .value_kind:     global_buffer
      - .offset:         48
        .size:           8
        .value_kind:     by_value
      - .address_space:  global
        .offset:         56
        .size:           8
        .value_kind:     global_buffer
      - .offset:         64
        .size:           4
        .value_kind:     by_value
      - .offset:         68
        .size:           1
        .value_kind:     by_value
    .group_segment_fixed_size: 0
    .kernarg_segment_align: 8
    .kernarg_segment_size: 72
    .language:       OpenCL C
    .language_version:
      - 2
      - 0
    .max_flat_workgroup_size: 128
    .name:           _ZN9rocsparseL19gebsrmvn_1xn_kernelILj128ELj6ELj16E21rocsparse_complex_numIfEEEvi20rocsparse_direction_NS_24const_host_device_scalarIT2_EEPKiS8_PKS5_SA_S6_PS5_21rocsparse_index_base_b
    .private_segment_fixed_size: 0
    .sgpr_count:     15
    .sgpr_spill_count: 0
    .symbol:         _ZN9rocsparseL19gebsrmvn_1xn_kernelILj128ELj6ELj16E21rocsparse_complex_numIfEEEvi20rocsparse_direction_NS_24const_host_device_scalarIT2_EEPKiS8_PKS5_SA_S6_PS5_21rocsparse_index_base_b.kd
    .uniform_work_group_size: 1
    .uses_dynamic_stack: false
    .vgpr_count:     38
    .vgpr_spill_count: 0
    .wavefront_size: 32
    .workgroup_processor_mode: 1
  - .args:
      - .offset:         0
        .size:           4
        .value_kind:     by_value
      - .offset:         4
        .size:           4
        .value_kind:     by_value
      - .offset:         8
        .size:           8
        .value_kind:     by_value
      - .actual_access:  read_only
        .address_space:  global
        .offset:         16
        .size:           8
        .value_kind:     global_buffer
      - .actual_access:  read_only
        .address_space:  global
        .offset:         24
        .size:           8
        .value_kind:     global_buffer
      - .actual_access:  read_only
        .address_space:  global
        .offset:         32
        .size:           8
        .value_kind:     global_buffer
      - .actual_access:  read_only
        .address_space:  global
        .offset:         40
        .size:           8
        .value_kind:     global_buffer
      - .offset:         48
        .size:           8
        .value_kind:     by_value
      - .address_space:  global
        .offset:         56
        .size:           8
        .value_kind:     global_buffer
      - .offset:         64
        .size:           4
        .value_kind:     by_value
      - .offset:         68
        .size:           1
        .value_kind:     by_value
    .group_segment_fixed_size: 0
    .kernarg_segment_align: 8
    .kernarg_segment_size: 72
    .language:       OpenCL C
    .language_version:
      - 2
      - 0
    .max_flat_workgroup_size: 128
    .name:           _ZN9rocsparseL19gebsrmvn_1xn_kernelILj128ELj6ELj32E21rocsparse_complex_numIfEEEvi20rocsparse_direction_NS_24const_host_device_scalarIT2_EEPKiS8_PKS5_SA_S6_PS5_21rocsparse_index_base_b
    .private_segment_fixed_size: 0
    .sgpr_count:     15
    .sgpr_spill_count: 0
    .symbol:         _ZN9rocsparseL19gebsrmvn_1xn_kernelILj128ELj6ELj32E21rocsparse_complex_numIfEEEvi20rocsparse_direction_NS_24const_host_device_scalarIT2_EEPKiS8_PKS5_SA_S6_PS5_21rocsparse_index_base_b.kd
    .uniform_work_group_size: 1
    .uses_dynamic_stack: false
    .vgpr_count:     38
    .vgpr_spill_count: 0
    .wavefront_size: 32
    .workgroup_processor_mode: 1
  - .args:
      - .offset:         0
        .size:           4
        .value_kind:     by_value
      - .offset:         4
        .size:           4
        .value_kind:     by_value
      - .offset:         8
        .size:           8
        .value_kind:     by_value
      - .actual_access:  read_only
        .address_space:  global
        .offset:         16
        .size:           8
        .value_kind:     global_buffer
      - .actual_access:  read_only
        .address_space:  global
        .offset:         24
        .size:           8
        .value_kind:     global_buffer
      - .actual_access:  read_only
        .address_space:  global
        .offset:         32
        .size:           8
        .value_kind:     global_buffer
      - .actual_access:  read_only
        .address_space:  global
        .offset:         40
        .size:           8
        .value_kind:     global_buffer
      - .offset:         48
        .size:           8
        .value_kind:     by_value
      - .address_space:  global
        .offset:         56
        .size:           8
        .value_kind:     global_buffer
      - .offset:         64
        .size:           4
        .value_kind:     by_value
      - .offset:         68
        .size:           1
        .value_kind:     by_value
    .group_segment_fixed_size: 0
    .kernarg_segment_align: 8
    .kernarg_segment_size: 72
    .language:       OpenCL C
    .language_version:
      - 2
      - 0
    .max_flat_workgroup_size: 128
    .name:           _ZN9rocsparseL19gebsrmvn_1xn_kernelILj128ELj6ELj64E21rocsparse_complex_numIfEEEvi20rocsparse_direction_NS_24const_host_device_scalarIT2_EEPKiS8_PKS5_SA_S6_PS5_21rocsparse_index_base_b
    .private_segment_fixed_size: 0
    .sgpr_count:     15
    .sgpr_spill_count: 0
    .symbol:         _ZN9rocsparseL19gebsrmvn_1xn_kernelILj128ELj6ELj64E21rocsparse_complex_numIfEEEvi20rocsparse_direction_NS_24const_host_device_scalarIT2_EEPKiS8_PKS5_SA_S6_PS5_21rocsparse_index_base_b.kd
    .uniform_work_group_size: 1
    .uses_dynamic_stack: false
    .vgpr_count:     38
    .vgpr_spill_count: 0
    .wavefront_size: 32
    .workgroup_processor_mode: 1
  - .args:
      - .offset:         0
        .size:           4
        .value_kind:     by_value
      - .offset:         4
        .size:           4
        .value_kind:     by_value
      - .offset:         8
        .size:           8
        .value_kind:     by_value
      - .actual_access:  read_only
        .address_space:  global
        .offset:         16
        .size:           8
        .value_kind:     global_buffer
      - .actual_access:  read_only
        .address_space:  global
        .offset:         24
        .size:           8
        .value_kind:     global_buffer
      - .actual_access:  read_only
        .address_space:  global
        .offset:         32
        .size:           8
        .value_kind:     global_buffer
      - .actual_access:  read_only
        .address_space:  global
        .offset:         40
        .size:           8
        .value_kind:     global_buffer
      - .offset:         48
        .size:           8
        .value_kind:     by_value
      - .address_space:  global
        .offset:         56
        .size:           8
        .value_kind:     global_buffer
      - .offset:         64
        .size:           4
        .value_kind:     by_value
      - .offset:         68
        .size:           1
        .value_kind:     by_value
    .group_segment_fixed_size: 0
    .kernarg_segment_align: 8
    .kernarg_segment_size: 72
    .language:       OpenCL C
    .language_version:
      - 2
      - 0
    .max_flat_workgroup_size: 128
    .name:           _ZN9rocsparseL19gebsrmvn_1xn_kernelILj128ELj7ELj4E21rocsparse_complex_numIfEEEvi20rocsparse_direction_NS_24const_host_device_scalarIT2_EEPKiS8_PKS5_SA_S6_PS5_21rocsparse_index_base_b
    .private_segment_fixed_size: 0
    .sgpr_count:     15
    .sgpr_spill_count: 0
    .symbol:         _ZN9rocsparseL19gebsrmvn_1xn_kernelILj128ELj7ELj4E21rocsparse_complex_numIfEEEvi20rocsparse_direction_NS_24const_host_device_scalarIT2_EEPKiS8_PKS5_SA_S6_PS5_21rocsparse_index_base_b.kd
    .uniform_work_group_size: 1
    .uses_dynamic_stack: false
    .vgpr_count:     44
    .vgpr_spill_count: 0
    .wavefront_size: 32
    .workgroup_processor_mode: 1
  - .args:
      - .offset:         0
        .size:           4
        .value_kind:     by_value
      - .offset:         4
        .size:           4
        .value_kind:     by_value
      - .offset:         8
        .size:           8
        .value_kind:     by_value
      - .actual_access:  read_only
        .address_space:  global
        .offset:         16
        .size:           8
        .value_kind:     global_buffer
      - .actual_access:  read_only
        .address_space:  global
        .offset:         24
        .size:           8
        .value_kind:     global_buffer
      - .actual_access:  read_only
        .address_space:  global
        .offset:         32
        .size:           8
        .value_kind:     global_buffer
      - .actual_access:  read_only
        .address_space:  global
        .offset:         40
        .size:           8
        .value_kind:     global_buffer
      - .offset:         48
        .size:           8
        .value_kind:     by_value
      - .address_space:  global
        .offset:         56
        .size:           8
        .value_kind:     global_buffer
      - .offset:         64
        .size:           4
        .value_kind:     by_value
      - .offset:         68
        .size:           1
        .value_kind:     by_value
    .group_segment_fixed_size: 0
    .kernarg_segment_align: 8
    .kernarg_segment_size: 72
    .language:       OpenCL C
    .language_version:
      - 2
      - 0
    .max_flat_workgroup_size: 128
    .name:           _ZN9rocsparseL19gebsrmvn_1xn_kernelILj128ELj7ELj8E21rocsparse_complex_numIfEEEvi20rocsparse_direction_NS_24const_host_device_scalarIT2_EEPKiS8_PKS5_SA_S6_PS5_21rocsparse_index_base_b
    .private_segment_fixed_size: 0
    .sgpr_count:     15
    .sgpr_spill_count: 0
    .symbol:         _ZN9rocsparseL19gebsrmvn_1xn_kernelILj128ELj7ELj8E21rocsparse_complex_numIfEEEvi20rocsparse_direction_NS_24const_host_device_scalarIT2_EEPKiS8_PKS5_SA_S6_PS5_21rocsparse_index_base_b.kd
    .uniform_work_group_size: 1
    .uses_dynamic_stack: false
    .vgpr_count:     44
    .vgpr_spill_count: 0
    .wavefront_size: 32
    .workgroup_processor_mode: 1
  - .args:
      - .offset:         0
        .size:           4
        .value_kind:     by_value
      - .offset:         4
        .size:           4
        .value_kind:     by_value
      - .offset:         8
        .size:           8
        .value_kind:     by_value
      - .actual_access:  read_only
        .address_space:  global
        .offset:         16
        .size:           8
        .value_kind:     global_buffer
      - .actual_access:  read_only
        .address_space:  global
        .offset:         24
        .size:           8
        .value_kind:     global_buffer
      - .actual_access:  read_only
        .address_space:  global
        .offset:         32
        .size:           8
        .value_kind:     global_buffer
      - .actual_access:  read_only
        .address_space:  global
        .offset:         40
        .size:           8
        .value_kind:     global_buffer
      - .offset:         48
        .size:           8
        .value_kind:     by_value
      - .address_space:  global
        .offset:         56
        .size:           8
        .value_kind:     global_buffer
      - .offset:         64
        .size:           4
        .value_kind:     by_value
      - .offset:         68
        .size:           1
        .value_kind:     by_value
    .group_segment_fixed_size: 0
    .kernarg_segment_align: 8
    .kernarg_segment_size: 72
    .language:       OpenCL C
    .language_version:
      - 2
      - 0
    .max_flat_workgroup_size: 128
    .name:           _ZN9rocsparseL19gebsrmvn_1xn_kernelILj128ELj7ELj16E21rocsparse_complex_numIfEEEvi20rocsparse_direction_NS_24const_host_device_scalarIT2_EEPKiS8_PKS5_SA_S6_PS5_21rocsparse_index_base_b
    .private_segment_fixed_size: 0
    .sgpr_count:     15
    .sgpr_spill_count: 0
    .symbol:         _ZN9rocsparseL19gebsrmvn_1xn_kernelILj128ELj7ELj16E21rocsparse_complex_numIfEEEvi20rocsparse_direction_NS_24const_host_device_scalarIT2_EEPKiS8_PKS5_SA_S6_PS5_21rocsparse_index_base_b.kd
    .uniform_work_group_size: 1
    .uses_dynamic_stack: false
    .vgpr_count:     44
    .vgpr_spill_count: 0
    .wavefront_size: 32
    .workgroup_processor_mode: 1
  - .args:
      - .offset:         0
        .size:           4
        .value_kind:     by_value
      - .offset:         4
        .size:           4
        .value_kind:     by_value
      - .offset:         8
        .size:           8
        .value_kind:     by_value
      - .actual_access:  read_only
        .address_space:  global
        .offset:         16
        .size:           8
        .value_kind:     global_buffer
      - .actual_access:  read_only
        .address_space:  global
        .offset:         24
        .size:           8
        .value_kind:     global_buffer
      - .actual_access:  read_only
        .address_space:  global
        .offset:         32
        .size:           8
        .value_kind:     global_buffer
      - .actual_access:  read_only
        .address_space:  global
        .offset:         40
        .size:           8
        .value_kind:     global_buffer
      - .offset:         48
        .size:           8
        .value_kind:     by_value
      - .address_space:  global
        .offset:         56
        .size:           8
        .value_kind:     global_buffer
      - .offset:         64
        .size:           4
        .value_kind:     by_value
      - .offset:         68
        .size:           1
        .value_kind:     by_value
    .group_segment_fixed_size: 0
    .kernarg_segment_align: 8
    .kernarg_segment_size: 72
    .language:       OpenCL C
    .language_version:
      - 2
      - 0
    .max_flat_workgroup_size: 128
    .name:           _ZN9rocsparseL19gebsrmvn_1xn_kernelILj128ELj7ELj32E21rocsparse_complex_numIfEEEvi20rocsparse_direction_NS_24const_host_device_scalarIT2_EEPKiS8_PKS5_SA_S6_PS5_21rocsparse_index_base_b
    .private_segment_fixed_size: 0
    .sgpr_count:     15
    .sgpr_spill_count: 0
    .symbol:         _ZN9rocsparseL19gebsrmvn_1xn_kernelILj128ELj7ELj32E21rocsparse_complex_numIfEEEvi20rocsparse_direction_NS_24const_host_device_scalarIT2_EEPKiS8_PKS5_SA_S6_PS5_21rocsparse_index_base_b.kd
    .uniform_work_group_size: 1
    .uses_dynamic_stack: false
    .vgpr_count:     44
    .vgpr_spill_count: 0
    .wavefront_size: 32
    .workgroup_processor_mode: 1
  - .args:
      - .offset:         0
        .size:           4
        .value_kind:     by_value
      - .offset:         4
        .size:           4
        .value_kind:     by_value
      - .offset:         8
        .size:           8
        .value_kind:     by_value
      - .actual_access:  read_only
        .address_space:  global
        .offset:         16
        .size:           8
        .value_kind:     global_buffer
      - .actual_access:  read_only
        .address_space:  global
        .offset:         24
        .size:           8
        .value_kind:     global_buffer
      - .actual_access:  read_only
        .address_space:  global
        .offset:         32
        .size:           8
        .value_kind:     global_buffer
      - .actual_access:  read_only
        .address_space:  global
        .offset:         40
        .size:           8
        .value_kind:     global_buffer
      - .offset:         48
        .size:           8
        .value_kind:     by_value
      - .address_space:  global
        .offset:         56
        .size:           8
        .value_kind:     global_buffer
      - .offset:         64
        .size:           4
        .value_kind:     by_value
      - .offset:         68
        .size:           1
        .value_kind:     by_value
    .group_segment_fixed_size: 0
    .kernarg_segment_align: 8
    .kernarg_segment_size: 72
    .language:       OpenCL C
    .language_version:
      - 2
      - 0
    .max_flat_workgroup_size: 128
    .name:           _ZN9rocsparseL19gebsrmvn_1xn_kernelILj128ELj7ELj64E21rocsparse_complex_numIfEEEvi20rocsparse_direction_NS_24const_host_device_scalarIT2_EEPKiS8_PKS5_SA_S6_PS5_21rocsparse_index_base_b
    .private_segment_fixed_size: 0
    .sgpr_count:     15
    .sgpr_spill_count: 0
    .symbol:         _ZN9rocsparseL19gebsrmvn_1xn_kernelILj128ELj7ELj64E21rocsparse_complex_numIfEEEvi20rocsparse_direction_NS_24const_host_device_scalarIT2_EEPKiS8_PKS5_SA_S6_PS5_21rocsparse_index_base_b.kd
    .uniform_work_group_size: 1
    .uses_dynamic_stack: false
    .vgpr_count:     44
    .vgpr_spill_count: 0
    .wavefront_size: 32
    .workgroup_processor_mode: 1
  - .args:
      - .offset:         0
        .size:           4
        .value_kind:     by_value
      - .offset:         4
        .size:           4
        .value_kind:     by_value
      - .offset:         8
        .size:           8
        .value_kind:     by_value
      - .actual_access:  read_only
        .address_space:  global
        .offset:         16
        .size:           8
        .value_kind:     global_buffer
      - .actual_access:  read_only
        .address_space:  global
        .offset:         24
        .size:           8
        .value_kind:     global_buffer
      - .actual_access:  read_only
        .address_space:  global
        .offset:         32
        .size:           8
        .value_kind:     global_buffer
      - .actual_access:  read_only
        .address_space:  global
        .offset:         40
        .size:           8
        .value_kind:     global_buffer
      - .offset:         48
        .size:           8
        .value_kind:     by_value
      - .address_space:  global
        .offset:         56
        .size:           8
        .value_kind:     global_buffer
      - .offset:         64
        .size:           4
        .value_kind:     by_value
      - .offset:         68
        .size:           1
        .value_kind:     by_value
    .group_segment_fixed_size: 0
    .kernarg_segment_align: 8
    .kernarg_segment_size: 72
    .language:       OpenCL C
    .language_version:
      - 2
      - 0
    .max_flat_workgroup_size: 128
    .name:           _ZN9rocsparseL19gebsrmvn_1xn_kernelILj128ELj8ELj4E21rocsparse_complex_numIfEEEvi20rocsparse_direction_NS_24const_host_device_scalarIT2_EEPKiS8_PKS5_SA_S6_PS5_21rocsparse_index_base_b
    .private_segment_fixed_size: 0
    .sgpr_count:     15
    .sgpr_spill_count: 0
    .symbol:         _ZN9rocsparseL19gebsrmvn_1xn_kernelILj128ELj8ELj4E21rocsparse_complex_numIfEEEvi20rocsparse_direction_NS_24const_host_device_scalarIT2_EEPKiS8_PKS5_SA_S6_PS5_21rocsparse_index_base_b.kd
    .uniform_work_group_size: 1
    .uses_dynamic_stack: false
    .vgpr_count:     46
    .vgpr_spill_count: 0
    .wavefront_size: 32
    .workgroup_processor_mode: 1
  - .args:
      - .offset:         0
        .size:           4
        .value_kind:     by_value
      - .offset:         4
        .size:           4
        .value_kind:     by_value
      - .offset:         8
        .size:           8
        .value_kind:     by_value
      - .actual_access:  read_only
        .address_space:  global
        .offset:         16
        .size:           8
        .value_kind:     global_buffer
      - .actual_access:  read_only
        .address_space:  global
        .offset:         24
        .size:           8
        .value_kind:     global_buffer
      - .actual_access:  read_only
        .address_space:  global
        .offset:         32
        .size:           8
        .value_kind:     global_buffer
      - .actual_access:  read_only
        .address_space:  global
        .offset:         40
        .size:           8
        .value_kind:     global_buffer
      - .offset:         48
        .size:           8
        .value_kind:     by_value
      - .address_space:  global
        .offset:         56
        .size:           8
        .value_kind:     global_buffer
      - .offset:         64
        .size:           4
        .value_kind:     by_value
      - .offset:         68
        .size:           1
        .value_kind:     by_value
    .group_segment_fixed_size: 0
    .kernarg_segment_align: 8
    .kernarg_segment_size: 72
    .language:       OpenCL C
    .language_version:
      - 2
      - 0
    .max_flat_workgroup_size: 128
    .name:           _ZN9rocsparseL19gebsrmvn_1xn_kernelILj128ELj8ELj8E21rocsparse_complex_numIfEEEvi20rocsparse_direction_NS_24const_host_device_scalarIT2_EEPKiS8_PKS5_SA_S6_PS5_21rocsparse_index_base_b
    .private_segment_fixed_size: 0
    .sgpr_count:     15
    .sgpr_spill_count: 0
    .symbol:         _ZN9rocsparseL19gebsrmvn_1xn_kernelILj128ELj8ELj8E21rocsparse_complex_numIfEEEvi20rocsparse_direction_NS_24const_host_device_scalarIT2_EEPKiS8_PKS5_SA_S6_PS5_21rocsparse_index_base_b.kd
    .uniform_work_group_size: 1
    .uses_dynamic_stack: false
    .vgpr_count:     46
    .vgpr_spill_count: 0
    .wavefront_size: 32
    .workgroup_processor_mode: 1
  - .args:
      - .offset:         0
        .size:           4
        .value_kind:     by_value
      - .offset:         4
        .size:           4
        .value_kind:     by_value
      - .offset:         8
        .size:           8
        .value_kind:     by_value
      - .actual_access:  read_only
        .address_space:  global
        .offset:         16
        .size:           8
        .value_kind:     global_buffer
      - .actual_access:  read_only
        .address_space:  global
        .offset:         24
        .size:           8
        .value_kind:     global_buffer
      - .actual_access:  read_only
        .address_space:  global
        .offset:         32
        .size:           8
        .value_kind:     global_buffer
      - .actual_access:  read_only
        .address_space:  global
        .offset:         40
        .size:           8
        .value_kind:     global_buffer
      - .offset:         48
        .size:           8
        .value_kind:     by_value
      - .address_space:  global
        .offset:         56
        .size:           8
        .value_kind:     global_buffer
      - .offset:         64
        .size:           4
        .value_kind:     by_value
      - .offset:         68
        .size:           1
        .value_kind:     by_value
    .group_segment_fixed_size: 0
    .kernarg_segment_align: 8
    .kernarg_segment_size: 72
    .language:       OpenCL C
    .language_version:
      - 2
      - 0
    .max_flat_workgroup_size: 128
    .name:           _ZN9rocsparseL19gebsrmvn_1xn_kernelILj128ELj8ELj16E21rocsparse_complex_numIfEEEvi20rocsparse_direction_NS_24const_host_device_scalarIT2_EEPKiS8_PKS5_SA_S6_PS5_21rocsparse_index_base_b
    .private_segment_fixed_size: 0
    .sgpr_count:     15
    .sgpr_spill_count: 0
    .symbol:         _ZN9rocsparseL19gebsrmvn_1xn_kernelILj128ELj8ELj16E21rocsparse_complex_numIfEEEvi20rocsparse_direction_NS_24const_host_device_scalarIT2_EEPKiS8_PKS5_SA_S6_PS5_21rocsparse_index_base_b.kd
    .uniform_work_group_size: 1
    .uses_dynamic_stack: false
    .vgpr_count:     46
    .vgpr_spill_count: 0
    .wavefront_size: 32
    .workgroup_processor_mode: 1
  - .args:
      - .offset:         0
        .size:           4
        .value_kind:     by_value
      - .offset:         4
        .size:           4
        .value_kind:     by_value
      - .offset:         8
        .size:           8
        .value_kind:     by_value
      - .actual_access:  read_only
        .address_space:  global
        .offset:         16
        .size:           8
        .value_kind:     global_buffer
      - .actual_access:  read_only
        .address_space:  global
        .offset:         24
        .size:           8
        .value_kind:     global_buffer
      - .actual_access:  read_only
        .address_space:  global
        .offset:         32
        .size:           8
        .value_kind:     global_buffer
      - .actual_access:  read_only
        .address_space:  global
        .offset:         40
        .size:           8
        .value_kind:     global_buffer
      - .offset:         48
        .size:           8
        .value_kind:     by_value
      - .address_space:  global
        .offset:         56
        .size:           8
        .value_kind:     global_buffer
      - .offset:         64
        .size:           4
        .value_kind:     by_value
      - .offset:         68
        .size:           1
        .value_kind:     by_value
    .group_segment_fixed_size: 0
    .kernarg_segment_align: 8
    .kernarg_segment_size: 72
    .language:       OpenCL C
    .language_version:
      - 2
      - 0
    .max_flat_workgroup_size: 128
    .name:           _ZN9rocsparseL19gebsrmvn_1xn_kernelILj128ELj8ELj32E21rocsparse_complex_numIfEEEvi20rocsparse_direction_NS_24const_host_device_scalarIT2_EEPKiS8_PKS5_SA_S6_PS5_21rocsparse_index_base_b
    .private_segment_fixed_size: 0
    .sgpr_count:     15
    .sgpr_spill_count: 0
    .symbol:         _ZN9rocsparseL19gebsrmvn_1xn_kernelILj128ELj8ELj32E21rocsparse_complex_numIfEEEvi20rocsparse_direction_NS_24const_host_device_scalarIT2_EEPKiS8_PKS5_SA_S6_PS5_21rocsparse_index_base_b.kd
    .uniform_work_group_size: 1
    .uses_dynamic_stack: false
    .vgpr_count:     46
    .vgpr_spill_count: 0
    .wavefront_size: 32
    .workgroup_processor_mode: 1
  - .args:
      - .offset:         0
        .size:           4
        .value_kind:     by_value
      - .offset:         4
        .size:           4
        .value_kind:     by_value
      - .offset:         8
        .size:           8
        .value_kind:     by_value
      - .actual_access:  read_only
        .address_space:  global
        .offset:         16
        .size:           8
        .value_kind:     global_buffer
      - .actual_access:  read_only
        .address_space:  global
        .offset:         24
        .size:           8
        .value_kind:     global_buffer
      - .actual_access:  read_only
        .address_space:  global
        .offset:         32
        .size:           8
        .value_kind:     global_buffer
      - .actual_access:  read_only
        .address_space:  global
        .offset:         40
        .size:           8
        .value_kind:     global_buffer
      - .offset:         48
        .size:           8
        .value_kind:     by_value
      - .address_space:  global
        .offset:         56
        .size:           8
        .value_kind:     global_buffer
      - .offset:         64
        .size:           4
        .value_kind:     by_value
      - .offset:         68
        .size:           1
        .value_kind:     by_value
    .group_segment_fixed_size: 0
    .kernarg_segment_align: 8
    .kernarg_segment_size: 72
    .language:       OpenCL C
    .language_version:
      - 2
      - 0
    .max_flat_workgroup_size: 128
    .name:           _ZN9rocsparseL19gebsrmvn_1xn_kernelILj128ELj8ELj64E21rocsparse_complex_numIfEEEvi20rocsparse_direction_NS_24const_host_device_scalarIT2_EEPKiS8_PKS5_SA_S6_PS5_21rocsparse_index_base_b
    .private_segment_fixed_size: 0
    .sgpr_count:     15
    .sgpr_spill_count: 0
    .symbol:         _ZN9rocsparseL19gebsrmvn_1xn_kernelILj128ELj8ELj64E21rocsparse_complex_numIfEEEvi20rocsparse_direction_NS_24const_host_device_scalarIT2_EEPKiS8_PKS5_SA_S6_PS5_21rocsparse_index_base_b.kd
    .uniform_work_group_size: 1
    .uses_dynamic_stack: false
    .vgpr_count:     46
    .vgpr_spill_count: 0
    .wavefront_size: 32
    .workgroup_processor_mode: 1
  - .args:
      - .offset:         0
        .size:           4
        .value_kind:     by_value
      - .offset:         4
        .size:           4
        .value_kind:     by_value
      - .offset:         8
        .size:           8
        .value_kind:     by_value
      - .actual_access:  read_only
        .address_space:  global
        .offset:         16
        .size:           8
        .value_kind:     global_buffer
      - .actual_access:  read_only
        .address_space:  global
        .offset:         24
        .size:           8
        .value_kind:     global_buffer
      - .actual_access:  read_only
        .address_space:  global
        .offset:         32
        .size:           8
        .value_kind:     global_buffer
      - .actual_access:  read_only
        .address_space:  global
        .offset:         40
        .size:           8
        .value_kind:     global_buffer
      - .offset:         48
        .size:           8
        .value_kind:     by_value
      - .address_space:  global
        .offset:         56
        .size:           8
        .value_kind:     global_buffer
      - .offset:         64
        .size:           4
        .value_kind:     by_value
      - .offset:         68
        .size:           1
        .value_kind:     by_value
    .group_segment_fixed_size: 0
    .kernarg_segment_align: 8
    .kernarg_segment_size: 72
    .language:       OpenCL C
    .language_version:
      - 2
      - 0
    .max_flat_workgroup_size: 128
    .name:           _ZN9rocsparseL19gebsrmvn_1xn_kernelILj128ELj9ELj4E21rocsparse_complex_numIfEEEvi20rocsparse_direction_NS_24const_host_device_scalarIT2_EEPKiS8_PKS5_SA_S6_PS5_21rocsparse_index_base_b
    .private_segment_fixed_size: 0
    .sgpr_count:     15
    .sgpr_spill_count: 0
    .symbol:         _ZN9rocsparseL19gebsrmvn_1xn_kernelILj128ELj9ELj4E21rocsparse_complex_numIfEEEvi20rocsparse_direction_NS_24const_host_device_scalarIT2_EEPKiS8_PKS5_SA_S6_PS5_21rocsparse_index_base_b.kd
    .uniform_work_group_size: 1
    .uses_dynamic_stack: false
    .vgpr_count:     52
    .vgpr_spill_count: 0
    .wavefront_size: 32
    .workgroup_processor_mode: 1
  - .args:
      - .offset:         0
        .size:           4
        .value_kind:     by_value
      - .offset:         4
        .size:           4
        .value_kind:     by_value
      - .offset:         8
        .size:           8
        .value_kind:     by_value
      - .actual_access:  read_only
        .address_space:  global
        .offset:         16
        .size:           8
        .value_kind:     global_buffer
      - .actual_access:  read_only
        .address_space:  global
        .offset:         24
        .size:           8
        .value_kind:     global_buffer
      - .actual_access:  read_only
        .address_space:  global
        .offset:         32
        .size:           8
        .value_kind:     global_buffer
      - .actual_access:  read_only
        .address_space:  global
        .offset:         40
        .size:           8
        .value_kind:     global_buffer
      - .offset:         48
        .size:           8
        .value_kind:     by_value
      - .address_space:  global
        .offset:         56
        .size:           8
        .value_kind:     global_buffer
      - .offset:         64
        .size:           4
        .value_kind:     by_value
      - .offset:         68
        .size:           1
        .value_kind:     by_value
    .group_segment_fixed_size: 0
    .kernarg_segment_align: 8
    .kernarg_segment_size: 72
    .language:       OpenCL C
    .language_version:
      - 2
      - 0
    .max_flat_workgroup_size: 128
    .name:           _ZN9rocsparseL19gebsrmvn_1xn_kernelILj128ELj9ELj8E21rocsparse_complex_numIfEEEvi20rocsparse_direction_NS_24const_host_device_scalarIT2_EEPKiS8_PKS5_SA_S6_PS5_21rocsparse_index_base_b
    .private_segment_fixed_size: 0
    .sgpr_count:     15
    .sgpr_spill_count: 0
    .symbol:         _ZN9rocsparseL19gebsrmvn_1xn_kernelILj128ELj9ELj8E21rocsparse_complex_numIfEEEvi20rocsparse_direction_NS_24const_host_device_scalarIT2_EEPKiS8_PKS5_SA_S6_PS5_21rocsparse_index_base_b.kd
    .uniform_work_group_size: 1
    .uses_dynamic_stack: false
    .vgpr_count:     52
    .vgpr_spill_count: 0
    .wavefront_size: 32
    .workgroup_processor_mode: 1
  - .args:
      - .offset:         0
        .size:           4
        .value_kind:     by_value
      - .offset:         4
        .size:           4
        .value_kind:     by_value
      - .offset:         8
        .size:           8
        .value_kind:     by_value
      - .actual_access:  read_only
        .address_space:  global
        .offset:         16
        .size:           8
        .value_kind:     global_buffer
      - .actual_access:  read_only
        .address_space:  global
        .offset:         24
        .size:           8
        .value_kind:     global_buffer
      - .actual_access:  read_only
        .address_space:  global
        .offset:         32
        .size:           8
        .value_kind:     global_buffer
      - .actual_access:  read_only
        .address_space:  global
        .offset:         40
        .size:           8
        .value_kind:     global_buffer
      - .offset:         48
        .size:           8
        .value_kind:     by_value
      - .address_space:  global
        .offset:         56
        .size:           8
        .value_kind:     global_buffer
      - .offset:         64
        .size:           4
        .value_kind:     by_value
      - .offset:         68
        .size:           1
        .value_kind:     by_value
    .group_segment_fixed_size: 0
    .kernarg_segment_align: 8
    .kernarg_segment_size: 72
    .language:       OpenCL C
    .language_version:
      - 2
      - 0
    .max_flat_workgroup_size: 128
    .name:           _ZN9rocsparseL19gebsrmvn_1xn_kernelILj128ELj9ELj16E21rocsparse_complex_numIfEEEvi20rocsparse_direction_NS_24const_host_device_scalarIT2_EEPKiS8_PKS5_SA_S6_PS5_21rocsparse_index_base_b
    .private_segment_fixed_size: 0
    .sgpr_count:     15
    .sgpr_spill_count: 0
    .symbol:         _ZN9rocsparseL19gebsrmvn_1xn_kernelILj128ELj9ELj16E21rocsparse_complex_numIfEEEvi20rocsparse_direction_NS_24const_host_device_scalarIT2_EEPKiS8_PKS5_SA_S6_PS5_21rocsparse_index_base_b.kd
    .uniform_work_group_size: 1
    .uses_dynamic_stack: false
    .vgpr_count:     52
    .vgpr_spill_count: 0
    .wavefront_size: 32
    .workgroup_processor_mode: 1
  - .args:
      - .offset:         0
        .size:           4
        .value_kind:     by_value
      - .offset:         4
        .size:           4
        .value_kind:     by_value
      - .offset:         8
        .size:           8
        .value_kind:     by_value
      - .actual_access:  read_only
        .address_space:  global
        .offset:         16
        .size:           8
        .value_kind:     global_buffer
      - .actual_access:  read_only
        .address_space:  global
        .offset:         24
        .size:           8
        .value_kind:     global_buffer
      - .actual_access:  read_only
        .address_space:  global
        .offset:         32
        .size:           8
        .value_kind:     global_buffer
      - .actual_access:  read_only
        .address_space:  global
        .offset:         40
        .size:           8
        .value_kind:     global_buffer
      - .offset:         48
        .size:           8
        .value_kind:     by_value
      - .address_space:  global
        .offset:         56
        .size:           8
        .value_kind:     global_buffer
      - .offset:         64
        .size:           4
        .value_kind:     by_value
      - .offset:         68
        .size:           1
        .value_kind:     by_value
    .group_segment_fixed_size: 0
    .kernarg_segment_align: 8
    .kernarg_segment_size: 72
    .language:       OpenCL C
    .language_version:
      - 2
      - 0
    .max_flat_workgroup_size: 128
    .name:           _ZN9rocsparseL19gebsrmvn_1xn_kernelILj128ELj9ELj32E21rocsparse_complex_numIfEEEvi20rocsparse_direction_NS_24const_host_device_scalarIT2_EEPKiS8_PKS5_SA_S6_PS5_21rocsparse_index_base_b
    .private_segment_fixed_size: 0
    .sgpr_count:     15
    .sgpr_spill_count: 0
    .symbol:         _ZN9rocsparseL19gebsrmvn_1xn_kernelILj128ELj9ELj32E21rocsparse_complex_numIfEEEvi20rocsparse_direction_NS_24const_host_device_scalarIT2_EEPKiS8_PKS5_SA_S6_PS5_21rocsparse_index_base_b.kd
    .uniform_work_group_size: 1
    .uses_dynamic_stack: false
    .vgpr_count:     52
    .vgpr_spill_count: 0
    .wavefront_size: 32
    .workgroup_processor_mode: 1
  - .args:
      - .offset:         0
        .size:           4
        .value_kind:     by_value
      - .offset:         4
        .size:           4
        .value_kind:     by_value
      - .offset:         8
        .size:           8
        .value_kind:     by_value
      - .actual_access:  read_only
        .address_space:  global
        .offset:         16
        .size:           8
        .value_kind:     global_buffer
      - .actual_access:  read_only
        .address_space:  global
        .offset:         24
        .size:           8
        .value_kind:     global_buffer
      - .actual_access:  read_only
        .address_space:  global
        .offset:         32
        .size:           8
        .value_kind:     global_buffer
      - .actual_access:  read_only
        .address_space:  global
        .offset:         40
        .size:           8
        .value_kind:     global_buffer
      - .offset:         48
        .size:           8
        .value_kind:     by_value
      - .address_space:  global
        .offset:         56
        .size:           8
        .value_kind:     global_buffer
      - .offset:         64
        .size:           4
        .value_kind:     by_value
      - .offset:         68
        .size:           1
        .value_kind:     by_value
    .group_segment_fixed_size: 0
    .kernarg_segment_align: 8
    .kernarg_segment_size: 72
    .language:       OpenCL C
    .language_version:
      - 2
      - 0
    .max_flat_workgroup_size: 128
    .name:           _ZN9rocsparseL19gebsrmvn_1xn_kernelILj128ELj9ELj64E21rocsparse_complex_numIfEEEvi20rocsparse_direction_NS_24const_host_device_scalarIT2_EEPKiS8_PKS5_SA_S6_PS5_21rocsparse_index_base_b
    .private_segment_fixed_size: 0
    .sgpr_count:     15
    .sgpr_spill_count: 0
    .symbol:         _ZN9rocsparseL19gebsrmvn_1xn_kernelILj128ELj9ELj64E21rocsparse_complex_numIfEEEvi20rocsparse_direction_NS_24const_host_device_scalarIT2_EEPKiS8_PKS5_SA_S6_PS5_21rocsparse_index_base_b.kd
    .uniform_work_group_size: 1
    .uses_dynamic_stack: false
    .vgpr_count:     52
    .vgpr_spill_count: 0
    .wavefront_size: 32
    .workgroup_processor_mode: 1
  - .args:
      - .offset:         0
        .size:           4
        .value_kind:     by_value
      - .offset:         4
        .size:           4
        .value_kind:     by_value
      - .offset:         8
        .size:           8
        .value_kind:     by_value
      - .actual_access:  read_only
        .address_space:  global
        .offset:         16
        .size:           8
        .value_kind:     global_buffer
      - .actual_access:  read_only
        .address_space:  global
        .offset:         24
        .size:           8
        .value_kind:     global_buffer
      - .actual_access:  read_only
        .address_space:  global
        .offset:         32
        .size:           8
        .value_kind:     global_buffer
      - .actual_access:  read_only
        .address_space:  global
        .offset:         40
        .size:           8
        .value_kind:     global_buffer
      - .offset:         48
        .size:           8
        .value_kind:     by_value
      - .address_space:  global
        .offset:         56
        .size:           8
        .value_kind:     global_buffer
      - .offset:         64
        .size:           4
        .value_kind:     by_value
      - .offset:         68
        .size:           1
        .value_kind:     by_value
    .group_segment_fixed_size: 0
    .kernarg_segment_align: 8
    .kernarg_segment_size: 72
    .language:       OpenCL C
    .language_version:
      - 2
      - 0
    .max_flat_workgroup_size: 128
    .name:           _ZN9rocsparseL19gebsrmvn_1xn_kernelILj128ELj10ELj4E21rocsparse_complex_numIfEEEvi20rocsparse_direction_NS_24const_host_device_scalarIT2_EEPKiS8_PKS5_SA_S6_PS5_21rocsparse_index_base_b
    .private_segment_fixed_size: 0
    .sgpr_count:     15
    .sgpr_spill_count: 0
    .symbol:         _ZN9rocsparseL19gebsrmvn_1xn_kernelILj128ELj10ELj4E21rocsparse_complex_numIfEEEvi20rocsparse_direction_NS_24const_host_device_scalarIT2_EEPKiS8_PKS5_SA_S6_PS5_21rocsparse_index_base_b.kd
    .uniform_work_group_size: 1
    .uses_dynamic_stack: false
    .vgpr_count:     54
    .vgpr_spill_count: 0
    .wavefront_size: 32
    .workgroup_processor_mode: 1
  - .args:
      - .offset:         0
        .size:           4
        .value_kind:     by_value
      - .offset:         4
        .size:           4
        .value_kind:     by_value
      - .offset:         8
        .size:           8
        .value_kind:     by_value
      - .actual_access:  read_only
        .address_space:  global
        .offset:         16
        .size:           8
        .value_kind:     global_buffer
      - .actual_access:  read_only
        .address_space:  global
        .offset:         24
        .size:           8
        .value_kind:     global_buffer
      - .actual_access:  read_only
        .address_space:  global
        .offset:         32
        .size:           8
        .value_kind:     global_buffer
      - .actual_access:  read_only
        .address_space:  global
        .offset:         40
        .size:           8
        .value_kind:     global_buffer
      - .offset:         48
        .size:           8
        .value_kind:     by_value
      - .address_space:  global
        .offset:         56
        .size:           8
        .value_kind:     global_buffer
      - .offset:         64
        .size:           4
        .value_kind:     by_value
      - .offset:         68
        .size:           1
        .value_kind:     by_value
    .group_segment_fixed_size: 0
    .kernarg_segment_align: 8
    .kernarg_segment_size: 72
    .language:       OpenCL C
    .language_version:
      - 2
      - 0
    .max_flat_workgroup_size: 128
    .name:           _ZN9rocsparseL19gebsrmvn_1xn_kernelILj128ELj10ELj8E21rocsparse_complex_numIfEEEvi20rocsparse_direction_NS_24const_host_device_scalarIT2_EEPKiS8_PKS5_SA_S6_PS5_21rocsparse_index_base_b
    .private_segment_fixed_size: 0
    .sgpr_count:     15
    .sgpr_spill_count: 0
    .symbol:         _ZN9rocsparseL19gebsrmvn_1xn_kernelILj128ELj10ELj8E21rocsparse_complex_numIfEEEvi20rocsparse_direction_NS_24const_host_device_scalarIT2_EEPKiS8_PKS5_SA_S6_PS5_21rocsparse_index_base_b.kd
    .uniform_work_group_size: 1
    .uses_dynamic_stack: false
    .vgpr_count:     54
    .vgpr_spill_count: 0
    .wavefront_size: 32
    .workgroup_processor_mode: 1
  - .args:
      - .offset:         0
        .size:           4
        .value_kind:     by_value
      - .offset:         4
        .size:           4
        .value_kind:     by_value
      - .offset:         8
        .size:           8
        .value_kind:     by_value
      - .actual_access:  read_only
        .address_space:  global
        .offset:         16
        .size:           8
        .value_kind:     global_buffer
      - .actual_access:  read_only
        .address_space:  global
        .offset:         24
        .size:           8
        .value_kind:     global_buffer
      - .actual_access:  read_only
        .address_space:  global
        .offset:         32
        .size:           8
        .value_kind:     global_buffer
      - .actual_access:  read_only
        .address_space:  global
        .offset:         40
        .size:           8
        .value_kind:     global_buffer
      - .offset:         48
        .size:           8
        .value_kind:     by_value
      - .address_space:  global
        .offset:         56
        .size:           8
        .value_kind:     global_buffer
      - .offset:         64
        .size:           4
        .value_kind:     by_value
      - .offset:         68
        .size:           1
        .value_kind:     by_value
    .group_segment_fixed_size: 0
    .kernarg_segment_align: 8
    .kernarg_segment_size: 72
    .language:       OpenCL C
    .language_version:
      - 2
      - 0
    .max_flat_workgroup_size: 128
    .name:           _ZN9rocsparseL19gebsrmvn_1xn_kernelILj128ELj10ELj16E21rocsparse_complex_numIfEEEvi20rocsparse_direction_NS_24const_host_device_scalarIT2_EEPKiS8_PKS5_SA_S6_PS5_21rocsparse_index_base_b
    .private_segment_fixed_size: 0
    .sgpr_count:     15
    .sgpr_spill_count: 0
    .symbol:         _ZN9rocsparseL19gebsrmvn_1xn_kernelILj128ELj10ELj16E21rocsparse_complex_numIfEEEvi20rocsparse_direction_NS_24const_host_device_scalarIT2_EEPKiS8_PKS5_SA_S6_PS5_21rocsparse_index_base_b.kd
    .uniform_work_group_size: 1
    .uses_dynamic_stack: false
    .vgpr_count:     54
    .vgpr_spill_count: 0
    .wavefront_size: 32
    .workgroup_processor_mode: 1
  - .args:
      - .offset:         0
        .size:           4
        .value_kind:     by_value
      - .offset:         4
        .size:           4
        .value_kind:     by_value
      - .offset:         8
        .size:           8
        .value_kind:     by_value
      - .actual_access:  read_only
        .address_space:  global
        .offset:         16
        .size:           8
        .value_kind:     global_buffer
      - .actual_access:  read_only
        .address_space:  global
        .offset:         24
        .size:           8
        .value_kind:     global_buffer
      - .actual_access:  read_only
        .address_space:  global
        .offset:         32
        .size:           8
        .value_kind:     global_buffer
      - .actual_access:  read_only
        .address_space:  global
        .offset:         40
        .size:           8
        .value_kind:     global_buffer
      - .offset:         48
        .size:           8
        .value_kind:     by_value
      - .address_space:  global
        .offset:         56
        .size:           8
        .value_kind:     global_buffer
      - .offset:         64
        .size:           4
        .value_kind:     by_value
      - .offset:         68
        .size:           1
        .value_kind:     by_value
    .group_segment_fixed_size: 0
    .kernarg_segment_align: 8
    .kernarg_segment_size: 72
    .language:       OpenCL C
    .language_version:
      - 2
      - 0
    .max_flat_workgroup_size: 128
    .name:           _ZN9rocsparseL19gebsrmvn_1xn_kernelILj128ELj10ELj32E21rocsparse_complex_numIfEEEvi20rocsparse_direction_NS_24const_host_device_scalarIT2_EEPKiS8_PKS5_SA_S6_PS5_21rocsparse_index_base_b
    .private_segment_fixed_size: 0
    .sgpr_count:     15
    .sgpr_spill_count: 0
    .symbol:         _ZN9rocsparseL19gebsrmvn_1xn_kernelILj128ELj10ELj32E21rocsparse_complex_numIfEEEvi20rocsparse_direction_NS_24const_host_device_scalarIT2_EEPKiS8_PKS5_SA_S6_PS5_21rocsparse_index_base_b.kd
    .uniform_work_group_size: 1
    .uses_dynamic_stack: false
    .vgpr_count:     54
    .vgpr_spill_count: 0
    .wavefront_size: 32
    .workgroup_processor_mode: 1
  - .args:
      - .offset:         0
        .size:           4
        .value_kind:     by_value
      - .offset:         4
        .size:           4
        .value_kind:     by_value
      - .offset:         8
        .size:           8
        .value_kind:     by_value
      - .actual_access:  read_only
        .address_space:  global
        .offset:         16
        .size:           8
        .value_kind:     global_buffer
      - .actual_access:  read_only
        .address_space:  global
        .offset:         24
        .size:           8
        .value_kind:     global_buffer
      - .actual_access:  read_only
        .address_space:  global
        .offset:         32
        .size:           8
        .value_kind:     global_buffer
      - .actual_access:  read_only
        .address_space:  global
        .offset:         40
        .size:           8
        .value_kind:     global_buffer
      - .offset:         48
        .size:           8
        .value_kind:     by_value
      - .address_space:  global
        .offset:         56
        .size:           8
        .value_kind:     global_buffer
      - .offset:         64
        .size:           4
        .value_kind:     by_value
      - .offset:         68
        .size:           1
        .value_kind:     by_value
    .group_segment_fixed_size: 0
    .kernarg_segment_align: 8
    .kernarg_segment_size: 72
    .language:       OpenCL C
    .language_version:
      - 2
      - 0
    .max_flat_workgroup_size: 128
    .name:           _ZN9rocsparseL19gebsrmvn_1xn_kernelILj128ELj10ELj64E21rocsparse_complex_numIfEEEvi20rocsparse_direction_NS_24const_host_device_scalarIT2_EEPKiS8_PKS5_SA_S6_PS5_21rocsparse_index_base_b
    .private_segment_fixed_size: 0
    .sgpr_count:     15
    .sgpr_spill_count: 0
    .symbol:         _ZN9rocsparseL19gebsrmvn_1xn_kernelILj128ELj10ELj64E21rocsparse_complex_numIfEEEvi20rocsparse_direction_NS_24const_host_device_scalarIT2_EEPKiS8_PKS5_SA_S6_PS5_21rocsparse_index_base_b.kd
    .uniform_work_group_size: 1
    .uses_dynamic_stack: false
    .vgpr_count:     54
    .vgpr_spill_count: 0
    .wavefront_size: 32
    .workgroup_processor_mode: 1
  - .args:
      - .offset:         0
        .size:           4
        .value_kind:     by_value
      - .offset:         4
        .size:           4
        .value_kind:     by_value
      - .offset:         8
        .size:           8
        .value_kind:     by_value
      - .actual_access:  read_only
        .address_space:  global
        .offset:         16
        .size:           8
        .value_kind:     global_buffer
      - .actual_access:  read_only
        .address_space:  global
        .offset:         24
        .size:           8
        .value_kind:     global_buffer
      - .actual_access:  read_only
        .address_space:  global
        .offset:         32
        .size:           8
        .value_kind:     global_buffer
      - .actual_access:  read_only
        .address_space:  global
        .offset:         40
        .size:           8
        .value_kind:     global_buffer
      - .offset:         48
        .size:           8
        .value_kind:     by_value
      - .address_space:  global
        .offset:         56
        .size:           8
        .value_kind:     global_buffer
      - .offset:         64
        .size:           4
        .value_kind:     by_value
      - .offset:         68
        .size:           1
        .value_kind:     by_value
    .group_segment_fixed_size: 0
    .kernarg_segment_align: 8
    .kernarg_segment_size: 72
    .language:       OpenCL C
    .language_version:
      - 2
      - 0
    .max_flat_workgroup_size: 128
    .name:           _ZN9rocsparseL19gebsrmvn_1xn_kernelILj128ELj11ELj4E21rocsparse_complex_numIfEEEvi20rocsparse_direction_NS_24const_host_device_scalarIT2_EEPKiS8_PKS5_SA_S6_PS5_21rocsparse_index_base_b
    .private_segment_fixed_size: 0
    .sgpr_count:     15
    .sgpr_spill_count: 0
    .symbol:         _ZN9rocsparseL19gebsrmvn_1xn_kernelILj128ELj11ELj4E21rocsparse_complex_numIfEEEvi20rocsparse_direction_NS_24const_host_device_scalarIT2_EEPKiS8_PKS5_SA_S6_PS5_21rocsparse_index_base_b.kd
    .uniform_work_group_size: 1
    .uses_dynamic_stack: false
    .vgpr_count:     60
    .vgpr_spill_count: 0
    .wavefront_size: 32
    .workgroup_processor_mode: 1
  - .args:
      - .offset:         0
        .size:           4
        .value_kind:     by_value
      - .offset:         4
        .size:           4
        .value_kind:     by_value
      - .offset:         8
        .size:           8
        .value_kind:     by_value
      - .actual_access:  read_only
        .address_space:  global
        .offset:         16
        .size:           8
        .value_kind:     global_buffer
      - .actual_access:  read_only
        .address_space:  global
        .offset:         24
        .size:           8
        .value_kind:     global_buffer
      - .actual_access:  read_only
        .address_space:  global
        .offset:         32
        .size:           8
        .value_kind:     global_buffer
      - .actual_access:  read_only
        .address_space:  global
        .offset:         40
        .size:           8
        .value_kind:     global_buffer
      - .offset:         48
        .size:           8
        .value_kind:     by_value
      - .address_space:  global
        .offset:         56
        .size:           8
        .value_kind:     global_buffer
      - .offset:         64
        .size:           4
        .value_kind:     by_value
      - .offset:         68
        .size:           1
        .value_kind:     by_value
    .group_segment_fixed_size: 0
    .kernarg_segment_align: 8
    .kernarg_segment_size: 72
    .language:       OpenCL C
    .language_version:
      - 2
      - 0
    .max_flat_workgroup_size: 128
    .name:           _ZN9rocsparseL19gebsrmvn_1xn_kernelILj128ELj11ELj8E21rocsparse_complex_numIfEEEvi20rocsparse_direction_NS_24const_host_device_scalarIT2_EEPKiS8_PKS5_SA_S6_PS5_21rocsparse_index_base_b
    .private_segment_fixed_size: 0
    .sgpr_count:     15
    .sgpr_spill_count: 0
    .symbol:         _ZN9rocsparseL19gebsrmvn_1xn_kernelILj128ELj11ELj8E21rocsparse_complex_numIfEEEvi20rocsparse_direction_NS_24const_host_device_scalarIT2_EEPKiS8_PKS5_SA_S6_PS5_21rocsparse_index_base_b.kd
    .uniform_work_group_size: 1
    .uses_dynamic_stack: false
    .vgpr_count:     60
    .vgpr_spill_count: 0
    .wavefront_size: 32
    .workgroup_processor_mode: 1
  - .args:
      - .offset:         0
        .size:           4
        .value_kind:     by_value
      - .offset:         4
        .size:           4
        .value_kind:     by_value
      - .offset:         8
        .size:           8
        .value_kind:     by_value
      - .actual_access:  read_only
        .address_space:  global
        .offset:         16
        .size:           8
        .value_kind:     global_buffer
      - .actual_access:  read_only
        .address_space:  global
        .offset:         24
        .size:           8
        .value_kind:     global_buffer
      - .actual_access:  read_only
        .address_space:  global
        .offset:         32
        .size:           8
        .value_kind:     global_buffer
      - .actual_access:  read_only
        .address_space:  global
        .offset:         40
        .size:           8
        .value_kind:     global_buffer
      - .offset:         48
        .size:           8
        .value_kind:     by_value
      - .address_space:  global
        .offset:         56
        .size:           8
        .value_kind:     global_buffer
      - .offset:         64
        .size:           4
        .value_kind:     by_value
      - .offset:         68
        .size:           1
        .value_kind:     by_value
    .group_segment_fixed_size: 0
    .kernarg_segment_align: 8
    .kernarg_segment_size: 72
    .language:       OpenCL C
    .language_version:
      - 2
      - 0
    .max_flat_workgroup_size: 128
    .name:           _ZN9rocsparseL19gebsrmvn_1xn_kernelILj128ELj11ELj16E21rocsparse_complex_numIfEEEvi20rocsparse_direction_NS_24const_host_device_scalarIT2_EEPKiS8_PKS5_SA_S6_PS5_21rocsparse_index_base_b
    .private_segment_fixed_size: 0
    .sgpr_count:     15
    .sgpr_spill_count: 0
    .symbol:         _ZN9rocsparseL19gebsrmvn_1xn_kernelILj128ELj11ELj16E21rocsparse_complex_numIfEEEvi20rocsparse_direction_NS_24const_host_device_scalarIT2_EEPKiS8_PKS5_SA_S6_PS5_21rocsparse_index_base_b.kd
    .uniform_work_group_size: 1
    .uses_dynamic_stack: false
    .vgpr_count:     60
    .vgpr_spill_count: 0
    .wavefront_size: 32
    .workgroup_processor_mode: 1
  - .args:
      - .offset:         0
        .size:           4
        .value_kind:     by_value
      - .offset:         4
        .size:           4
        .value_kind:     by_value
      - .offset:         8
        .size:           8
        .value_kind:     by_value
      - .actual_access:  read_only
        .address_space:  global
        .offset:         16
        .size:           8
        .value_kind:     global_buffer
      - .actual_access:  read_only
        .address_space:  global
        .offset:         24
        .size:           8
        .value_kind:     global_buffer
      - .actual_access:  read_only
        .address_space:  global
        .offset:         32
        .size:           8
        .value_kind:     global_buffer
      - .actual_access:  read_only
        .address_space:  global
        .offset:         40
        .size:           8
        .value_kind:     global_buffer
      - .offset:         48
        .size:           8
        .value_kind:     by_value
      - .address_space:  global
        .offset:         56
        .size:           8
        .value_kind:     global_buffer
      - .offset:         64
        .size:           4
        .value_kind:     by_value
      - .offset:         68
        .size:           1
        .value_kind:     by_value
    .group_segment_fixed_size: 0
    .kernarg_segment_align: 8
    .kernarg_segment_size: 72
    .language:       OpenCL C
    .language_version:
      - 2
      - 0
    .max_flat_workgroup_size: 128
    .name:           _ZN9rocsparseL19gebsrmvn_1xn_kernelILj128ELj11ELj32E21rocsparse_complex_numIfEEEvi20rocsparse_direction_NS_24const_host_device_scalarIT2_EEPKiS8_PKS5_SA_S6_PS5_21rocsparse_index_base_b
    .private_segment_fixed_size: 0
    .sgpr_count:     15
    .sgpr_spill_count: 0
    .symbol:         _ZN9rocsparseL19gebsrmvn_1xn_kernelILj128ELj11ELj32E21rocsparse_complex_numIfEEEvi20rocsparse_direction_NS_24const_host_device_scalarIT2_EEPKiS8_PKS5_SA_S6_PS5_21rocsparse_index_base_b.kd
    .uniform_work_group_size: 1
    .uses_dynamic_stack: false
    .vgpr_count:     60
    .vgpr_spill_count: 0
    .wavefront_size: 32
    .workgroup_processor_mode: 1
  - .args:
      - .offset:         0
        .size:           4
        .value_kind:     by_value
      - .offset:         4
        .size:           4
        .value_kind:     by_value
      - .offset:         8
        .size:           8
        .value_kind:     by_value
      - .actual_access:  read_only
        .address_space:  global
        .offset:         16
        .size:           8
        .value_kind:     global_buffer
      - .actual_access:  read_only
        .address_space:  global
        .offset:         24
        .size:           8
        .value_kind:     global_buffer
      - .actual_access:  read_only
        .address_space:  global
        .offset:         32
        .size:           8
        .value_kind:     global_buffer
      - .actual_access:  read_only
        .address_space:  global
        .offset:         40
        .size:           8
        .value_kind:     global_buffer
      - .offset:         48
        .size:           8
        .value_kind:     by_value
      - .address_space:  global
        .offset:         56
        .size:           8
        .value_kind:     global_buffer
      - .offset:         64
        .size:           4
        .value_kind:     by_value
      - .offset:         68
        .size:           1
        .value_kind:     by_value
    .group_segment_fixed_size: 0
    .kernarg_segment_align: 8
    .kernarg_segment_size: 72
    .language:       OpenCL C
    .language_version:
      - 2
      - 0
    .max_flat_workgroup_size: 128
    .name:           _ZN9rocsparseL19gebsrmvn_1xn_kernelILj128ELj11ELj64E21rocsparse_complex_numIfEEEvi20rocsparse_direction_NS_24const_host_device_scalarIT2_EEPKiS8_PKS5_SA_S6_PS5_21rocsparse_index_base_b
    .private_segment_fixed_size: 0
    .sgpr_count:     15
    .sgpr_spill_count: 0
    .symbol:         _ZN9rocsparseL19gebsrmvn_1xn_kernelILj128ELj11ELj64E21rocsparse_complex_numIfEEEvi20rocsparse_direction_NS_24const_host_device_scalarIT2_EEPKiS8_PKS5_SA_S6_PS5_21rocsparse_index_base_b.kd
    .uniform_work_group_size: 1
    .uses_dynamic_stack: false
    .vgpr_count:     60
    .vgpr_spill_count: 0
    .wavefront_size: 32
    .workgroup_processor_mode: 1
  - .args:
      - .offset:         0
        .size:           4
        .value_kind:     by_value
      - .offset:         4
        .size:           4
        .value_kind:     by_value
      - .offset:         8
        .size:           8
        .value_kind:     by_value
      - .actual_access:  read_only
        .address_space:  global
        .offset:         16
        .size:           8
        .value_kind:     global_buffer
      - .actual_access:  read_only
        .address_space:  global
        .offset:         24
        .size:           8
        .value_kind:     global_buffer
      - .actual_access:  read_only
        .address_space:  global
        .offset:         32
        .size:           8
        .value_kind:     global_buffer
      - .actual_access:  read_only
        .address_space:  global
        .offset:         40
        .size:           8
        .value_kind:     global_buffer
      - .offset:         48
        .size:           8
        .value_kind:     by_value
      - .address_space:  global
        .offset:         56
        .size:           8
        .value_kind:     global_buffer
      - .offset:         64
        .size:           4
        .value_kind:     by_value
      - .offset:         68
        .size:           1
        .value_kind:     by_value
    .group_segment_fixed_size: 0
    .kernarg_segment_align: 8
    .kernarg_segment_size: 72
    .language:       OpenCL C
    .language_version:
      - 2
      - 0
    .max_flat_workgroup_size: 128
    .name:           _ZN9rocsparseL19gebsrmvn_1xn_kernelILj128ELj12ELj4E21rocsparse_complex_numIfEEEvi20rocsparse_direction_NS_24const_host_device_scalarIT2_EEPKiS8_PKS5_SA_S6_PS5_21rocsparse_index_base_b
    .private_segment_fixed_size: 0
    .sgpr_count:     15
    .sgpr_spill_count: 0
    .symbol:         _ZN9rocsparseL19gebsrmvn_1xn_kernelILj128ELj12ELj4E21rocsparse_complex_numIfEEEvi20rocsparse_direction_NS_24const_host_device_scalarIT2_EEPKiS8_PKS5_SA_S6_PS5_21rocsparse_index_base_b.kd
    .uniform_work_group_size: 1
    .uses_dynamic_stack: false
    .vgpr_count:     62
    .vgpr_spill_count: 0
    .wavefront_size: 32
    .workgroup_processor_mode: 1
  - .args:
      - .offset:         0
        .size:           4
        .value_kind:     by_value
      - .offset:         4
        .size:           4
        .value_kind:     by_value
      - .offset:         8
        .size:           8
        .value_kind:     by_value
      - .actual_access:  read_only
        .address_space:  global
        .offset:         16
        .size:           8
        .value_kind:     global_buffer
      - .actual_access:  read_only
        .address_space:  global
        .offset:         24
        .size:           8
        .value_kind:     global_buffer
      - .actual_access:  read_only
        .address_space:  global
        .offset:         32
        .size:           8
        .value_kind:     global_buffer
      - .actual_access:  read_only
        .address_space:  global
        .offset:         40
        .size:           8
        .value_kind:     global_buffer
      - .offset:         48
        .size:           8
        .value_kind:     by_value
      - .address_space:  global
        .offset:         56
        .size:           8
        .value_kind:     global_buffer
      - .offset:         64
        .size:           4
        .value_kind:     by_value
      - .offset:         68
        .size:           1
        .value_kind:     by_value
    .group_segment_fixed_size: 0
    .kernarg_segment_align: 8
    .kernarg_segment_size: 72
    .language:       OpenCL C
    .language_version:
      - 2
      - 0
    .max_flat_workgroup_size: 128
    .name:           _ZN9rocsparseL19gebsrmvn_1xn_kernelILj128ELj12ELj8E21rocsparse_complex_numIfEEEvi20rocsparse_direction_NS_24const_host_device_scalarIT2_EEPKiS8_PKS5_SA_S6_PS5_21rocsparse_index_base_b
    .private_segment_fixed_size: 0
    .sgpr_count:     15
    .sgpr_spill_count: 0
    .symbol:         _ZN9rocsparseL19gebsrmvn_1xn_kernelILj128ELj12ELj8E21rocsparse_complex_numIfEEEvi20rocsparse_direction_NS_24const_host_device_scalarIT2_EEPKiS8_PKS5_SA_S6_PS5_21rocsparse_index_base_b.kd
    .uniform_work_group_size: 1
    .uses_dynamic_stack: false
    .vgpr_count:     62
    .vgpr_spill_count: 0
    .wavefront_size: 32
    .workgroup_processor_mode: 1
  - .args:
      - .offset:         0
        .size:           4
        .value_kind:     by_value
      - .offset:         4
        .size:           4
        .value_kind:     by_value
      - .offset:         8
        .size:           8
        .value_kind:     by_value
      - .actual_access:  read_only
        .address_space:  global
        .offset:         16
        .size:           8
        .value_kind:     global_buffer
      - .actual_access:  read_only
        .address_space:  global
        .offset:         24
        .size:           8
        .value_kind:     global_buffer
      - .actual_access:  read_only
        .address_space:  global
        .offset:         32
        .size:           8
        .value_kind:     global_buffer
      - .actual_access:  read_only
        .address_space:  global
        .offset:         40
        .size:           8
        .value_kind:     global_buffer
      - .offset:         48
        .size:           8
        .value_kind:     by_value
      - .address_space:  global
        .offset:         56
        .size:           8
        .value_kind:     global_buffer
      - .offset:         64
        .size:           4
        .value_kind:     by_value
      - .offset:         68
        .size:           1
        .value_kind:     by_value
    .group_segment_fixed_size: 0
    .kernarg_segment_align: 8
    .kernarg_segment_size: 72
    .language:       OpenCL C
    .language_version:
      - 2
      - 0
    .max_flat_workgroup_size: 128
    .name:           _ZN9rocsparseL19gebsrmvn_1xn_kernelILj128ELj12ELj16E21rocsparse_complex_numIfEEEvi20rocsparse_direction_NS_24const_host_device_scalarIT2_EEPKiS8_PKS5_SA_S6_PS5_21rocsparse_index_base_b
    .private_segment_fixed_size: 0
    .sgpr_count:     15
    .sgpr_spill_count: 0
    .symbol:         _ZN9rocsparseL19gebsrmvn_1xn_kernelILj128ELj12ELj16E21rocsparse_complex_numIfEEEvi20rocsparse_direction_NS_24const_host_device_scalarIT2_EEPKiS8_PKS5_SA_S6_PS5_21rocsparse_index_base_b.kd
    .uniform_work_group_size: 1
    .uses_dynamic_stack: false
    .vgpr_count:     62
    .vgpr_spill_count: 0
    .wavefront_size: 32
    .workgroup_processor_mode: 1
  - .args:
      - .offset:         0
        .size:           4
        .value_kind:     by_value
      - .offset:         4
        .size:           4
        .value_kind:     by_value
      - .offset:         8
        .size:           8
        .value_kind:     by_value
      - .actual_access:  read_only
        .address_space:  global
        .offset:         16
        .size:           8
        .value_kind:     global_buffer
      - .actual_access:  read_only
        .address_space:  global
        .offset:         24
        .size:           8
        .value_kind:     global_buffer
      - .actual_access:  read_only
        .address_space:  global
        .offset:         32
        .size:           8
        .value_kind:     global_buffer
      - .actual_access:  read_only
        .address_space:  global
        .offset:         40
        .size:           8
        .value_kind:     global_buffer
      - .offset:         48
        .size:           8
        .value_kind:     by_value
      - .address_space:  global
        .offset:         56
        .size:           8
        .value_kind:     global_buffer
      - .offset:         64
        .size:           4
        .value_kind:     by_value
      - .offset:         68
        .size:           1
        .value_kind:     by_value
    .group_segment_fixed_size: 0
    .kernarg_segment_align: 8
    .kernarg_segment_size: 72
    .language:       OpenCL C
    .language_version:
      - 2
      - 0
    .max_flat_workgroup_size: 128
    .name:           _ZN9rocsparseL19gebsrmvn_1xn_kernelILj128ELj12ELj32E21rocsparse_complex_numIfEEEvi20rocsparse_direction_NS_24const_host_device_scalarIT2_EEPKiS8_PKS5_SA_S6_PS5_21rocsparse_index_base_b
    .private_segment_fixed_size: 0
    .sgpr_count:     15
    .sgpr_spill_count: 0
    .symbol:         _ZN9rocsparseL19gebsrmvn_1xn_kernelILj128ELj12ELj32E21rocsparse_complex_numIfEEEvi20rocsparse_direction_NS_24const_host_device_scalarIT2_EEPKiS8_PKS5_SA_S6_PS5_21rocsparse_index_base_b.kd
    .uniform_work_group_size: 1
    .uses_dynamic_stack: false
    .vgpr_count:     62
    .vgpr_spill_count: 0
    .wavefront_size: 32
    .workgroup_processor_mode: 1
  - .args:
      - .offset:         0
        .size:           4
        .value_kind:     by_value
      - .offset:         4
        .size:           4
        .value_kind:     by_value
      - .offset:         8
        .size:           8
        .value_kind:     by_value
      - .actual_access:  read_only
        .address_space:  global
        .offset:         16
        .size:           8
        .value_kind:     global_buffer
      - .actual_access:  read_only
        .address_space:  global
        .offset:         24
        .size:           8
        .value_kind:     global_buffer
      - .actual_access:  read_only
        .address_space:  global
        .offset:         32
        .size:           8
        .value_kind:     global_buffer
      - .actual_access:  read_only
        .address_space:  global
        .offset:         40
        .size:           8
        .value_kind:     global_buffer
      - .offset:         48
        .size:           8
        .value_kind:     by_value
      - .address_space:  global
        .offset:         56
        .size:           8
        .value_kind:     global_buffer
      - .offset:         64
        .size:           4
        .value_kind:     by_value
      - .offset:         68
        .size:           1
        .value_kind:     by_value
    .group_segment_fixed_size: 0
    .kernarg_segment_align: 8
    .kernarg_segment_size: 72
    .language:       OpenCL C
    .language_version:
      - 2
      - 0
    .max_flat_workgroup_size: 128
    .name:           _ZN9rocsparseL19gebsrmvn_1xn_kernelILj128ELj12ELj64E21rocsparse_complex_numIfEEEvi20rocsparse_direction_NS_24const_host_device_scalarIT2_EEPKiS8_PKS5_SA_S6_PS5_21rocsparse_index_base_b
    .private_segment_fixed_size: 0
    .sgpr_count:     15
    .sgpr_spill_count: 0
    .symbol:         _ZN9rocsparseL19gebsrmvn_1xn_kernelILj128ELj12ELj64E21rocsparse_complex_numIfEEEvi20rocsparse_direction_NS_24const_host_device_scalarIT2_EEPKiS8_PKS5_SA_S6_PS5_21rocsparse_index_base_b.kd
    .uniform_work_group_size: 1
    .uses_dynamic_stack: false
    .vgpr_count:     62
    .vgpr_spill_count: 0
    .wavefront_size: 32
    .workgroup_processor_mode: 1
  - .args:
      - .offset:         0
        .size:           4
        .value_kind:     by_value
      - .offset:         4
        .size:           4
        .value_kind:     by_value
      - .offset:         8
        .size:           8
        .value_kind:     by_value
      - .actual_access:  read_only
        .address_space:  global
        .offset:         16
        .size:           8
        .value_kind:     global_buffer
      - .actual_access:  read_only
        .address_space:  global
        .offset:         24
        .size:           8
        .value_kind:     global_buffer
      - .actual_access:  read_only
        .address_space:  global
        .offset:         32
        .size:           8
        .value_kind:     global_buffer
      - .actual_access:  read_only
        .address_space:  global
        .offset:         40
        .size:           8
        .value_kind:     global_buffer
      - .offset:         48
        .size:           8
        .value_kind:     by_value
      - .address_space:  global
        .offset:         56
        .size:           8
        .value_kind:     global_buffer
      - .offset:         64
        .size:           4
        .value_kind:     by_value
      - .offset:         68
        .size:           1
        .value_kind:     by_value
    .group_segment_fixed_size: 0
    .kernarg_segment_align: 8
    .kernarg_segment_size: 72
    .language:       OpenCL C
    .language_version:
      - 2
      - 0
    .max_flat_workgroup_size: 128
    .name:           _ZN9rocsparseL19gebsrmvn_1xn_kernelILj128ELj13ELj4E21rocsparse_complex_numIfEEEvi20rocsparse_direction_NS_24const_host_device_scalarIT2_EEPKiS8_PKS5_SA_S6_PS5_21rocsparse_index_base_b
    .private_segment_fixed_size: 0
    .sgpr_count:     15
    .sgpr_spill_count: 0
    .symbol:         _ZN9rocsparseL19gebsrmvn_1xn_kernelILj128ELj13ELj4E21rocsparse_complex_numIfEEEvi20rocsparse_direction_NS_24const_host_device_scalarIT2_EEPKiS8_PKS5_SA_S6_PS5_21rocsparse_index_base_b.kd
    .uniform_work_group_size: 1
    .uses_dynamic_stack: false
    .vgpr_count:     68
    .vgpr_spill_count: 0
    .wavefront_size: 32
    .workgroup_processor_mode: 1
  - .args:
      - .offset:         0
        .size:           4
        .value_kind:     by_value
      - .offset:         4
        .size:           4
        .value_kind:     by_value
      - .offset:         8
        .size:           8
        .value_kind:     by_value
      - .actual_access:  read_only
        .address_space:  global
        .offset:         16
        .size:           8
        .value_kind:     global_buffer
      - .actual_access:  read_only
        .address_space:  global
        .offset:         24
        .size:           8
        .value_kind:     global_buffer
      - .actual_access:  read_only
        .address_space:  global
        .offset:         32
        .size:           8
        .value_kind:     global_buffer
      - .actual_access:  read_only
        .address_space:  global
        .offset:         40
        .size:           8
        .value_kind:     global_buffer
      - .offset:         48
        .size:           8
        .value_kind:     by_value
      - .address_space:  global
        .offset:         56
        .size:           8
        .value_kind:     global_buffer
      - .offset:         64
        .size:           4
        .value_kind:     by_value
      - .offset:         68
        .size:           1
        .value_kind:     by_value
    .group_segment_fixed_size: 0
    .kernarg_segment_align: 8
    .kernarg_segment_size: 72
    .language:       OpenCL C
    .language_version:
      - 2
      - 0
    .max_flat_workgroup_size: 128
    .name:           _ZN9rocsparseL19gebsrmvn_1xn_kernelILj128ELj13ELj8E21rocsparse_complex_numIfEEEvi20rocsparse_direction_NS_24const_host_device_scalarIT2_EEPKiS8_PKS5_SA_S6_PS5_21rocsparse_index_base_b
    .private_segment_fixed_size: 0
    .sgpr_count:     15
    .sgpr_spill_count: 0
    .symbol:         _ZN9rocsparseL19gebsrmvn_1xn_kernelILj128ELj13ELj8E21rocsparse_complex_numIfEEEvi20rocsparse_direction_NS_24const_host_device_scalarIT2_EEPKiS8_PKS5_SA_S6_PS5_21rocsparse_index_base_b.kd
    .uniform_work_group_size: 1
    .uses_dynamic_stack: false
    .vgpr_count:     68
    .vgpr_spill_count: 0
    .wavefront_size: 32
    .workgroup_processor_mode: 1
  - .args:
      - .offset:         0
        .size:           4
        .value_kind:     by_value
      - .offset:         4
        .size:           4
        .value_kind:     by_value
      - .offset:         8
        .size:           8
        .value_kind:     by_value
      - .actual_access:  read_only
        .address_space:  global
        .offset:         16
        .size:           8
        .value_kind:     global_buffer
      - .actual_access:  read_only
        .address_space:  global
        .offset:         24
        .size:           8
        .value_kind:     global_buffer
      - .actual_access:  read_only
        .address_space:  global
        .offset:         32
        .size:           8
        .value_kind:     global_buffer
      - .actual_access:  read_only
        .address_space:  global
        .offset:         40
        .size:           8
        .value_kind:     global_buffer
      - .offset:         48
        .size:           8
        .value_kind:     by_value
      - .address_space:  global
        .offset:         56
        .size:           8
        .value_kind:     global_buffer
      - .offset:         64
        .size:           4
        .value_kind:     by_value
      - .offset:         68
        .size:           1
        .value_kind:     by_value
    .group_segment_fixed_size: 0
    .kernarg_segment_align: 8
    .kernarg_segment_size: 72
    .language:       OpenCL C
    .language_version:
      - 2
      - 0
    .max_flat_workgroup_size: 128
    .name:           _ZN9rocsparseL19gebsrmvn_1xn_kernelILj128ELj13ELj16E21rocsparse_complex_numIfEEEvi20rocsparse_direction_NS_24const_host_device_scalarIT2_EEPKiS8_PKS5_SA_S6_PS5_21rocsparse_index_base_b
    .private_segment_fixed_size: 0
    .sgpr_count:     15
    .sgpr_spill_count: 0
    .symbol:         _ZN9rocsparseL19gebsrmvn_1xn_kernelILj128ELj13ELj16E21rocsparse_complex_numIfEEEvi20rocsparse_direction_NS_24const_host_device_scalarIT2_EEPKiS8_PKS5_SA_S6_PS5_21rocsparse_index_base_b.kd
    .uniform_work_group_size: 1
    .uses_dynamic_stack: false
    .vgpr_count:     68
    .vgpr_spill_count: 0
    .wavefront_size: 32
    .workgroup_processor_mode: 1
  - .args:
      - .offset:         0
        .size:           4
        .value_kind:     by_value
      - .offset:         4
        .size:           4
        .value_kind:     by_value
      - .offset:         8
        .size:           8
        .value_kind:     by_value
      - .actual_access:  read_only
        .address_space:  global
        .offset:         16
        .size:           8
        .value_kind:     global_buffer
      - .actual_access:  read_only
        .address_space:  global
        .offset:         24
        .size:           8
        .value_kind:     global_buffer
      - .actual_access:  read_only
        .address_space:  global
        .offset:         32
        .size:           8
        .value_kind:     global_buffer
      - .actual_access:  read_only
        .address_space:  global
        .offset:         40
        .size:           8
        .value_kind:     global_buffer
      - .offset:         48
        .size:           8
        .value_kind:     by_value
      - .address_space:  global
        .offset:         56
        .size:           8
        .value_kind:     global_buffer
      - .offset:         64
        .size:           4
        .value_kind:     by_value
      - .offset:         68
        .size:           1
        .value_kind:     by_value
    .group_segment_fixed_size: 0
    .kernarg_segment_align: 8
    .kernarg_segment_size: 72
    .language:       OpenCL C
    .language_version:
      - 2
      - 0
    .max_flat_workgroup_size: 128
    .name:           _ZN9rocsparseL19gebsrmvn_1xn_kernelILj128ELj13ELj32E21rocsparse_complex_numIfEEEvi20rocsparse_direction_NS_24const_host_device_scalarIT2_EEPKiS8_PKS5_SA_S6_PS5_21rocsparse_index_base_b
    .private_segment_fixed_size: 0
    .sgpr_count:     15
    .sgpr_spill_count: 0
    .symbol:         _ZN9rocsparseL19gebsrmvn_1xn_kernelILj128ELj13ELj32E21rocsparse_complex_numIfEEEvi20rocsparse_direction_NS_24const_host_device_scalarIT2_EEPKiS8_PKS5_SA_S6_PS5_21rocsparse_index_base_b.kd
    .uniform_work_group_size: 1
    .uses_dynamic_stack: false
    .vgpr_count:     68
    .vgpr_spill_count: 0
    .wavefront_size: 32
    .workgroup_processor_mode: 1
  - .args:
      - .offset:         0
        .size:           4
        .value_kind:     by_value
      - .offset:         4
        .size:           4
        .value_kind:     by_value
      - .offset:         8
        .size:           8
        .value_kind:     by_value
      - .actual_access:  read_only
        .address_space:  global
        .offset:         16
        .size:           8
        .value_kind:     global_buffer
      - .actual_access:  read_only
        .address_space:  global
        .offset:         24
        .size:           8
        .value_kind:     global_buffer
      - .actual_access:  read_only
        .address_space:  global
        .offset:         32
        .size:           8
        .value_kind:     global_buffer
      - .actual_access:  read_only
        .address_space:  global
        .offset:         40
        .size:           8
        .value_kind:     global_buffer
      - .offset:         48
        .size:           8
        .value_kind:     by_value
      - .address_space:  global
        .offset:         56
        .size:           8
        .value_kind:     global_buffer
      - .offset:         64
        .size:           4
        .value_kind:     by_value
      - .offset:         68
        .size:           1
        .value_kind:     by_value
    .group_segment_fixed_size: 0
    .kernarg_segment_align: 8
    .kernarg_segment_size: 72
    .language:       OpenCL C
    .language_version:
      - 2
      - 0
    .max_flat_workgroup_size: 128
    .name:           _ZN9rocsparseL19gebsrmvn_1xn_kernelILj128ELj13ELj64E21rocsparse_complex_numIfEEEvi20rocsparse_direction_NS_24const_host_device_scalarIT2_EEPKiS8_PKS5_SA_S6_PS5_21rocsparse_index_base_b
    .private_segment_fixed_size: 0
    .sgpr_count:     15
    .sgpr_spill_count: 0
    .symbol:         _ZN9rocsparseL19gebsrmvn_1xn_kernelILj128ELj13ELj64E21rocsparse_complex_numIfEEEvi20rocsparse_direction_NS_24const_host_device_scalarIT2_EEPKiS8_PKS5_SA_S6_PS5_21rocsparse_index_base_b.kd
    .uniform_work_group_size: 1
    .uses_dynamic_stack: false
    .vgpr_count:     68
    .vgpr_spill_count: 0
    .wavefront_size: 32
    .workgroup_processor_mode: 1
  - .args:
      - .offset:         0
        .size:           4
        .value_kind:     by_value
      - .offset:         4
        .size:           4
        .value_kind:     by_value
      - .offset:         8
        .size:           8
        .value_kind:     by_value
      - .actual_access:  read_only
        .address_space:  global
        .offset:         16
        .size:           8
        .value_kind:     global_buffer
      - .actual_access:  read_only
        .address_space:  global
        .offset:         24
        .size:           8
        .value_kind:     global_buffer
      - .actual_access:  read_only
        .address_space:  global
        .offset:         32
        .size:           8
        .value_kind:     global_buffer
      - .actual_access:  read_only
        .address_space:  global
        .offset:         40
        .size:           8
        .value_kind:     global_buffer
      - .offset:         48
        .size:           8
        .value_kind:     by_value
      - .address_space:  global
        .offset:         56
        .size:           8
        .value_kind:     global_buffer
      - .offset:         64
        .size:           4
        .value_kind:     by_value
      - .offset:         68
        .size:           1
        .value_kind:     by_value
    .group_segment_fixed_size: 0
    .kernarg_segment_align: 8
    .kernarg_segment_size: 72
    .language:       OpenCL C
    .language_version:
      - 2
      - 0
    .max_flat_workgroup_size: 128
    .name:           _ZN9rocsparseL19gebsrmvn_1xn_kernelILj128ELj14ELj4E21rocsparse_complex_numIfEEEvi20rocsparse_direction_NS_24const_host_device_scalarIT2_EEPKiS8_PKS5_SA_S6_PS5_21rocsparse_index_base_b
    .private_segment_fixed_size: 0
    .sgpr_count:     15
    .sgpr_spill_count: 0
    .symbol:         _ZN9rocsparseL19gebsrmvn_1xn_kernelILj128ELj14ELj4E21rocsparse_complex_numIfEEEvi20rocsparse_direction_NS_24const_host_device_scalarIT2_EEPKiS8_PKS5_SA_S6_PS5_21rocsparse_index_base_b.kd
    .uniform_work_group_size: 1
    .uses_dynamic_stack: false
    .vgpr_count:     66
    .vgpr_spill_count: 0
    .wavefront_size: 32
    .workgroup_processor_mode: 1
  - .args:
      - .offset:         0
        .size:           4
        .value_kind:     by_value
      - .offset:         4
        .size:           4
        .value_kind:     by_value
      - .offset:         8
        .size:           8
        .value_kind:     by_value
      - .actual_access:  read_only
        .address_space:  global
        .offset:         16
        .size:           8
        .value_kind:     global_buffer
      - .actual_access:  read_only
        .address_space:  global
        .offset:         24
        .size:           8
        .value_kind:     global_buffer
      - .actual_access:  read_only
        .address_space:  global
        .offset:         32
        .size:           8
        .value_kind:     global_buffer
      - .actual_access:  read_only
        .address_space:  global
        .offset:         40
        .size:           8
        .value_kind:     global_buffer
      - .offset:         48
        .size:           8
        .value_kind:     by_value
      - .address_space:  global
        .offset:         56
        .size:           8
        .value_kind:     global_buffer
      - .offset:         64
        .size:           4
        .value_kind:     by_value
      - .offset:         68
        .size:           1
        .value_kind:     by_value
    .group_segment_fixed_size: 0
    .kernarg_segment_align: 8
    .kernarg_segment_size: 72
    .language:       OpenCL C
    .language_version:
      - 2
      - 0
    .max_flat_workgroup_size: 128
    .name:           _ZN9rocsparseL19gebsrmvn_1xn_kernelILj128ELj14ELj8E21rocsparse_complex_numIfEEEvi20rocsparse_direction_NS_24const_host_device_scalarIT2_EEPKiS8_PKS5_SA_S6_PS5_21rocsparse_index_base_b
    .private_segment_fixed_size: 0
    .sgpr_count:     15
    .sgpr_spill_count: 0
    .symbol:         _ZN9rocsparseL19gebsrmvn_1xn_kernelILj128ELj14ELj8E21rocsparse_complex_numIfEEEvi20rocsparse_direction_NS_24const_host_device_scalarIT2_EEPKiS8_PKS5_SA_S6_PS5_21rocsparse_index_base_b.kd
    .uniform_work_group_size: 1
    .uses_dynamic_stack: false
    .vgpr_count:     66
    .vgpr_spill_count: 0
    .wavefront_size: 32
    .workgroup_processor_mode: 1
  - .args:
      - .offset:         0
        .size:           4
        .value_kind:     by_value
      - .offset:         4
        .size:           4
        .value_kind:     by_value
      - .offset:         8
        .size:           8
        .value_kind:     by_value
      - .actual_access:  read_only
        .address_space:  global
        .offset:         16
        .size:           8
        .value_kind:     global_buffer
      - .actual_access:  read_only
        .address_space:  global
        .offset:         24
        .size:           8
        .value_kind:     global_buffer
      - .actual_access:  read_only
        .address_space:  global
        .offset:         32
        .size:           8
        .value_kind:     global_buffer
      - .actual_access:  read_only
        .address_space:  global
        .offset:         40
        .size:           8
        .value_kind:     global_buffer
      - .offset:         48
        .size:           8
        .value_kind:     by_value
      - .address_space:  global
        .offset:         56
        .size:           8
        .value_kind:     global_buffer
      - .offset:         64
        .size:           4
        .value_kind:     by_value
      - .offset:         68
        .size:           1
        .value_kind:     by_value
    .group_segment_fixed_size: 0
    .kernarg_segment_align: 8
    .kernarg_segment_size: 72
    .language:       OpenCL C
    .language_version:
      - 2
      - 0
    .max_flat_workgroup_size: 128
    .name:           _ZN9rocsparseL19gebsrmvn_1xn_kernelILj128ELj14ELj16E21rocsparse_complex_numIfEEEvi20rocsparse_direction_NS_24const_host_device_scalarIT2_EEPKiS8_PKS5_SA_S6_PS5_21rocsparse_index_base_b
    .private_segment_fixed_size: 0
    .sgpr_count:     15
    .sgpr_spill_count: 0
    .symbol:         _ZN9rocsparseL19gebsrmvn_1xn_kernelILj128ELj14ELj16E21rocsparse_complex_numIfEEEvi20rocsparse_direction_NS_24const_host_device_scalarIT2_EEPKiS8_PKS5_SA_S6_PS5_21rocsparse_index_base_b.kd
    .uniform_work_group_size: 1
    .uses_dynamic_stack: false
    .vgpr_count:     66
    .vgpr_spill_count: 0
    .wavefront_size: 32
    .workgroup_processor_mode: 1
  - .args:
      - .offset:         0
        .size:           4
        .value_kind:     by_value
      - .offset:         4
        .size:           4
        .value_kind:     by_value
      - .offset:         8
        .size:           8
        .value_kind:     by_value
      - .actual_access:  read_only
        .address_space:  global
        .offset:         16
        .size:           8
        .value_kind:     global_buffer
      - .actual_access:  read_only
        .address_space:  global
        .offset:         24
        .size:           8
        .value_kind:     global_buffer
      - .actual_access:  read_only
        .address_space:  global
        .offset:         32
        .size:           8
        .value_kind:     global_buffer
      - .actual_access:  read_only
        .address_space:  global
        .offset:         40
        .size:           8
        .value_kind:     global_buffer
      - .offset:         48
        .size:           8
        .value_kind:     by_value
      - .address_space:  global
        .offset:         56
        .size:           8
        .value_kind:     global_buffer
      - .offset:         64
        .size:           4
        .value_kind:     by_value
      - .offset:         68
        .size:           1
        .value_kind:     by_value
    .group_segment_fixed_size: 0
    .kernarg_segment_align: 8
    .kernarg_segment_size: 72
    .language:       OpenCL C
    .language_version:
      - 2
      - 0
    .max_flat_workgroup_size: 128
    .name:           _ZN9rocsparseL19gebsrmvn_1xn_kernelILj128ELj14ELj32E21rocsparse_complex_numIfEEEvi20rocsparse_direction_NS_24const_host_device_scalarIT2_EEPKiS8_PKS5_SA_S6_PS5_21rocsparse_index_base_b
    .private_segment_fixed_size: 0
    .sgpr_count:     15
    .sgpr_spill_count: 0
    .symbol:         _ZN9rocsparseL19gebsrmvn_1xn_kernelILj128ELj14ELj32E21rocsparse_complex_numIfEEEvi20rocsparse_direction_NS_24const_host_device_scalarIT2_EEPKiS8_PKS5_SA_S6_PS5_21rocsparse_index_base_b.kd
    .uniform_work_group_size: 1
    .uses_dynamic_stack: false
    .vgpr_count:     66
    .vgpr_spill_count: 0
    .wavefront_size: 32
    .workgroup_processor_mode: 1
  - .args:
      - .offset:         0
        .size:           4
        .value_kind:     by_value
      - .offset:         4
        .size:           4
        .value_kind:     by_value
      - .offset:         8
        .size:           8
        .value_kind:     by_value
      - .actual_access:  read_only
        .address_space:  global
        .offset:         16
        .size:           8
        .value_kind:     global_buffer
      - .actual_access:  read_only
        .address_space:  global
        .offset:         24
        .size:           8
        .value_kind:     global_buffer
      - .actual_access:  read_only
        .address_space:  global
        .offset:         32
        .size:           8
        .value_kind:     global_buffer
      - .actual_access:  read_only
        .address_space:  global
        .offset:         40
        .size:           8
        .value_kind:     global_buffer
      - .offset:         48
        .size:           8
        .value_kind:     by_value
      - .address_space:  global
        .offset:         56
        .size:           8
        .value_kind:     global_buffer
      - .offset:         64
        .size:           4
        .value_kind:     by_value
      - .offset:         68
        .size:           1
        .value_kind:     by_value
    .group_segment_fixed_size: 0
    .kernarg_segment_align: 8
    .kernarg_segment_size: 72
    .language:       OpenCL C
    .language_version:
      - 2
      - 0
    .max_flat_workgroup_size: 128
    .name:           _ZN9rocsparseL19gebsrmvn_1xn_kernelILj128ELj14ELj64E21rocsparse_complex_numIfEEEvi20rocsparse_direction_NS_24const_host_device_scalarIT2_EEPKiS8_PKS5_SA_S6_PS5_21rocsparse_index_base_b
    .private_segment_fixed_size: 0
    .sgpr_count:     15
    .sgpr_spill_count: 0
    .symbol:         _ZN9rocsparseL19gebsrmvn_1xn_kernelILj128ELj14ELj64E21rocsparse_complex_numIfEEEvi20rocsparse_direction_NS_24const_host_device_scalarIT2_EEPKiS8_PKS5_SA_S6_PS5_21rocsparse_index_base_b.kd
    .uniform_work_group_size: 1
    .uses_dynamic_stack: false
    .vgpr_count:     66
    .vgpr_spill_count: 0
    .wavefront_size: 32
    .workgroup_processor_mode: 1
  - .args:
      - .offset:         0
        .size:           4
        .value_kind:     by_value
      - .offset:         4
        .size:           4
        .value_kind:     by_value
      - .offset:         8
        .size:           8
        .value_kind:     by_value
      - .actual_access:  read_only
        .address_space:  global
        .offset:         16
        .size:           8
        .value_kind:     global_buffer
      - .actual_access:  read_only
        .address_space:  global
        .offset:         24
        .size:           8
        .value_kind:     global_buffer
      - .actual_access:  read_only
        .address_space:  global
        .offset:         32
        .size:           8
        .value_kind:     global_buffer
      - .actual_access:  read_only
        .address_space:  global
        .offset:         40
        .size:           8
        .value_kind:     global_buffer
      - .offset:         48
        .size:           8
        .value_kind:     by_value
      - .address_space:  global
        .offset:         56
        .size:           8
        .value_kind:     global_buffer
      - .offset:         64
        .size:           4
        .value_kind:     by_value
      - .offset:         68
        .size:           1
        .value_kind:     by_value
    .group_segment_fixed_size: 0
    .kernarg_segment_align: 8
    .kernarg_segment_size: 72
    .language:       OpenCL C
    .language_version:
      - 2
      - 0
    .max_flat_workgroup_size: 128
    .name:           _ZN9rocsparseL19gebsrmvn_1xn_kernelILj128ELj15ELj4E21rocsparse_complex_numIfEEEvi20rocsparse_direction_NS_24const_host_device_scalarIT2_EEPKiS8_PKS5_SA_S6_PS5_21rocsparse_index_base_b
    .private_segment_fixed_size: 0
    .sgpr_count:     15
    .sgpr_spill_count: 0
    .symbol:         _ZN9rocsparseL19gebsrmvn_1xn_kernelILj128ELj15ELj4E21rocsparse_complex_numIfEEEvi20rocsparse_direction_NS_24const_host_device_scalarIT2_EEPKiS8_PKS5_SA_S6_PS5_21rocsparse_index_base_b.kd
    .uniform_work_group_size: 1
    .uses_dynamic_stack: false
    .vgpr_count:     68
    .vgpr_spill_count: 0
    .wavefront_size: 32
    .workgroup_processor_mode: 1
  - .args:
      - .offset:         0
        .size:           4
        .value_kind:     by_value
      - .offset:         4
        .size:           4
        .value_kind:     by_value
      - .offset:         8
        .size:           8
        .value_kind:     by_value
      - .actual_access:  read_only
        .address_space:  global
        .offset:         16
        .size:           8
        .value_kind:     global_buffer
      - .actual_access:  read_only
        .address_space:  global
        .offset:         24
        .size:           8
        .value_kind:     global_buffer
      - .actual_access:  read_only
        .address_space:  global
        .offset:         32
        .size:           8
        .value_kind:     global_buffer
      - .actual_access:  read_only
        .address_space:  global
        .offset:         40
        .size:           8
        .value_kind:     global_buffer
      - .offset:         48
        .size:           8
        .value_kind:     by_value
      - .address_space:  global
        .offset:         56
        .size:           8
        .value_kind:     global_buffer
      - .offset:         64
        .size:           4
        .value_kind:     by_value
      - .offset:         68
        .size:           1
        .value_kind:     by_value
    .group_segment_fixed_size: 0
    .kernarg_segment_align: 8
    .kernarg_segment_size: 72
    .language:       OpenCL C
    .language_version:
      - 2
      - 0
    .max_flat_workgroup_size: 128
    .name:           _ZN9rocsparseL19gebsrmvn_1xn_kernelILj128ELj15ELj8E21rocsparse_complex_numIfEEEvi20rocsparse_direction_NS_24const_host_device_scalarIT2_EEPKiS8_PKS5_SA_S6_PS5_21rocsparse_index_base_b
    .private_segment_fixed_size: 0
    .sgpr_count:     15
    .sgpr_spill_count: 0
    .symbol:         _ZN9rocsparseL19gebsrmvn_1xn_kernelILj128ELj15ELj8E21rocsparse_complex_numIfEEEvi20rocsparse_direction_NS_24const_host_device_scalarIT2_EEPKiS8_PKS5_SA_S6_PS5_21rocsparse_index_base_b.kd
    .uniform_work_group_size: 1
    .uses_dynamic_stack: false
    .vgpr_count:     68
    .vgpr_spill_count: 0
    .wavefront_size: 32
    .workgroup_processor_mode: 1
  - .args:
      - .offset:         0
        .size:           4
        .value_kind:     by_value
      - .offset:         4
        .size:           4
        .value_kind:     by_value
      - .offset:         8
        .size:           8
        .value_kind:     by_value
      - .actual_access:  read_only
        .address_space:  global
        .offset:         16
        .size:           8
        .value_kind:     global_buffer
      - .actual_access:  read_only
        .address_space:  global
        .offset:         24
        .size:           8
        .value_kind:     global_buffer
      - .actual_access:  read_only
        .address_space:  global
        .offset:         32
        .size:           8
        .value_kind:     global_buffer
      - .actual_access:  read_only
        .address_space:  global
        .offset:         40
        .size:           8
        .value_kind:     global_buffer
      - .offset:         48
        .size:           8
        .value_kind:     by_value
      - .address_space:  global
        .offset:         56
        .size:           8
        .value_kind:     global_buffer
      - .offset:         64
        .size:           4
        .value_kind:     by_value
      - .offset:         68
        .size:           1
        .value_kind:     by_value
    .group_segment_fixed_size: 0
    .kernarg_segment_align: 8
    .kernarg_segment_size: 72
    .language:       OpenCL C
    .language_version:
      - 2
      - 0
    .max_flat_workgroup_size: 128
    .name:           _ZN9rocsparseL19gebsrmvn_1xn_kernelILj128ELj15ELj16E21rocsparse_complex_numIfEEEvi20rocsparse_direction_NS_24const_host_device_scalarIT2_EEPKiS8_PKS5_SA_S6_PS5_21rocsparse_index_base_b
    .private_segment_fixed_size: 0
    .sgpr_count:     15
    .sgpr_spill_count: 0
    .symbol:         _ZN9rocsparseL19gebsrmvn_1xn_kernelILj128ELj15ELj16E21rocsparse_complex_numIfEEEvi20rocsparse_direction_NS_24const_host_device_scalarIT2_EEPKiS8_PKS5_SA_S6_PS5_21rocsparse_index_base_b.kd
    .uniform_work_group_size: 1
    .uses_dynamic_stack: false
    .vgpr_count:     68
    .vgpr_spill_count: 0
    .wavefront_size: 32
    .workgroup_processor_mode: 1
  - .args:
      - .offset:         0
        .size:           4
        .value_kind:     by_value
      - .offset:         4
        .size:           4
        .value_kind:     by_value
      - .offset:         8
        .size:           8
        .value_kind:     by_value
      - .actual_access:  read_only
        .address_space:  global
        .offset:         16
        .size:           8
        .value_kind:     global_buffer
      - .actual_access:  read_only
        .address_space:  global
        .offset:         24
        .size:           8
        .value_kind:     global_buffer
      - .actual_access:  read_only
        .address_space:  global
        .offset:         32
        .size:           8
        .value_kind:     global_buffer
      - .actual_access:  read_only
        .address_space:  global
        .offset:         40
        .size:           8
        .value_kind:     global_buffer
      - .offset:         48
        .size:           8
        .value_kind:     by_value
      - .address_space:  global
        .offset:         56
        .size:           8
        .value_kind:     global_buffer
      - .offset:         64
        .size:           4
        .value_kind:     by_value
      - .offset:         68
        .size:           1
        .value_kind:     by_value
    .group_segment_fixed_size: 0
    .kernarg_segment_align: 8
    .kernarg_segment_size: 72
    .language:       OpenCL C
    .language_version:
      - 2
      - 0
    .max_flat_workgroup_size: 128
    .name:           _ZN9rocsparseL19gebsrmvn_1xn_kernelILj128ELj15ELj32E21rocsparse_complex_numIfEEEvi20rocsparse_direction_NS_24const_host_device_scalarIT2_EEPKiS8_PKS5_SA_S6_PS5_21rocsparse_index_base_b
    .private_segment_fixed_size: 0
    .sgpr_count:     15
    .sgpr_spill_count: 0
    .symbol:         _ZN9rocsparseL19gebsrmvn_1xn_kernelILj128ELj15ELj32E21rocsparse_complex_numIfEEEvi20rocsparse_direction_NS_24const_host_device_scalarIT2_EEPKiS8_PKS5_SA_S6_PS5_21rocsparse_index_base_b.kd
    .uniform_work_group_size: 1
    .uses_dynamic_stack: false
    .vgpr_count:     68
    .vgpr_spill_count: 0
    .wavefront_size: 32
    .workgroup_processor_mode: 1
  - .args:
      - .offset:         0
        .size:           4
        .value_kind:     by_value
      - .offset:         4
        .size:           4
        .value_kind:     by_value
      - .offset:         8
        .size:           8
        .value_kind:     by_value
      - .actual_access:  read_only
        .address_space:  global
        .offset:         16
        .size:           8
        .value_kind:     global_buffer
      - .actual_access:  read_only
        .address_space:  global
        .offset:         24
        .size:           8
        .value_kind:     global_buffer
      - .actual_access:  read_only
        .address_space:  global
        .offset:         32
        .size:           8
        .value_kind:     global_buffer
      - .actual_access:  read_only
        .address_space:  global
        .offset:         40
        .size:           8
        .value_kind:     global_buffer
      - .offset:         48
        .size:           8
        .value_kind:     by_value
      - .address_space:  global
        .offset:         56
        .size:           8
        .value_kind:     global_buffer
      - .offset:         64
        .size:           4
        .value_kind:     by_value
      - .offset:         68
        .size:           1
        .value_kind:     by_value
    .group_segment_fixed_size: 0
    .kernarg_segment_align: 8
    .kernarg_segment_size: 72
    .language:       OpenCL C
    .language_version:
      - 2
      - 0
    .max_flat_workgroup_size: 128
    .name:           _ZN9rocsparseL19gebsrmvn_1xn_kernelILj128ELj15ELj64E21rocsparse_complex_numIfEEEvi20rocsparse_direction_NS_24const_host_device_scalarIT2_EEPKiS8_PKS5_SA_S6_PS5_21rocsparse_index_base_b
    .private_segment_fixed_size: 0
    .sgpr_count:     15
    .sgpr_spill_count: 0
    .symbol:         _ZN9rocsparseL19gebsrmvn_1xn_kernelILj128ELj15ELj64E21rocsparse_complex_numIfEEEvi20rocsparse_direction_NS_24const_host_device_scalarIT2_EEPKiS8_PKS5_SA_S6_PS5_21rocsparse_index_base_b.kd
    .uniform_work_group_size: 1
    .uses_dynamic_stack: false
    .vgpr_count:     68
    .vgpr_spill_count: 0
    .wavefront_size: 32
    .workgroup_processor_mode: 1
  - .args:
      - .offset:         0
        .size:           4
        .value_kind:     by_value
      - .offset:         4
        .size:           4
        .value_kind:     by_value
      - .offset:         8
        .size:           8
        .value_kind:     by_value
      - .actual_access:  read_only
        .address_space:  global
        .offset:         16
        .size:           8
        .value_kind:     global_buffer
      - .actual_access:  read_only
        .address_space:  global
        .offset:         24
        .size:           8
        .value_kind:     global_buffer
      - .actual_access:  read_only
        .address_space:  global
        .offset:         32
        .size:           8
        .value_kind:     global_buffer
      - .actual_access:  read_only
        .address_space:  global
        .offset:         40
        .size:           8
        .value_kind:     global_buffer
      - .offset:         48
        .size:           8
        .value_kind:     by_value
      - .address_space:  global
        .offset:         56
        .size:           8
        .value_kind:     global_buffer
      - .offset:         64
        .size:           4
        .value_kind:     by_value
      - .offset:         68
        .size:           1
        .value_kind:     by_value
    .group_segment_fixed_size: 0
    .kernarg_segment_align: 8
    .kernarg_segment_size: 72
    .language:       OpenCL C
    .language_version:
      - 2
      - 0
    .max_flat_workgroup_size: 128
    .name:           _ZN9rocsparseL19gebsrmvn_1xn_kernelILj128ELj16ELj4E21rocsparse_complex_numIfEEEvi20rocsparse_direction_NS_24const_host_device_scalarIT2_EEPKiS8_PKS5_SA_S6_PS5_21rocsparse_index_base_b
    .private_segment_fixed_size: 0
    .sgpr_count:     15
    .sgpr_spill_count: 0
    .symbol:         _ZN9rocsparseL19gebsrmvn_1xn_kernelILj128ELj16ELj4E21rocsparse_complex_numIfEEEvi20rocsparse_direction_NS_24const_host_device_scalarIT2_EEPKiS8_PKS5_SA_S6_PS5_21rocsparse_index_base_b.kd
    .uniform_work_group_size: 1
    .uses_dynamic_stack: false
    .vgpr_count:     66
    .vgpr_spill_count: 0
    .wavefront_size: 32
    .workgroup_processor_mode: 1
  - .args:
      - .offset:         0
        .size:           4
        .value_kind:     by_value
      - .offset:         4
        .size:           4
        .value_kind:     by_value
      - .offset:         8
        .size:           8
        .value_kind:     by_value
      - .actual_access:  read_only
        .address_space:  global
        .offset:         16
        .size:           8
        .value_kind:     global_buffer
      - .actual_access:  read_only
        .address_space:  global
        .offset:         24
        .size:           8
        .value_kind:     global_buffer
      - .actual_access:  read_only
        .address_space:  global
        .offset:         32
        .size:           8
        .value_kind:     global_buffer
      - .actual_access:  read_only
        .address_space:  global
        .offset:         40
        .size:           8
        .value_kind:     global_buffer
      - .offset:         48
        .size:           8
        .value_kind:     by_value
      - .address_space:  global
        .offset:         56
        .size:           8
        .value_kind:     global_buffer
      - .offset:         64
        .size:           4
        .value_kind:     by_value
      - .offset:         68
        .size:           1
        .value_kind:     by_value
    .group_segment_fixed_size: 0
    .kernarg_segment_align: 8
    .kernarg_segment_size: 72
    .language:       OpenCL C
    .language_version:
      - 2
      - 0
    .max_flat_workgroup_size: 128
    .name:           _ZN9rocsparseL19gebsrmvn_1xn_kernelILj128ELj16ELj8E21rocsparse_complex_numIfEEEvi20rocsparse_direction_NS_24const_host_device_scalarIT2_EEPKiS8_PKS5_SA_S6_PS5_21rocsparse_index_base_b
    .private_segment_fixed_size: 0
    .sgpr_count:     15
    .sgpr_spill_count: 0
    .symbol:         _ZN9rocsparseL19gebsrmvn_1xn_kernelILj128ELj16ELj8E21rocsparse_complex_numIfEEEvi20rocsparse_direction_NS_24const_host_device_scalarIT2_EEPKiS8_PKS5_SA_S6_PS5_21rocsparse_index_base_b.kd
    .uniform_work_group_size: 1
    .uses_dynamic_stack: false
    .vgpr_count:     66
    .vgpr_spill_count: 0
    .wavefront_size: 32
    .workgroup_processor_mode: 1
  - .args:
      - .offset:         0
        .size:           4
        .value_kind:     by_value
      - .offset:         4
        .size:           4
        .value_kind:     by_value
      - .offset:         8
        .size:           8
        .value_kind:     by_value
      - .actual_access:  read_only
        .address_space:  global
        .offset:         16
        .size:           8
        .value_kind:     global_buffer
      - .actual_access:  read_only
        .address_space:  global
        .offset:         24
        .size:           8
        .value_kind:     global_buffer
      - .actual_access:  read_only
        .address_space:  global
        .offset:         32
        .size:           8
        .value_kind:     global_buffer
      - .actual_access:  read_only
        .address_space:  global
        .offset:         40
        .size:           8
        .value_kind:     global_buffer
      - .offset:         48
        .size:           8
        .value_kind:     by_value
      - .address_space:  global
        .offset:         56
        .size:           8
        .value_kind:     global_buffer
      - .offset:         64
        .size:           4
        .value_kind:     by_value
      - .offset:         68
        .size:           1
        .value_kind:     by_value
    .group_segment_fixed_size: 0
    .kernarg_segment_align: 8
    .kernarg_segment_size: 72
    .language:       OpenCL C
    .language_version:
      - 2
      - 0
    .max_flat_workgroup_size: 128
    .name:           _ZN9rocsparseL19gebsrmvn_1xn_kernelILj128ELj16ELj16E21rocsparse_complex_numIfEEEvi20rocsparse_direction_NS_24const_host_device_scalarIT2_EEPKiS8_PKS5_SA_S6_PS5_21rocsparse_index_base_b
    .private_segment_fixed_size: 0
    .sgpr_count:     15
    .sgpr_spill_count: 0
    .symbol:         _ZN9rocsparseL19gebsrmvn_1xn_kernelILj128ELj16ELj16E21rocsparse_complex_numIfEEEvi20rocsparse_direction_NS_24const_host_device_scalarIT2_EEPKiS8_PKS5_SA_S6_PS5_21rocsparse_index_base_b.kd
    .uniform_work_group_size: 1
    .uses_dynamic_stack: false
    .vgpr_count:     66
    .vgpr_spill_count: 0
    .wavefront_size: 32
    .workgroup_processor_mode: 1
  - .args:
      - .offset:         0
        .size:           4
        .value_kind:     by_value
      - .offset:         4
        .size:           4
        .value_kind:     by_value
      - .offset:         8
        .size:           8
        .value_kind:     by_value
      - .actual_access:  read_only
        .address_space:  global
        .offset:         16
        .size:           8
        .value_kind:     global_buffer
      - .actual_access:  read_only
        .address_space:  global
        .offset:         24
        .size:           8
        .value_kind:     global_buffer
      - .actual_access:  read_only
        .address_space:  global
        .offset:         32
        .size:           8
        .value_kind:     global_buffer
      - .actual_access:  read_only
        .address_space:  global
        .offset:         40
        .size:           8
        .value_kind:     global_buffer
      - .offset:         48
        .size:           8
        .value_kind:     by_value
      - .address_space:  global
        .offset:         56
        .size:           8
        .value_kind:     global_buffer
      - .offset:         64
        .size:           4
        .value_kind:     by_value
      - .offset:         68
        .size:           1
        .value_kind:     by_value
    .group_segment_fixed_size: 0
    .kernarg_segment_align: 8
    .kernarg_segment_size: 72
    .language:       OpenCL C
    .language_version:
      - 2
      - 0
    .max_flat_workgroup_size: 128
    .name:           _ZN9rocsparseL19gebsrmvn_1xn_kernelILj128ELj16ELj32E21rocsparse_complex_numIfEEEvi20rocsparse_direction_NS_24const_host_device_scalarIT2_EEPKiS8_PKS5_SA_S6_PS5_21rocsparse_index_base_b
    .private_segment_fixed_size: 0
    .sgpr_count:     15
    .sgpr_spill_count: 0
    .symbol:         _ZN9rocsparseL19gebsrmvn_1xn_kernelILj128ELj16ELj32E21rocsparse_complex_numIfEEEvi20rocsparse_direction_NS_24const_host_device_scalarIT2_EEPKiS8_PKS5_SA_S6_PS5_21rocsparse_index_base_b.kd
    .uniform_work_group_size: 1
    .uses_dynamic_stack: false
    .vgpr_count:     66
    .vgpr_spill_count: 0
    .wavefront_size: 32
    .workgroup_processor_mode: 1
  - .args:
      - .offset:         0
        .size:           4
        .value_kind:     by_value
      - .offset:         4
        .size:           4
        .value_kind:     by_value
      - .offset:         8
        .size:           8
        .value_kind:     by_value
      - .actual_access:  read_only
        .address_space:  global
        .offset:         16
        .size:           8
        .value_kind:     global_buffer
      - .actual_access:  read_only
        .address_space:  global
        .offset:         24
        .size:           8
        .value_kind:     global_buffer
      - .actual_access:  read_only
        .address_space:  global
        .offset:         32
        .size:           8
        .value_kind:     global_buffer
      - .actual_access:  read_only
        .address_space:  global
        .offset:         40
        .size:           8
        .value_kind:     global_buffer
      - .offset:         48
        .size:           8
        .value_kind:     by_value
      - .address_space:  global
        .offset:         56
        .size:           8
        .value_kind:     global_buffer
      - .offset:         64
        .size:           4
        .value_kind:     by_value
      - .offset:         68
        .size:           1
        .value_kind:     by_value
    .group_segment_fixed_size: 0
    .kernarg_segment_align: 8
    .kernarg_segment_size: 72
    .language:       OpenCL C
    .language_version:
      - 2
      - 0
    .max_flat_workgroup_size: 128
    .name:           _ZN9rocsparseL19gebsrmvn_1xn_kernelILj128ELj16ELj64E21rocsparse_complex_numIfEEEvi20rocsparse_direction_NS_24const_host_device_scalarIT2_EEPKiS8_PKS5_SA_S6_PS5_21rocsparse_index_base_b
    .private_segment_fixed_size: 0
    .sgpr_count:     15
    .sgpr_spill_count: 0
    .symbol:         _ZN9rocsparseL19gebsrmvn_1xn_kernelILj128ELj16ELj64E21rocsparse_complex_numIfEEEvi20rocsparse_direction_NS_24const_host_device_scalarIT2_EEPKiS8_PKS5_SA_S6_PS5_21rocsparse_index_base_b.kd
    .uniform_work_group_size: 1
    .uses_dynamic_stack: false
    .vgpr_count:     66
    .vgpr_spill_count: 0
    .wavefront_size: 32
    .workgroup_processor_mode: 1
  - .args:
      - .offset:         0
        .size:           4
        .value_kind:     by_value
      - .offset:         4
        .size:           4
        .value_kind:     by_value
      - .offset:         8
        .size:           8
        .value_kind:     by_value
      - .actual_access:  read_only
        .address_space:  global
        .offset:         16
        .size:           8
        .value_kind:     global_buffer
      - .actual_access:  read_only
        .address_space:  global
        .offset:         24
        .size:           8
        .value_kind:     global_buffer
      - .actual_access:  read_only
        .address_space:  global
        .offset:         32
        .size:           8
        .value_kind:     global_buffer
      - .offset:         40
        .size:           4
        .value_kind:     by_value
      - .offset:         44
        .size:           4
        .value_kind:     by_value
      - .actual_access:  read_only
        .address_space:  global
        .offset:         48
        .size:           8
        .value_kind:     global_buffer
      - .offset:         56
        .size:           8
        .value_kind:     by_value
      - .address_space:  global
        .offset:         64
        .size:           8
        .value_kind:     global_buffer
      - .offset:         72
        .size:           4
        .value_kind:     by_value
      - .offset:         76
        .size:           1
        .value_kind:     by_value
    .group_segment_fixed_size: 0
    .kernarg_segment_align: 8
    .kernarg_segment_size: 80
    .language:       OpenCL C
    .language_version:
      - 2
      - 0
    .max_flat_workgroup_size: 32
    .name:           _ZN9rocsparseL23gebsrmvn_general_kernelILj32ELj32E21rocsparse_complex_numIfEEEvi20rocsparse_direction_NS_24const_host_device_scalarIT1_EEPKiS8_PKS5_iiSA_S6_PS5_21rocsparse_index_base_b
    .private_segment_fixed_size: 0
    .sgpr_count:     28
    .sgpr_spill_count: 0
    .symbol:         _ZN9rocsparseL23gebsrmvn_general_kernelILj32ELj32E21rocsparse_complex_numIfEEEvi20rocsparse_direction_NS_24const_host_device_scalarIT1_EEPKiS8_PKS5_iiSA_S6_PS5_21rocsparse_index_base_b.kd
    .uniform_work_group_size: 1
    .uses_dynamic_stack: false
    .vgpr_count:     20
    .vgpr_spill_count: 0
    .wavefront_size: 32
    .workgroup_processor_mode: 1
  - .args:
      - .offset:         0
        .size:           4
        .value_kind:     by_value
      - .offset:         4
        .size:           4
        .value_kind:     by_value
      - .offset:         8
        .size:           16
        .value_kind:     by_value
      - .actual_access:  read_only
        .address_space:  global
        .offset:         24
        .size:           8
        .value_kind:     global_buffer
      - .actual_access:  read_only
        .address_space:  global
        .offset:         32
        .size:           8
        .value_kind:     global_buffer
      - .actual_access:  read_only
        .address_space:  global
        .offset:         40
        .size:           8
        .value_kind:     global_buffer
      - .actual_access:  read_only
        .address_space:  global
        .offset:         48
        .size:           8
        .value_kind:     global_buffer
      - .offset:         56
        .size:           16
        .value_kind:     by_value
      - .address_space:  global
        .offset:         72
        .size:           8
        .value_kind:     global_buffer
      - .offset:         80
        .size:           4
        .value_kind:     by_value
      - .offset:         84
        .size:           1
        .value_kind:     by_value
    .group_segment_fixed_size: 0
    .kernarg_segment_align: 8
    .kernarg_segment_size: 88
    .language:       OpenCL C
    .language_version:
      - 2
      - 0
    .max_flat_workgroup_size: 128
    .name:           _ZN9rocsparseL19gebsrmvn_1xn_kernelILj128ELj2ELj4E21rocsparse_complex_numIdEEEvi20rocsparse_direction_NS_24const_host_device_scalarIT2_EEPKiS8_PKS5_SA_S6_PS5_21rocsparse_index_base_b
    .private_segment_fixed_size: 0
    .sgpr_count:     15
    .sgpr_spill_count: 0
    .symbol:         _ZN9rocsparseL19gebsrmvn_1xn_kernelILj128ELj2ELj4E21rocsparse_complex_numIdEEEvi20rocsparse_direction_NS_24const_host_device_scalarIT2_EEPKiS8_PKS5_SA_S6_PS5_21rocsparse_index_base_b.kd
    .uniform_work_group_size: 1
    .uses_dynamic_stack: false
    .vgpr_count:     36
    .vgpr_spill_count: 0
    .wavefront_size: 32
    .workgroup_processor_mode: 1
  - .args:
      - .offset:         0
        .size:           4
        .value_kind:     by_value
      - .offset:         4
        .size:           4
        .value_kind:     by_value
      - .offset:         8
        .size:           16
        .value_kind:     by_value
      - .actual_access:  read_only
        .address_space:  global
        .offset:         24
        .size:           8
        .value_kind:     global_buffer
      - .actual_access:  read_only
        .address_space:  global
        .offset:         32
        .size:           8
        .value_kind:     global_buffer
      - .actual_access:  read_only
        .address_space:  global
        .offset:         40
        .size:           8
        .value_kind:     global_buffer
      - .actual_access:  read_only
        .address_space:  global
        .offset:         48
        .size:           8
        .value_kind:     global_buffer
      - .offset:         56
        .size:           16
        .value_kind:     by_value
      - .address_space:  global
        .offset:         72
        .size:           8
        .value_kind:     global_buffer
      - .offset:         80
        .size:           4
        .value_kind:     by_value
      - .offset:         84
        .size:           1
        .value_kind:     by_value
    .group_segment_fixed_size: 0
    .kernarg_segment_align: 8
    .kernarg_segment_size: 88
    .language:       OpenCL C
    .language_version:
      - 2
      - 0
    .max_flat_workgroup_size: 128
    .name:           _ZN9rocsparseL19gebsrmvn_1xn_kernelILj128ELj2ELj8E21rocsparse_complex_numIdEEEvi20rocsparse_direction_NS_24const_host_device_scalarIT2_EEPKiS8_PKS5_SA_S6_PS5_21rocsparse_index_base_b
    .private_segment_fixed_size: 0
    .sgpr_count:     15
    .sgpr_spill_count: 0
    .symbol:         _ZN9rocsparseL19gebsrmvn_1xn_kernelILj128ELj2ELj8E21rocsparse_complex_numIdEEEvi20rocsparse_direction_NS_24const_host_device_scalarIT2_EEPKiS8_PKS5_SA_S6_PS5_21rocsparse_index_base_b.kd
    .uniform_work_group_size: 1
    .uses_dynamic_stack: false
    .vgpr_count:     36
    .vgpr_spill_count: 0
    .wavefront_size: 32
    .workgroup_processor_mode: 1
  - .args:
      - .offset:         0
        .size:           4
        .value_kind:     by_value
      - .offset:         4
        .size:           4
        .value_kind:     by_value
      - .offset:         8
        .size:           16
        .value_kind:     by_value
      - .actual_access:  read_only
        .address_space:  global
        .offset:         24
        .size:           8
        .value_kind:     global_buffer
      - .actual_access:  read_only
        .address_space:  global
        .offset:         32
        .size:           8
        .value_kind:     global_buffer
      - .actual_access:  read_only
        .address_space:  global
        .offset:         40
        .size:           8
        .value_kind:     global_buffer
      - .actual_access:  read_only
        .address_space:  global
        .offset:         48
        .size:           8
        .value_kind:     global_buffer
      - .offset:         56
        .size:           16
        .value_kind:     by_value
      - .address_space:  global
        .offset:         72
        .size:           8
        .value_kind:     global_buffer
      - .offset:         80
        .size:           4
        .value_kind:     by_value
      - .offset:         84
        .size:           1
        .value_kind:     by_value
    .group_segment_fixed_size: 0
    .kernarg_segment_align: 8
    .kernarg_segment_size: 88
    .language:       OpenCL C
    .language_version:
      - 2
      - 0
    .max_flat_workgroup_size: 128
    .name:           _ZN9rocsparseL19gebsrmvn_1xn_kernelILj128ELj2ELj16E21rocsparse_complex_numIdEEEvi20rocsparse_direction_NS_24const_host_device_scalarIT2_EEPKiS8_PKS5_SA_S6_PS5_21rocsparse_index_base_b
    .private_segment_fixed_size: 0
    .sgpr_count:     15
    .sgpr_spill_count: 0
    .symbol:         _ZN9rocsparseL19gebsrmvn_1xn_kernelILj128ELj2ELj16E21rocsparse_complex_numIdEEEvi20rocsparse_direction_NS_24const_host_device_scalarIT2_EEPKiS8_PKS5_SA_S6_PS5_21rocsparse_index_base_b.kd
    .uniform_work_group_size: 1
    .uses_dynamic_stack: false
    .vgpr_count:     36
    .vgpr_spill_count: 0
    .wavefront_size: 32
    .workgroup_processor_mode: 1
  - .args:
      - .offset:         0
        .size:           4
        .value_kind:     by_value
      - .offset:         4
        .size:           4
        .value_kind:     by_value
      - .offset:         8
        .size:           16
        .value_kind:     by_value
      - .actual_access:  read_only
        .address_space:  global
        .offset:         24
        .size:           8
        .value_kind:     global_buffer
      - .actual_access:  read_only
        .address_space:  global
        .offset:         32
        .size:           8
        .value_kind:     global_buffer
      - .actual_access:  read_only
        .address_space:  global
        .offset:         40
        .size:           8
        .value_kind:     global_buffer
      - .actual_access:  read_only
        .address_space:  global
        .offset:         48
        .size:           8
        .value_kind:     global_buffer
      - .offset:         56
        .size:           16
        .value_kind:     by_value
      - .address_space:  global
        .offset:         72
        .size:           8
        .value_kind:     global_buffer
      - .offset:         80
        .size:           4
        .value_kind:     by_value
      - .offset:         84
        .size:           1
        .value_kind:     by_value
    .group_segment_fixed_size: 0
    .kernarg_segment_align: 8
    .kernarg_segment_size: 88
    .language:       OpenCL C
    .language_version:
      - 2
      - 0
    .max_flat_workgroup_size: 128
    .name:           _ZN9rocsparseL19gebsrmvn_1xn_kernelILj128ELj2ELj32E21rocsparse_complex_numIdEEEvi20rocsparse_direction_NS_24const_host_device_scalarIT2_EEPKiS8_PKS5_SA_S6_PS5_21rocsparse_index_base_b
    .private_segment_fixed_size: 0
    .sgpr_count:     15
    .sgpr_spill_count: 0
    .symbol:         _ZN9rocsparseL19gebsrmvn_1xn_kernelILj128ELj2ELj32E21rocsparse_complex_numIdEEEvi20rocsparse_direction_NS_24const_host_device_scalarIT2_EEPKiS8_PKS5_SA_S6_PS5_21rocsparse_index_base_b.kd
    .uniform_work_group_size: 1
    .uses_dynamic_stack: false
    .vgpr_count:     36
    .vgpr_spill_count: 0
    .wavefront_size: 32
    .workgroup_processor_mode: 1
  - .args:
      - .offset:         0
        .size:           4
        .value_kind:     by_value
      - .offset:         4
        .size:           4
        .value_kind:     by_value
      - .offset:         8
        .size:           16
        .value_kind:     by_value
      - .actual_access:  read_only
        .address_space:  global
        .offset:         24
        .size:           8
        .value_kind:     global_buffer
      - .actual_access:  read_only
        .address_space:  global
        .offset:         32
        .size:           8
        .value_kind:     global_buffer
      - .actual_access:  read_only
        .address_space:  global
        .offset:         40
        .size:           8
        .value_kind:     global_buffer
      - .actual_access:  read_only
        .address_space:  global
        .offset:         48
        .size:           8
        .value_kind:     global_buffer
      - .offset:         56
        .size:           16
        .value_kind:     by_value
      - .address_space:  global
        .offset:         72
        .size:           8
        .value_kind:     global_buffer
      - .offset:         80
        .size:           4
        .value_kind:     by_value
      - .offset:         84
        .size:           1
        .value_kind:     by_value
    .group_segment_fixed_size: 0
    .kernarg_segment_align: 8
    .kernarg_segment_size: 88
    .language:       OpenCL C
    .language_version:
      - 2
      - 0
    .max_flat_workgroup_size: 128
    .name:           _ZN9rocsparseL19gebsrmvn_1xn_kernelILj128ELj2ELj64E21rocsparse_complex_numIdEEEvi20rocsparse_direction_NS_24const_host_device_scalarIT2_EEPKiS8_PKS5_SA_S6_PS5_21rocsparse_index_base_b
    .private_segment_fixed_size: 0
    .sgpr_count:     15
    .sgpr_spill_count: 0
    .symbol:         _ZN9rocsparseL19gebsrmvn_1xn_kernelILj128ELj2ELj64E21rocsparse_complex_numIdEEEvi20rocsparse_direction_NS_24const_host_device_scalarIT2_EEPKiS8_PKS5_SA_S6_PS5_21rocsparse_index_base_b.kd
    .uniform_work_group_size: 1
    .uses_dynamic_stack: false
    .vgpr_count:     36
    .vgpr_spill_count: 0
    .wavefront_size: 32
    .workgroup_processor_mode: 1
  - .args:
      - .offset:         0
        .size:           4
        .value_kind:     by_value
      - .offset:         4
        .size:           4
        .value_kind:     by_value
      - .offset:         8
        .size:           16
        .value_kind:     by_value
      - .actual_access:  read_only
        .address_space:  global
        .offset:         24
        .size:           8
        .value_kind:     global_buffer
      - .actual_access:  read_only
        .address_space:  global
        .offset:         32
        .size:           8
        .value_kind:     global_buffer
      - .actual_access:  read_only
        .address_space:  global
        .offset:         40
        .size:           8
        .value_kind:     global_buffer
      - .actual_access:  read_only
        .address_space:  global
        .offset:         48
        .size:           8
        .value_kind:     global_buffer
      - .offset:         56
        .size:           16
        .value_kind:     by_value
      - .address_space:  global
        .offset:         72
        .size:           8
        .value_kind:     global_buffer
      - .offset:         80
        .size:           4
        .value_kind:     by_value
      - .offset:         84
        .size:           1
        .value_kind:     by_value
    .group_segment_fixed_size: 0
    .kernarg_segment_align: 8
    .kernarg_segment_size: 88
    .language:       OpenCL C
    .language_version:
      - 2
      - 0
    .max_flat_workgroup_size: 128
    .name:           _ZN9rocsparseL19gebsrmvn_1xn_kernelILj128ELj3ELj4E21rocsparse_complex_numIdEEEvi20rocsparse_direction_NS_24const_host_device_scalarIT2_EEPKiS8_PKS5_SA_S6_PS5_21rocsparse_index_base_b
    .private_segment_fixed_size: 0
    .sgpr_count:     15
    .sgpr_spill_count: 0
    .symbol:         _ZN9rocsparseL19gebsrmvn_1xn_kernelILj128ELj3ELj4E21rocsparse_complex_numIdEEEvi20rocsparse_direction_NS_24const_host_device_scalarIT2_EEPKiS8_PKS5_SA_S6_PS5_21rocsparse_index_base_b.kd
    .uniform_work_group_size: 1
    .uses_dynamic_stack: false
    .vgpr_count:     44
    .vgpr_spill_count: 0
    .wavefront_size: 32
    .workgroup_processor_mode: 1
  - .args:
      - .offset:         0
        .size:           4
        .value_kind:     by_value
      - .offset:         4
        .size:           4
        .value_kind:     by_value
      - .offset:         8
        .size:           16
        .value_kind:     by_value
      - .actual_access:  read_only
        .address_space:  global
        .offset:         24
        .size:           8
        .value_kind:     global_buffer
      - .actual_access:  read_only
        .address_space:  global
        .offset:         32
        .size:           8
        .value_kind:     global_buffer
      - .actual_access:  read_only
        .address_space:  global
        .offset:         40
        .size:           8
        .value_kind:     global_buffer
      - .actual_access:  read_only
        .address_space:  global
        .offset:         48
        .size:           8
        .value_kind:     global_buffer
      - .offset:         56
        .size:           16
        .value_kind:     by_value
      - .address_space:  global
        .offset:         72
        .size:           8
        .value_kind:     global_buffer
      - .offset:         80
        .size:           4
        .value_kind:     by_value
      - .offset:         84
        .size:           1
        .value_kind:     by_value
    .group_segment_fixed_size: 0
    .kernarg_segment_align: 8
    .kernarg_segment_size: 88
    .language:       OpenCL C
    .language_version:
      - 2
      - 0
    .max_flat_workgroup_size: 128
    .name:           _ZN9rocsparseL19gebsrmvn_1xn_kernelILj128ELj3ELj8E21rocsparse_complex_numIdEEEvi20rocsparse_direction_NS_24const_host_device_scalarIT2_EEPKiS8_PKS5_SA_S6_PS5_21rocsparse_index_base_b
    .private_segment_fixed_size: 0
    .sgpr_count:     15
    .sgpr_spill_count: 0
    .symbol:         _ZN9rocsparseL19gebsrmvn_1xn_kernelILj128ELj3ELj8E21rocsparse_complex_numIdEEEvi20rocsparse_direction_NS_24const_host_device_scalarIT2_EEPKiS8_PKS5_SA_S6_PS5_21rocsparse_index_base_b.kd
    .uniform_work_group_size: 1
    .uses_dynamic_stack: false
    .vgpr_count:     44
    .vgpr_spill_count: 0
    .wavefront_size: 32
    .workgroup_processor_mode: 1
  - .args:
      - .offset:         0
        .size:           4
        .value_kind:     by_value
      - .offset:         4
        .size:           4
        .value_kind:     by_value
      - .offset:         8
        .size:           16
        .value_kind:     by_value
      - .actual_access:  read_only
        .address_space:  global
        .offset:         24
        .size:           8
        .value_kind:     global_buffer
      - .actual_access:  read_only
        .address_space:  global
        .offset:         32
        .size:           8
        .value_kind:     global_buffer
      - .actual_access:  read_only
        .address_space:  global
        .offset:         40
        .size:           8
        .value_kind:     global_buffer
      - .actual_access:  read_only
        .address_space:  global
        .offset:         48
        .size:           8
        .value_kind:     global_buffer
      - .offset:         56
        .size:           16
        .value_kind:     by_value
      - .address_space:  global
        .offset:         72
        .size:           8
        .value_kind:     global_buffer
      - .offset:         80
        .size:           4
        .value_kind:     by_value
      - .offset:         84
        .size:           1
        .value_kind:     by_value
    .group_segment_fixed_size: 0
    .kernarg_segment_align: 8
    .kernarg_segment_size: 88
    .language:       OpenCL C
    .language_version:
      - 2
      - 0
    .max_flat_workgroup_size: 128
    .name:           _ZN9rocsparseL19gebsrmvn_1xn_kernelILj128ELj3ELj16E21rocsparse_complex_numIdEEEvi20rocsparse_direction_NS_24const_host_device_scalarIT2_EEPKiS8_PKS5_SA_S6_PS5_21rocsparse_index_base_b
    .private_segment_fixed_size: 0
    .sgpr_count:     15
    .sgpr_spill_count: 0
    .symbol:         _ZN9rocsparseL19gebsrmvn_1xn_kernelILj128ELj3ELj16E21rocsparse_complex_numIdEEEvi20rocsparse_direction_NS_24const_host_device_scalarIT2_EEPKiS8_PKS5_SA_S6_PS5_21rocsparse_index_base_b.kd
    .uniform_work_group_size: 1
    .uses_dynamic_stack: false
    .vgpr_count:     44
    .vgpr_spill_count: 0
    .wavefront_size: 32
    .workgroup_processor_mode: 1
  - .args:
      - .offset:         0
        .size:           4
        .value_kind:     by_value
      - .offset:         4
        .size:           4
        .value_kind:     by_value
      - .offset:         8
        .size:           16
        .value_kind:     by_value
      - .actual_access:  read_only
        .address_space:  global
        .offset:         24
        .size:           8
        .value_kind:     global_buffer
      - .actual_access:  read_only
        .address_space:  global
        .offset:         32
        .size:           8
        .value_kind:     global_buffer
      - .actual_access:  read_only
        .address_space:  global
        .offset:         40
        .size:           8
        .value_kind:     global_buffer
      - .actual_access:  read_only
        .address_space:  global
        .offset:         48
        .size:           8
        .value_kind:     global_buffer
      - .offset:         56
        .size:           16
        .value_kind:     by_value
      - .address_space:  global
        .offset:         72
        .size:           8
        .value_kind:     global_buffer
      - .offset:         80
        .size:           4
        .value_kind:     by_value
      - .offset:         84
        .size:           1
        .value_kind:     by_value
    .group_segment_fixed_size: 0
    .kernarg_segment_align: 8
    .kernarg_segment_size: 88
    .language:       OpenCL C
    .language_version:
      - 2
      - 0
    .max_flat_workgroup_size: 128
    .name:           _ZN9rocsparseL19gebsrmvn_1xn_kernelILj128ELj3ELj32E21rocsparse_complex_numIdEEEvi20rocsparse_direction_NS_24const_host_device_scalarIT2_EEPKiS8_PKS5_SA_S6_PS5_21rocsparse_index_base_b
    .private_segment_fixed_size: 0
    .sgpr_count:     15
    .sgpr_spill_count: 0
    .symbol:         _ZN9rocsparseL19gebsrmvn_1xn_kernelILj128ELj3ELj32E21rocsparse_complex_numIdEEEvi20rocsparse_direction_NS_24const_host_device_scalarIT2_EEPKiS8_PKS5_SA_S6_PS5_21rocsparse_index_base_b.kd
    .uniform_work_group_size: 1
    .uses_dynamic_stack: false
    .vgpr_count:     44
    .vgpr_spill_count: 0
    .wavefront_size: 32
    .workgroup_processor_mode: 1
  - .args:
      - .offset:         0
        .size:           4
        .value_kind:     by_value
      - .offset:         4
        .size:           4
        .value_kind:     by_value
      - .offset:         8
        .size:           16
        .value_kind:     by_value
      - .actual_access:  read_only
        .address_space:  global
        .offset:         24
        .size:           8
        .value_kind:     global_buffer
      - .actual_access:  read_only
        .address_space:  global
        .offset:         32
        .size:           8
        .value_kind:     global_buffer
      - .actual_access:  read_only
        .address_space:  global
        .offset:         40
        .size:           8
        .value_kind:     global_buffer
      - .actual_access:  read_only
        .address_space:  global
        .offset:         48
        .size:           8
        .value_kind:     global_buffer
      - .offset:         56
        .size:           16
        .value_kind:     by_value
      - .address_space:  global
        .offset:         72
        .size:           8
        .value_kind:     global_buffer
      - .offset:         80
        .size:           4
        .value_kind:     by_value
      - .offset:         84
        .size:           1
        .value_kind:     by_value
    .group_segment_fixed_size: 0
    .kernarg_segment_align: 8
    .kernarg_segment_size: 88
    .language:       OpenCL C
    .language_version:
      - 2
      - 0
    .max_flat_workgroup_size: 128
    .name:           _ZN9rocsparseL19gebsrmvn_1xn_kernelILj128ELj3ELj64E21rocsparse_complex_numIdEEEvi20rocsparse_direction_NS_24const_host_device_scalarIT2_EEPKiS8_PKS5_SA_S6_PS5_21rocsparse_index_base_b
    .private_segment_fixed_size: 0
    .sgpr_count:     15
    .sgpr_spill_count: 0
    .symbol:         _ZN9rocsparseL19gebsrmvn_1xn_kernelILj128ELj3ELj64E21rocsparse_complex_numIdEEEvi20rocsparse_direction_NS_24const_host_device_scalarIT2_EEPKiS8_PKS5_SA_S6_PS5_21rocsparse_index_base_b.kd
    .uniform_work_group_size: 1
    .uses_dynamic_stack: false
    .vgpr_count:     44
    .vgpr_spill_count: 0
    .wavefront_size: 32
    .workgroup_processor_mode: 1
  - .args:
      - .offset:         0
        .size:           4
        .value_kind:     by_value
      - .offset:         4
        .size:           4
        .value_kind:     by_value
      - .offset:         8
        .size:           16
        .value_kind:     by_value
      - .actual_access:  read_only
        .address_space:  global
        .offset:         24
        .size:           8
        .value_kind:     global_buffer
      - .actual_access:  read_only
        .address_space:  global
        .offset:         32
        .size:           8
        .value_kind:     global_buffer
      - .actual_access:  read_only
        .address_space:  global
        .offset:         40
        .size:           8
        .value_kind:     global_buffer
      - .actual_access:  read_only
        .address_space:  global
        .offset:         48
        .size:           8
        .value_kind:     global_buffer
      - .offset:         56
        .size:           16
        .value_kind:     by_value
      - .address_space:  global
        .offset:         72
        .size:           8
        .value_kind:     global_buffer
      - .offset:         80
        .size:           4
        .value_kind:     by_value
      - .offset:         84
        .size:           1
        .value_kind:     by_value
    .group_segment_fixed_size: 0
    .kernarg_segment_align: 8
    .kernarg_segment_size: 88
    .language:       OpenCL C
    .language_version:
      - 2
      - 0
    .max_flat_workgroup_size: 128
    .name:           _ZN9rocsparseL19gebsrmvn_1xn_kernelILj128ELj4ELj4E21rocsparse_complex_numIdEEEvi20rocsparse_direction_NS_24const_host_device_scalarIT2_EEPKiS8_PKS5_SA_S6_PS5_21rocsparse_index_base_b
    .private_segment_fixed_size: 0
    .sgpr_count:     15
    .sgpr_spill_count: 0
    .symbol:         _ZN9rocsparseL19gebsrmvn_1xn_kernelILj128ELj4ELj4E21rocsparse_complex_numIdEEEvi20rocsparse_direction_NS_24const_host_device_scalarIT2_EEPKiS8_PKS5_SA_S6_PS5_21rocsparse_index_base_b.kd
    .uniform_work_group_size: 1
    .uses_dynamic_stack: false
    .vgpr_count:     52
    .vgpr_spill_count: 0
    .wavefront_size: 32
    .workgroup_processor_mode: 1
  - .args:
      - .offset:         0
        .size:           4
        .value_kind:     by_value
      - .offset:         4
        .size:           4
        .value_kind:     by_value
      - .offset:         8
        .size:           16
        .value_kind:     by_value
      - .actual_access:  read_only
        .address_space:  global
        .offset:         24
        .size:           8
        .value_kind:     global_buffer
      - .actual_access:  read_only
        .address_space:  global
        .offset:         32
        .size:           8
        .value_kind:     global_buffer
      - .actual_access:  read_only
        .address_space:  global
        .offset:         40
        .size:           8
        .value_kind:     global_buffer
      - .actual_access:  read_only
        .address_space:  global
        .offset:         48
        .size:           8
        .value_kind:     global_buffer
      - .offset:         56
        .size:           16
        .value_kind:     by_value
      - .address_space:  global
        .offset:         72
        .size:           8
        .value_kind:     global_buffer
      - .offset:         80
        .size:           4
        .value_kind:     by_value
      - .offset:         84
        .size:           1
        .value_kind:     by_value
    .group_segment_fixed_size: 0
    .kernarg_segment_align: 8
    .kernarg_segment_size: 88
    .language:       OpenCL C
    .language_version:
      - 2
      - 0
    .max_flat_workgroup_size: 128
    .name:           _ZN9rocsparseL19gebsrmvn_1xn_kernelILj128ELj4ELj8E21rocsparse_complex_numIdEEEvi20rocsparse_direction_NS_24const_host_device_scalarIT2_EEPKiS8_PKS5_SA_S6_PS5_21rocsparse_index_base_b
    .private_segment_fixed_size: 0
    .sgpr_count:     15
    .sgpr_spill_count: 0
    .symbol:         _ZN9rocsparseL19gebsrmvn_1xn_kernelILj128ELj4ELj8E21rocsparse_complex_numIdEEEvi20rocsparse_direction_NS_24const_host_device_scalarIT2_EEPKiS8_PKS5_SA_S6_PS5_21rocsparse_index_base_b.kd
    .uniform_work_group_size: 1
    .uses_dynamic_stack: false
    .vgpr_count:     52
    .vgpr_spill_count: 0
    .wavefront_size: 32
    .workgroup_processor_mode: 1
  - .args:
      - .offset:         0
        .size:           4
        .value_kind:     by_value
      - .offset:         4
        .size:           4
        .value_kind:     by_value
      - .offset:         8
        .size:           16
        .value_kind:     by_value
      - .actual_access:  read_only
        .address_space:  global
        .offset:         24
        .size:           8
        .value_kind:     global_buffer
      - .actual_access:  read_only
        .address_space:  global
        .offset:         32
        .size:           8
        .value_kind:     global_buffer
      - .actual_access:  read_only
        .address_space:  global
        .offset:         40
        .size:           8
        .value_kind:     global_buffer
      - .actual_access:  read_only
        .address_space:  global
        .offset:         48
        .size:           8
        .value_kind:     global_buffer
      - .offset:         56
        .size:           16
        .value_kind:     by_value
      - .address_space:  global
        .offset:         72
        .size:           8
        .value_kind:     global_buffer
      - .offset:         80
        .size:           4
        .value_kind:     by_value
      - .offset:         84
        .size:           1
        .value_kind:     by_value
    .group_segment_fixed_size: 0
    .kernarg_segment_align: 8
    .kernarg_segment_size: 88
    .language:       OpenCL C
    .language_version:
      - 2
      - 0
    .max_flat_workgroup_size: 128
    .name:           _ZN9rocsparseL19gebsrmvn_1xn_kernelILj128ELj4ELj16E21rocsparse_complex_numIdEEEvi20rocsparse_direction_NS_24const_host_device_scalarIT2_EEPKiS8_PKS5_SA_S6_PS5_21rocsparse_index_base_b
    .private_segment_fixed_size: 0
    .sgpr_count:     15
    .sgpr_spill_count: 0
    .symbol:         _ZN9rocsparseL19gebsrmvn_1xn_kernelILj128ELj4ELj16E21rocsparse_complex_numIdEEEvi20rocsparse_direction_NS_24const_host_device_scalarIT2_EEPKiS8_PKS5_SA_S6_PS5_21rocsparse_index_base_b.kd
    .uniform_work_group_size: 1
    .uses_dynamic_stack: false
    .vgpr_count:     52
    .vgpr_spill_count: 0
    .wavefront_size: 32
    .workgroup_processor_mode: 1
  - .args:
      - .offset:         0
        .size:           4
        .value_kind:     by_value
      - .offset:         4
        .size:           4
        .value_kind:     by_value
      - .offset:         8
        .size:           16
        .value_kind:     by_value
      - .actual_access:  read_only
        .address_space:  global
        .offset:         24
        .size:           8
        .value_kind:     global_buffer
      - .actual_access:  read_only
        .address_space:  global
        .offset:         32
        .size:           8
        .value_kind:     global_buffer
      - .actual_access:  read_only
        .address_space:  global
        .offset:         40
        .size:           8
        .value_kind:     global_buffer
      - .actual_access:  read_only
        .address_space:  global
        .offset:         48
        .size:           8
        .value_kind:     global_buffer
      - .offset:         56
        .size:           16
        .value_kind:     by_value
      - .address_space:  global
        .offset:         72
        .size:           8
        .value_kind:     global_buffer
      - .offset:         80
        .size:           4
        .value_kind:     by_value
      - .offset:         84
        .size:           1
        .value_kind:     by_value
    .group_segment_fixed_size: 0
    .kernarg_segment_align: 8
    .kernarg_segment_size: 88
    .language:       OpenCL C
    .language_version:
      - 2
      - 0
    .max_flat_workgroup_size: 128
    .name:           _ZN9rocsparseL19gebsrmvn_1xn_kernelILj128ELj4ELj32E21rocsparse_complex_numIdEEEvi20rocsparse_direction_NS_24const_host_device_scalarIT2_EEPKiS8_PKS5_SA_S6_PS5_21rocsparse_index_base_b
    .private_segment_fixed_size: 0
    .sgpr_count:     15
    .sgpr_spill_count: 0
    .symbol:         _ZN9rocsparseL19gebsrmvn_1xn_kernelILj128ELj4ELj32E21rocsparse_complex_numIdEEEvi20rocsparse_direction_NS_24const_host_device_scalarIT2_EEPKiS8_PKS5_SA_S6_PS5_21rocsparse_index_base_b.kd
    .uniform_work_group_size: 1
    .uses_dynamic_stack: false
    .vgpr_count:     52
    .vgpr_spill_count: 0
    .wavefront_size: 32
    .workgroup_processor_mode: 1
  - .args:
      - .offset:         0
        .size:           4
        .value_kind:     by_value
      - .offset:         4
        .size:           4
        .value_kind:     by_value
      - .offset:         8
        .size:           16
        .value_kind:     by_value
      - .actual_access:  read_only
        .address_space:  global
        .offset:         24
        .size:           8
        .value_kind:     global_buffer
      - .actual_access:  read_only
        .address_space:  global
        .offset:         32
        .size:           8
        .value_kind:     global_buffer
      - .actual_access:  read_only
        .address_space:  global
        .offset:         40
        .size:           8
        .value_kind:     global_buffer
      - .actual_access:  read_only
        .address_space:  global
        .offset:         48
        .size:           8
        .value_kind:     global_buffer
      - .offset:         56
        .size:           16
        .value_kind:     by_value
      - .address_space:  global
        .offset:         72
        .size:           8
        .value_kind:     global_buffer
      - .offset:         80
        .size:           4
        .value_kind:     by_value
      - .offset:         84
        .size:           1
        .value_kind:     by_value
    .group_segment_fixed_size: 0
    .kernarg_segment_align: 8
    .kernarg_segment_size: 88
    .language:       OpenCL C
    .language_version:
      - 2
      - 0
    .max_flat_workgroup_size: 128
    .name:           _ZN9rocsparseL19gebsrmvn_1xn_kernelILj128ELj4ELj64E21rocsparse_complex_numIdEEEvi20rocsparse_direction_NS_24const_host_device_scalarIT2_EEPKiS8_PKS5_SA_S6_PS5_21rocsparse_index_base_b
    .private_segment_fixed_size: 0
    .sgpr_count:     15
    .sgpr_spill_count: 0
    .symbol:         _ZN9rocsparseL19gebsrmvn_1xn_kernelILj128ELj4ELj64E21rocsparse_complex_numIdEEEvi20rocsparse_direction_NS_24const_host_device_scalarIT2_EEPKiS8_PKS5_SA_S6_PS5_21rocsparse_index_base_b.kd
    .uniform_work_group_size: 1
    .uses_dynamic_stack: false
    .vgpr_count:     52
    .vgpr_spill_count: 0
    .wavefront_size: 32
    .workgroup_processor_mode: 1
  - .args:
      - .offset:         0
        .size:           4
        .value_kind:     by_value
      - .offset:         4
        .size:           4
        .value_kind:     by_value
      - .offset:         8
        .size:           16
        .value_kind:     by_value
      - .actual_access:  read_only
        .address_space:  global
        .offset:         24
        .size:           8
        .value_kind:     global_buffer
      - .actual_access:  read_only
        .address_space:  global
        .offset:         32
        .size:           8
        .value_kind:     global_buffer
      - .actual_access:  read_only
        .address_space:  global
        .offset:         40
        .size:           8
        .value_kind:     global_buffer
      - .actual_access:  read_only
        .address_space:  global
        .offset:         48
        .size:           8
        .value_kind:     global_buffer
      - .offset:         56
        .size:           16
        .value_kind:     by_value
      - .address_space:  global
        .offset:         72
        .size:           8
        .value_kind:     global_buffer
      - .offset:         80
        .size:           4
        .value_kind:     by_value
      - .offset:         84
        .size:           1
        .value_kind:     by_value
    .group_segment_fixed_size: 0
    .kernarg_segment_align: 8
    .kernarg_segment_size: 88
    .language:       OpenCL C
    .language_version:
      - 2
      - 0
    .max_flat_workgroup_size: 128
    .name:           _ZN9rocsparseL19gebsrmvn_1xn_kernelILj128ELj5ELj4E21rocsparse_complex_numIdEEEvi20rocsparse_direction_NS_24const_host_device_scalarIT2_EEPKiS8_PKS5_SA_S6_PS5_21rocsparse_index_base_b
    .private_segment_fixed_size: 0
    .sgpr_count:     15
    .sgpr_spill_count: 0
    .symbol:         _ZN9rocsparseL19gebsrmvn_1xn_kernelILj128ELj5ELj4E21rocsparse_complex_numIdEEEvi20rocsparse_direction_NS_24const_host_device_scalarIT2_EEPKiS8_PKS5_SA_S6_PS5_21rocsparse_index_base_b.kd
    .uniform_work_group_size: 1
    .uses_dynamic_stack: false
    .vgpr_count:     61
    .vgpr_spill_count: 0
    .wavefront_size: 32
    .workgroup_processor_mode: 1
  - .args:
      - .offset:         0
        .size:           4
        .value_kind:     by_value
      - .offset:         4
        .size:           4
        .value_kind:     by_value
      - .offset:         8
        .size:           16
        .value_kind:     by_value
      - .actual_access:  read_only
        .address_space:  global
        .offset:         24
        .size:           8
        .value_kind:     global_buffer
      - .actual_access:  read_only
        .address_space:  global
        .offset:         32
        .size:           8
        .value_kind:     global_buffer
      - .actual_access:  read_only
        .address_space:  global
        .offset:         40
        .size:           8
        .value_kind:     global_buffer
      - .actual_access:  read_only
        .address_space:  global
        .offset:         48
        .size:           8
        .value_kind:     global_buffer
      - .offset:         56
        .size:           16
        .value_kind:     by_value
      - .address_space:  global
        .offset:         72
        .size:           8
        .value_kind:     global_buffer
      - .offset:         80
        .size:           4
        .value_kind:     by_value
      - .offset:         84
        .size:           1
        .value_kind:     by_value
    .group_segment_fixed_size: 0
    .kernarg_segment_align: 8
    .kernarg_segment_size: 88
    .language:       OpenCL C
    .language_version:
      - 2
      - 0
    .max_flat_workgroup_size: 128
    .name:           _ZN9rocsparseL19gebsrmvn_1xn_kernelILj128ELj5ELj8E21rocsparse_complex_numIdEEEvi20rocsparse_direction_NS_24const_host_device_scalarIT2_EEPKiS8_PKS5_SA_S6_PS5_21rocsparse_index_base_b
    .private_segment_fixed_size: 0
    .sgpr_count:     15
    .sgpr_spill_count: 0
    .symbol:         _ZN9rocsparseL19gebsrmvn_1xn_kernelILj128ELj5ELj8E21rocsparse_complex_numIdEEEvi20rocsparse_direction_NS_24const_host_device_scalarIT2_EEPKiS8_PKS5_SA_S6_PS5_21rocsparse_index_base_b.kd
    .uniform_work_group_size: 1
    .uses_dynamic_stack: false
    .vgpr_count:     61
    .vgpr_spill_count: 0
    .wavefront_size: 32
    .workgroup_processor_mode: 1
  - .args:
      - .offset:         0
        .size:           4
        .value_kind:     by_value
      - .offset:         4
        .size:           4
        .value_kind:     by_value
      - .offset:         8
        .size:           16
        .value_kind:     by_value
      - .actual_access:  read_only
        .address_space:  global
        .offset:         24
        .size:           8
        .value_kind:     global_buffer
      - .actual_access:  read_only
        .address_space:  global
        .offset:         32
        .size:           8
        .value_kind:     global_buffer
      - .actual_access:  read_only
        .address_space:  global
        .offset:         40
        .size:           8
        .value_kind:     global_buffer
      - .actual_access:  read_only
        .address_space:  global
        .offset:         48
        .size:           8
        .value_kind:     global_buffer
      - .offset:         56
        .size:           16
        .value_kind:     by_value
      - .address_space:  global
        .offset:         72
        .size:           8
        .value_kind:     global_buffer
      - .offset:         80
        .size:           4
        .value_kind:     by_value
      - .offset:         84
        .size:           1
        .value_kind:     by_value
    .group_segment_fixed_size: 0
    .kernarg_segment_align: 8
    .kernarg_segment_size: 88
    .language:       OpenCL C
    .language_version:
      - 2
      - 0
    .max_flat_workgroup_size: 128
    .name:           _ZN9rocsparseL19gebsrmvn_1xn_kernelILj128ELj5ELj16E21rocsparse_complex_numIdEEEvi20rocsparse_direction_NS_24const_host_device_scalarIT2_EEPKiS8_PKS5_SA_S6_PS5_21rocsparse_index_base_b
    .private_segment_fixed_size: 0
    .sgpr_count:     15
    .sgpr_spill_count: 0
    .symbol:         _ZN9rocsparseL19gebsrmvn_1xn_kernelILj128ELj5ELj16E21rocsparse_complex_numIdEEEvi20rocsparse_direction_NS_24const_host_device_scalarIT2_EEPKiS8_PKS5_SA_S6_PS5_21rocsparse_index_base_b.kd
    .uniform_work_group_size: 1
    .uses_dynamic_stack: false
    .vgpr_count:     61
    .vgpr_spill_count: 0
    .wavefront_size: 32
    .workgroup_processor_mode: 1
  - .args:
      - .offset:         0
        .size:           4
        .value_kind:     by_value
      - .offset:         4
        .size:           4
        .value_kind:     by_value
      - .offset:         8
        .size:           16
        .value_kind:     by_value
      - .actual_access:  read_only
        .address_space:  global
        .offset:         24
        .size:           8
        .value_kind:     global_buffer
      - .actual_access:  read_only
        .address_space:  global
        .offset:         32
        .size:           8
        .value_kind:     global_buffer
      - .actual_access:  read_only
        .address_space:  global
        .offset:         40
        .size:           8
        .value_kind:     global_buffer
      - .actual_access:  read_only
        .address_space:  global
        .offset:         48
        .size:           8
        .value_kind:     global_buffer
      - .offset:         56
        .size:           16
        .value_kind:     by_value
      - .address_space:  global
        .offset:         72
        .size:           8
        .value_kind:     global_buffer
      - .offset:         80
        .size:           4
        .value_kind:     by_value
      - .offset:         84
        .size:           1
        .value_kind:     by_value
    .group_segment_fixed_size: 0
    .kernarg_segment_align: 8
    .kernarg_segment_size: 88
    .language:       OpenCL C
    .language_version:
      - 2
      - 0
    .max_flat_workgroup_size: 128
    .name:           _ZN9rocsparseL19gebsrmvn_1xn_kernelILj128ELj5ELj32E21rocsparse_complex_numIdEEEvi20rocsparse_direction_NS_24const_host_device_scalarIT2_EEPKiS8_PKS5_SA_S6_PS5_21rocsparse_index_base_b
    .private_segment_fixed_size: 0
    .sgpr_count:     15
    .sgpr_spill_count: 0
    .symbol:         _ZN9rocsparseL19gebsrmvn_1xn_kernelILj128ELj5ELj32E21rocsparse_complex_numIdEEEvi20rocsparse_direction_NS_24const_host_device_scalarIT2_EEPKiS8_PKS5_SA_S6_PS5_21rocsparse_index_base_b.kd
    .uniform_work_group_size: 1
    .uses_dynamic_stack: false
    .vgpr_count:     61
    .vgpr_spill_count: 0
    .wavefront_size: 32
    .workgroup_processor_mode: 1
  - .args:
      - .offset:         0
        .size:           4
        .value_kind:     by_value
      - .offset:         4
        .size:           4
        .value_kind:     by_value
      - .offset:         8
        .size:           16
        .value_kind:     by_value
      - .actual_access:  read_only
        .address_space:  global
        .offset:         24
        .size:           8
        .value_kind:     global_buffer
      - .actual_access:  read_only
        .address_space:  global
        .offset:         32
        .size:           8
        .value_kind:     global_buffer
      - .actual_access:  read_only
        .address_space:  global
        .offset:         40
        .size:           8
        .value_kind:     global_buffer
      - .actual_access:  read_only
        .address_space:  global
        .offset:         48
        .size:           8
        .value_kind:     global_buffer
      - .offset:         56
        .size:           16
        .value_kind:     by_value
      - .address_space:  global
        .offset:         72
        .size:           8
        .value_kind:     global_buffer
      - .offset:         80
        .size:           4
        .value_kind:     by_value
      - .offset:         84
        .size:           1
        .value_kind:     by_value
    .group_segment_fixed_size: 0
    .kernarg_segment_align: 8
    .kernarg_segment_size: 88
    .language:       OpenCL C
    .language_version:
      - 2
      - 0
    .max_flat_workgroup_size: 128
    .name:           _ZN9rocsparseL19gebsrmvn_1xn_kernelILj128ELj5ELj64E21rocsparse_complex_numIdEEEvi20rocsparse_direction_NS_24const_host_device_scalarIT2_EEPKiS8_PKS5_SA_S6_PS5_21rocsparse_index_base_b
    .private_segment_fixed_size: 0
    .sgpr_count:     15
    .sgpr_spill_count: 0
    .symbol:         _ZN9rocsparseL19gebsrmvn_1xn_kernelILj128ELj5ELj64E21rocsparse_complex_numIdEEEvi20rocsparse_direction_NS_24const_host_device_scalarIT2_EEPKiS8_PKS5_SA_S6_PS5_21rocsparse_index_base_b.kd
    .uniform_work_group_size: 1
    .uses_dynamic_stack: false
    .vgpr_count:     61
    .vgpr_spill_count: 0
    .wavefront_size: 32
    .workgroup_processor_mode: 1
  - .args:
      - .offset:         0
        .size:           4
        .value_kind:     by_value
      - .offset:         4
        .size:           4
        .value_kind:     by_value
      - .offset:         8
        .size:           16
        .value_kind:     by_value
      - .actual_access:  read_only
        .address_space:  global
        .offset:         24
        .size:           8
        .value_kind:     global_buffer
      - .actual_access:  read_only
        .address_space:  global
        .offset:         32
        .size:           8
        .value_kind:     global_buffer
      - .actual_access:  read_only
        .address_space:  global
        .offset:         40
        .size:           8
        .value_kind:     global_buffer
      - .actual_access:  read_only
        .address_space:  global
        .offset:         48
        .size:           8
        .value_kind:     global_buffer
      - .offset:         56
        .size:           16
        .value_kind:     by_value
      - .address_space:  global
        .offset:         72
        .size:           8
        .value_kind:     global_buffer
      - .offset:         80
        .size:           4
        .value_kind:     by_value
      - .offset:         84
        .size:           1
        .value_kind:     by_value
    .group_segment_fixed_size: 0
    .kernarg_segment_align: 8
    .kernarg_segment_size: 88
    .language:       OpenCL C
    .language_version:
      - 2
      - 0
    .max_flat_workgroup_size: 128
    .name:           _ZN9rocsparseL19gebsrmvn_1xn_kernelILj128ELj6ELj4E21rocsparse_complex_numIdEEEvi20rocsparse_direction_NS_24const_host_device_scalarIT2_EEPKiS8_PKS5_SA_S6_PS5_21rocsparse_index_base_b
    .private_segment_fixed_size: 0
    .sgpr_count:     15
    .sgpr_spill_count: 0
    .symbol:         _ZN9rocsparseL19gebsrmvn_1xn_kernelILj128ELj6ELj4E21rocsparse_complex_numIdEEEvi20rocsparse_direction_NS_24const_host_device_scalarIT2_EEPKiS8_PKS5_SA_S6_PS5_21rocsparse_index_base_b.kd
    .uniform_work_group_size: 1
    .uses_dynamic_stack: false
    .vgpr_count:     70
    .vgpr_spill_count: 0
    .wavefront_size: 32
    .workgroup_processor_mode: 1
  - .args:
      - .offset:         0
        .size:           4
        .value_kind:     by_value
      - .offset:         4
        .size:           4
        .value_kind:     by_value
      - .offset:         8
        .size:           16
        .value_kind:     by_value
      - .actual_access:  read_only
        .address_space:  global
        .offset:         24
        .size:           8
        .value_kind:     global_buffer
      - .actual_access:  read_only
        .address_space:  global
        .offset:         32
        .size:           8
        .value_kind:     global_buffer
      - .actual_access:  read_only
        .address_space:  global
        .offset:         40
        .size:           8
        .value_kind:     global_buffer
      - .actual_access:  read_only
        .address_space:  global
        .offset:         48
        .size:           8
        .value_kind:     global_buffer
      - .offset:         56
        .size:           16
        .value_kind:     by_value
      - .address_space:  global
        .offset:         72
        .size:           8
        .value_kind:     global_buffer
      - .offset:         80
        .size:           4
        .value_kind:     by_value
      - .offset:         84
        .size:           1
        .value_kind:     by_value
    .group_segment_fixed_size: 0
    .kernarg_segment_align: 8
    .kernarg_segment_size: 88
    .language:       OpenCL C
    .language_version:
      - 2
      - 0
    .max_flat_workgroup_size: 128
    .name:           _ZN9rocsparseL19gebsrmvn_1xn_kernelILj128ELj6ELj8E21rocsparse_complex_numIdEEEvi20rocsparse_direction_NS_24const_host_device_scalarIT2_EEPKiS8_PKS5_SA_S6_PS5_21rocsparse_index_base_b
    .private_segment_fixed_size: 0
    .sgpr_count:     15
    .sgpr_spill_count: 0
    .symbol:         _ZN9rocsparseL19gebsrmvn_1xn_kernelILj128ELj6ELj8E21rocsparse_complex_numIdEEEvi20rocsparse_direction_NS_24const_host_device_scalarIT2_EEPKiS8_PKS5_SA_S6_PS5_21rocsparse_index_base_b.kd
    .uniform_work_group_size: 1
    .uses_dynamic_stack: false
    .vgpr_count:     69
    .vgpr_spill_count: 0
    .wavefront_size: 32
    .workgroup_processor_mode: 1
  - .args:
      - .offset:         0
        .size:           4
        .value_kind:     by_value
      - .offset:         4
        .size:           4
        .value_kind:     by_value
      - .offset:         8
        .size:           16
        .value_kind:     by_value
      - .actual_access:  read_only
        .address_space:  global
        .offset:         24
        .size:           8
        .value_kind:     global_buffer
      - .actual_access:  read_only
        .address_space:  global
        .offset:         32
        .size:           8
        .value_kind:     global_buffer
      - .actual_access:  read_only
        .address_space:  global
        .offset:         40
        .size:           8
        .value_kind:     global_buffer
      - .actual_access:  read_only
        .address_space:  global
        .offset:         48
        .size:           8
        .value_kind:     global_buffer
      - .offset:         56
        .size:           16
        .value_kind:     by_value
      - .address_space:  global
        .offset:         72
        .size:           8
        .value_kind:     global_buffer
      - .offset:         80
        .size:           4
        .value_kind:     by_value
      - .offset:         84
        .size:           1
        .value_kind:     by_value
    .group_segment_fixed_size: 0
    .kernarg_segment_align: 8
    .kernarg_segment_size: 88
    .language:       OpenCL C
    .language_version:
      - 2
      - 0
    .max_flat_workgroup_size: 128
    .name:           _ZN9rocsparseL19gebsrmvn_1xn_kernelILj128ELj6ELj16E21rocsparse_complex_numIdEEEvi20rocsparse_direction_NS_24const_host_device_scalarIT2_EEPKiS8_PKS5_SA_S6_PS5_21rocsparse_index_base_b
    .private_segment_fixed_size: 0
    .sgpr_count:     15
    .sgpr_spill_count: 0
    .symbol:         _ZN9rocsparseL19gebsrmvn_1xn_kernelILj128ELj6ELj16E21rocsparse_complex_numIdEEEvi20rocsparse_direction_NS_24const_host_device_scalarIT2_EEPKiS8_PKS5_SA_S6_PS5_21rocsparse_index_base_b.kd
    .uniform_work_group_size: 1
    .uses_dynamic_stack: false
    .vgpr_count:     69
    .vgpr_spill_count: 0
    .wavefront_size: 32
    .workgroup_processor_mode: 1
  - .args:
      - .offset:         0
        .size:           4
        .value_kind:     by_value
      - .offset:         4
        .size:           4
        .value_kind:     by_value
      - .offset:         8
        .size:           16
        .value_kind:     by_value
      - .actual_access:  read_only
        .address_space:  global
        .offset:         24
        .size:           8
        .value_kind:     global_buffer
      - .actual_access:  read_only
        .address_space:  global
        .offset:         32
        .size:           8
        .value_kind:     global_buffer
      - .actual_access:  read_only
        .address_space:  global
        .offset:         40
        .size:           8
        .value_kind:     global_buffer
      - .actual_access:  read_only
        .address_space:  global
        .offset:         48
        .size:           8
        .value_kind:     global_buffer
      - .offset:         56
        .size:           16
        .value_kind:     by_value
      - .address_space:  global
        .offset:         72
        .size:           8
        .value_kind:     global_buffer
      - .offset:         80
        .size:           4
        .value_kind:     by_value
      - .offset:         84
        .size:           1
        .value_kind:     by_value
    .group_segment_fixed_size: 0
    .kernarg_segment_align: 8
    .kernarg_segment_size: 88
    .language:       OpenCL C
    .language_version:
      - 2
      - 0
    .max_flat_workgroup_size: 128
    .name:           _ZN9rocsparseL19gebsrmvn_1xn_kernelILj128ELj6ELj32E21rocsparse_complex_numIdEEEvi20rocsparse_direction_NS_24const_host_device_scalarIT2_EEPKiS8_PKS5_SA_S6_PS5_21rocsparse_index_base_b
    .private_segment_fixed_size: 0
    .sgpr_count:     15
    .sgpr_spill_count: 0
    .symbol:         _ZN9rocsparseL19gebsrmvn_1xn_kernelILj128ELj6ELj32E21rocsparse_complex_numIdEEEvi20rocsparse_direction_NS_24const_host_device_scalarIT2_EEPKiS8_PKS5_SA_S6_PS5_21rocsparse_index_base_b.kd
    .uniform_work_group_size: 1
    .uses_dynamic_stack: false
    .vgpr_count:     69
    .vgpr_spill_count: 0
    .wavefront_size: 32
    .workgroup_processor_mode: 1
  - .args:
      - .offset:         0
        .size:           4
        .value_kind:     by_value
      - .offset:         4
        .size:           4
        .value_kind:     by_value
      - .offset:         8
        .size:           16
        .value_kind:     by_value
      - .actual_access:  read_only
        .address_space:  global
        .offset:         24
        .size:           8
        .value_kind:     global_buffer
      - .actual_access:  read_only
        .address_space:  global
        .offset:         32
        .size:           8
        .value_kind:     global_buffer
      - .actual_access:  read_only
        .address_space:  global
        .offset:         40
        .size:           8
        .value_kind:     global_buffer
      - .actual_access:  read_only
        .address_space:  global
        .offset:         48
        .size:           8
        .value_kind:     global_buffer
      - .offset:         56
        .size:           16
        .value_kind:     by_value
      - .address_space:  global
        .offset:         72
        .size:           8
        .value_kind:     global_buffer
      - .offset:         80
        .size:           4
        .value_kind:     by_value
      - .offset:         84
        .size:           1
        .value_kind:     by_value
    .group_segment_fixed_size: 0
    .kernarg_segment_align: 8
    .kernarg_segment_size: 88
    .language:       OpenCL C
    .language_version:
      - 2
      - 0
    .max_flat_workgroup_size: 128
    .name:           _ZN9rocsparseL19gebsrmvn_1xn_kernelILj128ELj6ELj64E21rocsparse_complex_numIdEEEvi20rocsparse_direction_NS_24const_host_device_scalarIT2_EEPKiS8_PKS5_SA_S6_PS5_21rocsparse_index_base_b
    .private_segment_fixed_size: 0
    .sgpr_count:     15
    .sgpr_spill_count: 0
    .symbol:         _ZN9rocsparseL19gebsrmvn_1xn_kernelILj128ELj6ELj64E21rocsparse_complex_numIdEEEvi20rocsparse_direction_NS_24const_host_device_scalarIT2_EEPKiS8_PKS5_SA_S6_PS5_21rocsparse_index_base_b.kd
    .uniform_work_group_size: 1
    .uses_dynamic_stack: false
    .vgpr_count:     69
    .vgpr_spill_count: 0
    .wavefront_size: 32
    .workgroup_processor_mode: 1
  - .args:
      - .offset:         0
        .size:           4
        .value_kind:     by_value
      - .offset:         4
        .size:           4
        .value_kind:     by_value
      - .offset:         8
        .size:           16
        .value_kind:     by_value
      - .actual_access:  read_only
        .address_space:  global
        .offset:         24
        .size:           8
        .value_kind:     global_buffer
      - .actual_access:  read_only
        .address_space:  global
        .offset:         32
        .size:           8
        .value_kind:     global_buffer
      - .actual_access:  read_only
        .address_space:  global
        .offset:         40
        .size:           8
        .value_kind:     global_buffer
      - .actual_access:  read_only
        .address_space:  global
        .offset:         48
        .size:           8
        .value_kind:     global_buffer
      - .offset:         56
        .size:           16
        .value_kind:     by_value
      - .address_space:  global
        .offset:         72
        .size:           8
        .value_kind:     global_buffer
      - .offset:         80
        .size:           4
        .value_kind:     by_value
      - .offset:         84
        .size:           1
        .value_kind:     by_value
    .group_segment_fixed_size: 0
    .kernarg_segment_align: 8
    .kernarg_segment_size: 88
    .language:       OpenCL C
    .language_version:
      - 2
      - 0
    .max_flat_workgroup_size: 128
    .name:           _ZN9rocsparseL19gebsrmvn_1xn_kernelILj128ELj7ELj4E21rocsparse_complex_numIdEEEvi20rocsparse_direction_NS_24const_host_device_scalarIT2_EEPKiS8_PKS5_SA_S6_PS5_21rocsparse_index_base_b
    .private_segment_fixed_size: 0
    .sgpr_count:     15
    .sgpr_spill_count: 0
    .symbol:         _ZN9rocsparseL19gebsrmvn_1xn_kernelILj128ELj7ELj4E21rocsparse_complex_numIdEEEvi20rocsparse_direction_NS_24const_host_device_scalarIT2_EEPKiS8_PKS5_SA_S6_PS5_21rocsparse_index_base_b.kd
    .uniform_work_group_size: 1
    .uses_dynamic_stack: false
    .vgpr_count:     72
    .vgpr_spill_count: 0
    .wavefront_size: 32
    .workgroup_processor_mode: 1
  - .args:
      - .offset:         0
        .size:           4
        .value_kind:     by_value
      - .offset:         4
        .size:           4
        .value_kind:     by_value
      - .offset:         8
        .size:           16
        .value_kind:     by_value
      - .actual_access:  read_only
        .address_space:  global
        .offset:         24
        .size:           8
        .value_kind:     global_buffer
      - .actual_access:  read_only
        .address_space:  global
        .offset:         32
        .size:           8
        .value_kind:     global_buffer
      - .actual_access:  read_only
        .address_space:  global
        .offset:         40
        .size:           8
        .value_kind:     global_buffer
      - .actual_access:  read_only
        .address_space:  global
        .offset:         48
        .size:           8
        .value_kind:     global_buffer
      - .offset:         56
        .size:           16
        .value_kind:     by_value
      - .address_space:  global
        .offset:         72
        .size:           8
        .value_kind:     global_buffer
      - .offset:         80
        .size:           4
        .value_kind:     by_value
      - .offset:         84
        .size:           1
        .value_kind:     by_value
    .group_segment_fixed_size: 0
    .kernarg_segment_align: 8
    .kernarg_segment_size: 88
    .language:       OpenCL C
    .language_version:
      - 2
      - 0
    .max_flat_workgroup_size: 128
    .name:           _ZN9rocsparseL19gebsrmvn_1xn_kernelILj128ELj7ELj8E21rocsparse_complex_numIdEEEvi20rocsparse_direction_NS_24const_host_device_scalarIT2_EEPKiS8_PKS5_SA_S6_PS5_21rocsparse_index_base_b
    .private_segment_fixed_size: 0
    .sgpr_count:     15
    .sgpr_spill_count: 0
    .symbol:         _ZN9rocsparseL19gebsrmvn_1xn_kernelILj128ELj7ELj8E21rocsparse_complex_numIdEEEvi20rocsparse_direction_NS_24const_host_device_scalarIT2_EEPKiS8_PKS5_SA_S6_PS5_21rocsparse_index_base_b.kd
    .uniform_work_group_size: 1
    .uses_dynamic_stack: false
    .vgpr_count:     72
    .vgpr_spill_count: 0
    .wavefront_size: 32
    .workgroup_processor_mode: 1
  - .args:
      - .offset:         0
        .size:           4
        .value_kind:     by_value
      - .offset:         4
        .size:           4
        .value_kind:     by_value
      - .offset:         8
        .size:           16
        .value_kind:     by_value
      - .actual_access:  read_only
        .address_space:  global
        .offset:         24
        .size:           8
        .value_kind:     global_buffer
      - .actual_access:  read_only
        .address_space:  global
        .offset:         32
        .size:           8
        .value_kind:     global_buffer
      - .actual_access:  read_only
        .address_space:  global
        .offset:         40
        .size:           8
        .value_kind:     global_buffer
      - .actual_access:  read_only
        .address_space:  global
        .offset:         48
        .size:           8
        .value_kind:     global_buffer
      - .offset:         56
        .size:           16
        .value_kind:     by_value
      - .address_space:  global
        .offset:         72
        .size:           8
        .value_kind:     global_buffer
      - .offset:         80
        .size:           4
        .value_kind:     by_value
      - .offset:         84
        .size:           1
        .value_kind:     by_value
    .group_segment_fixed_size: 0
    .kernarg_segment_align: 8
    .kernarg_segment_size: 88
    .language:       OpenCL C
    .language_version:
      - 2
      - 0
    .max_flat_workgroup_size: 128
    .name:           _ZN9rocsparseL19gebsrmvn_1xn_kernelILj128ELj7ELj16E21rocsparse_complex_numIdEEEvi20rocsparse_direction_NS_24const_host_device_scalarIT2_EEPKiS8_PKS5_SA_S6_PS5_21rocsparse_index_base_b
    .private_segment_fixed_size: 0
    .sgpr_count:     15
    .sgpr_spill_count: 0
    .symbol:         _ZN9rocsparseL19gebsrmvn_1xn_kernelILj128ELj7ELj16E21rocsparse_complex_numIdEEEvi20rocsparse_direction_NS_24const_host_device_scalarIT2_EEPKiS8_PKS5_SA_S6_PS5_21rocsparse_index_base_b.kd
    .uniform_work_group_size: 1
    .uses_dynamic_stack: false
    .vgpr_count:     72
    .vgpr_spill_count: 0
    .wavefront_size: 32
    .workgroup_processor_mode: 1
  - .args:
      - .offset:         0
        .size:           4
        .value_kind:     by_value
      - .offset:         4
        .size:           4
        .value_kind:     by_value
      - .offset:         8
        .size:           16
        .value_kind:     by_value
      - .actual_access:  read_only
        .address_space:  global
        .offset:         24
        .size:           8
        .value_kind:     global_buffer
      - .actual_access:  read_only
        .address_space:  global
        .offset:         32
        .size:           8
        .value_kind:     global_buffer
      - .actual_access:  read_only
        .address_space:  global
        .offset:         40
        .size:           8
        .value_kind:     global_buffer
      - .actual_access:  read_only
        .address_space:  global
        .offset:         48
        .size:           8
        .value_kind:     global_buffer
      - .offset:         56
        .size:           16
        .value_kind:     by_value
      - .address_space:  global
        .offset:         72
        .size:           8
        .value_kind:     global_buffer
      - .offset:         80
        .size:           4
        .value_kind:     by_value
      - .offset:         84
        .size:           1
        .value_kind:     by_value
    .group_segment_fixed_size: 0
    .kernarg_segment_align: 8
    .kernarg_segment_size: 88
    .language:       OpenCL C
    .language_version:
      - 2
      - 0
    .max_flat_workgroup_size: 128
    .name:           _ZN9rocsparseL19gebsrmvn_1xn_kernelILj128ELj7ELj32E21rocsparse_complex_numIdEEEvi20rocsparse_direction_NS_24const_host_device_scalarIT2_EEPKiS8_PKS5_SA_S6_PS5_21rocsparse_index_base_b
    .private_segment_fixed_size: 0
    .sgpr_count:     15
    .sgpr_spill_count: 0
    .symbol:         _ZN9rocsparseL19gebsrmvn_1xn_kernelILj128ELj7ELj32E21rocsparse_complex_numIdEEEvi20rocsparse_direction_NS_24const_host_device_scalarIT2_EEPKiS8_PKS5_SA_S6_PS5_21rocsparse_index_base_b.kd
    .uniform_work_group_size: 1
    .uses_dynamic_stack: false
    .vgpr_count:     72
    .vgpr_spill_count: 0
    .wavefront_size: 32
    .workgroup_processor_mode: 1
  - .args:
      - .offset:         0
        .size:           4
        .value_kind:     by_value
      - .offset:         4
        .size:           4
        .value_kind:     by_value
      - .offset:         8
        .size:           16
        .value_kind:     by_value
      - .actual_access:  read_only
        .address_space:  global
        .offset:         24
        .size:           8
        .value_kind:     global_buffer
      - .actual_access:  read_only
        .address_space:  global
        .offset:         32
        .size:           8
        .value_kind:     global_buffer
      - .actual_access:  read_only
        .address_space:  global
        .offset:         40
        .size:           8
        .value_kind:     global_buffer
      - .actual_access:  read_only
        .address_space:  global
        .offset:         48
        .size:           8
        .value_kind:     global_buffer
      - .offset:         56
        .size:           16
        .value_kind:     by_value
      - .address_space:  global
        .offset:         72
        .size:           8
        .value_kind:     global_buffer
      - .offset:         80
        .size:           4
        .value_kind:     by_value
      - .offset:         84
        .size:           1
        .value_kind:     by_value
    .group_segment_fixed_size: 0
    .kernarg_segment_align: 8
    .kernarg_segment_size: 88
    .language:       OpenCL C
    .language_version:
      - 2
      - 0
    .max_flat_workgroup_size: 128
    .name:           _ZN9rocsparseL19gebsrmvn_1xn_kernelILj128ELj7ELj64E21rocsparse_complex_numIdEEEvi20rocsparse_direction_NS_24const_host_device_scalarIT2_EEPKiS8_PKS5_SA_S6_PS5_21rocsparse_index_base_b
    .private_segment_fixed_size: 0
    .sgpr_count:     15
    .sgpr_spill_count: 0
    .symbol:         _ZN9rocsparseL19gebsrmvn_1xn_kernelILj128ELj7ELj64E21rocsparse_complex_numIdEEEvi20rocsparse_direction_NS_24const_host_device_scalarIT2_EEPKiS8_PKS5_SA_S6_PS5_21rocsparse_index_base_b.kd
    .uniform_work_group_size: 1
    .uses_dynamic_stack: false
    .vgpr_count:     71
    .vgpr_spill_count: 0
    .wavefront_size: 32
    .workgroup_processor_mode: 1
  - .args:
      - .offset:         0
        .size:           4
        .value_kind:     by_value
      - .offset:         4
        .size:           4
        .value_kind:     by_value
      - .offset:         8
        .size:           16
        .value_kind:     by_value
      - .actual_access:  read_only
        .address_space:  global
        .offset:         24
        .size:           8
        .value_kind:     global_buffer
      - .actual_access:  read_only
        .address_space:  global
        .offset:         32
        .size:           8
        .value_kind:     global_buffer
      - .actual_access:  read_only
        .address_space:  global
        .offset:         40
        .size:           8
        .value_kind:     global_buffer
      - .actual_access:  read_only
        .address_space:  global
        .offset:         48
        .size:           8
        .value_kind:     global_buffer
      - .offset:         56
        .size:           16
        .value_kind:     by_value
      - .address_space:  global
        .offset:         72
        .size:           8
        .value_kind:     global_buffer
      - .offset:         80
        .size:           4
        .value_kind:     by_value
      - .offset:         84
        .size:           1
        .value_kind:     by_value
    .group_segment_fixed_size: 0
    .kernarg_segment_align: 8
    .kernarg_segment_size: 88
    .language:       OpenCL C
    .language_version:
      - 2
      - 0
    .max_flat_workgroup_size: 128
    .name:           _ZN9rocsparseL19gebsrmvn_1xn_kernelILj128ELj8ELj4E21rocsparse_complex_numIdEEEvi20rocsparse_direction_NS_24const_host_device_scalarIT2_EEPKiS8_PKS5_SA_S6_PS5_21rocsparse_index_base_b
    .private_segment_fixed_size: 0
    .sgpr_count:     15
    .sgpr_spill_count: 0
    .symbol:         _ZN9rocsparseL19gebsrmvn_1xn_kernelILj128ELj8ELj4E21rocsparse_complex_numIdEEEvi20rocsparse_direction_NS_24const_host_device_scalarIT2_EEPKiS8_PKS5_SA_S6_PS5_21rocsparse_index_base_b.kd
    .uniform_work_group_size: 1
    .uses_dynamic_stack: false
    .vgpr_count:     84
    .vgpr_spill_count: 0
    .wavefront_size: 32
    .workgroup_processor_mode: 1
  - .args:
      - .offset:         0
        .size:           4
        .value_kind:     by_value
      - .offset:         4
        .size:           4
        .value_kind:     by_value
      - .offset:         8
        .size:           16
        .value_kind:     by_value
      - .actual_access:  read_only
        .address_space:  global
        .offset:         24
        .size:           8
        .value_kind:     global_buffer
      - .actual_access:  read_only
        .address_space:  global
        .offset:         32
        .size:           8
        .value_kind:     global_buffer
      - .actual_access:  read_only
        .address_space:  global
        .offset:         40
        .size:           8
        .value_kind:     global_buffer
      - .actual_access:  read_only
        .address_space:  global
        .offset:         48
        .size:           8
        .value_kind:     global_buffer
      - .offset:         56
        .size:           16
        .value_kind:     by_value
      - .address_space:  global
        .offset:         72
        .size:           8
        .value_kind:     global_buffer
      - .offset:         80
        .size:           4
        .value_kind:     by_value
      - .offset:         84
        .size:           1
        .value_kind:     by_value
    .group_segment_fixed_size: 0
    .kernarg_segment_align: 8
    .kernarg_segment_size: 88
    .language:       OpenCL C
    .language_version:
      - 2
      - 0
    .max_flat_workgroup_size: 128
    .name:           _ZN9rocsparseL19gebsrmvn_1xn_kernelILj128ELj8ELj8E21rocsparse_complex_numIdEEEvi20rocsparse_direction_NS_24const_host_device_scalarIT2_EEPKiS8_PKS5_SA_S6_PS5_21rocsparse_index_base_b
    .private_segment_fixed_size: 0
    .sgpr_count:     15
    .sgpr_spill_count: 0
    .symbol:         _ZN9rocsparseL19gebsrmvn_1xn_kernelILj128ELj8ELj8E21rocsparse_complex_numIdEEEvi20rocsparse_direction_NS_24const_host_device_scalarIT2_EEPKiS8_PKS5_SA_S6_PS5_21rocsparse_index_base_b.kd
    .uniform_work_group_size: 1
    .uses_dynamic_stack: false
    .vgpr_count:     84
    .vgpr_spill_count: 0
    .wavefront_size: 32
    .workgroup_processor_mode: 1
  - .args:
      - .offset:         0
        .size:           4
        .value_kind:     by_value
      - .offset:         4
        .size:           4
        .value_kind:     by_value
      - .offset:         8
        .size:           16
        .value_kind:     by_value
      - .actual_access:  read_only
        .address_space:  global
        .offset:         24
        .size:           8
        .value_kind:     global_buffer
      - .actual_access:  read_only
        .address_space:  global
        .offset:         32
        .size:           8
        .value_kind:     global_buffer
      - .actual_access:  read_only
        .address_space:  global
        .offset:         40
        .size:           8
        .value_kind:     global_buffer
      - .actual_access:  read_only
        .address_space:  global
        .offset:         48
        .size:           8
        .value_kind:     global_buffer
      - .offset:         56
        .size:           16
        .value_kind:     by_value
      - .address_space:  global
        .offset:         72
        .size:           8
        .value_kind:     global_buffer
      - .offset:         80
        .size:           4
        .value_kind:     by_value
      - .offset:         84
        .size:           1
        .value_kind:     by_value
    .group_segment_fixed_size: 0
    .kernarg_segment_align: 8
    .kernarg_segment_size: 88
    .language:       OpenCL C
    .language_version:
      - 2
      - 0
    .max_flat_workgroup_size: 128
    .name:           _ZN9rocsparseL19gebsrmvn_1xn_kernelILj128ELj8ELj16E21rocsparse_complex_numIdEEEvi20rocsparse_direction_NS_24const_host_device_scalarIT2_EEPKiS8_PKS5_SA_S6_PS5_21rocsparse_index_base_b
    .private_segment_fixed_size: 0
    .sgpr_count:     15
    .sgpr_spill_count: 0
    .symbol:         _ZN9rocsparseL19gebsrmvn_1xn_kernelILj128ELj8ELj16E21rocsparse_complex_numIdEEEvi20rocsparse_direction_NS_24const_host_device_scalarIT2_EEPKiS8_PKS5_SA_S6_PS5_21rocsparse_index_base_b.kd
    .uniform_work_group_size: 1
    .uses_dynamic_stack: false
    .vgpr_count:     84
    .vgpr_spill_count: 0
    .wavefront_size: 32
    .workgroup_processor_mode: 1
  - .args:
      - .offset:         0
        .size:           4
        .value_kind:     by_value
      - .offset:         4
        .size:           4
        .value_kind:     by_value
      - .offset:         8
        .size:           16
        .value_kind:     by_value
      - .actual_access:  read_only
        .address_space:  global
        .offset:         24
        .size:           8
        .value_kind:     global_buffer
      - .actual_access:  read_only
        .address_space:  global
        .offset:         32
        .size:           8
        .value_kind:     global_buffer
      - .actual_access:  read_only
        .address_space:  global
        .offset:         40
        .size:           8
        .value_kind:     global_buffer
      - .actual_access:  read_only
        .address_space:  global
        .offset:         48
        .size:           8
        .value_kind:     global_buffer
      - .offset:         56
        .size:           16
        .value_kind:     by_value
      - .address_space:  global
        .offset:         72
        .size:           8
        .value_kind:     global_buffer
      - .offset:         80
        .size:           4
        .value_kind:     by_value
      - .offset:         84
        .size:           1
        .value_kind:     by_value
    .group_segment_fixed_size: 0
    .kernarg_segment_align: 8
    .kernarg_segment_size: 88
    .language:       OpenCL C
    .language_version:
      - 2
      - 0
    .max_flat_workgroup_size: 128
    .name:           _ZN9rocsparseL19gebsrmvn_1xn_kernelILj128ELj8ELj32E21rocsparse_complex_numIdEEEvi20rocsparse_direction_NS_24const_host_device_scalarIT2_EEPKiS8_PKS5_SA_S6_PS5_21rocsparse_index_base_b
    .private_segment_fixed_size: 0
    .sgpr_count:     15
    .sgpr_spill_count: 0
    .symbol:         _ZN9rocsparseL19gebsrmvn_1xn_kernelILj128ELj8ELj32E21rocsparse_complex_numIdEEEvi20rocsparse_direction_NS_24const_host_device_scalarIT2_EEPKiS8_PKS5_SA_S6_PS5_21rocsparse_index_base_b.kd
    .uniform_work_group_size: 1
    .uses_dynamic_stack: false
    .vgpr_count:     84
    .vgpr_spill_count: 0
    .wavefront_size: 32
    .workgroup_processor_mode: 1
  - .args:
      - .offset:         0
        .size:           4
        .value_kind:     by_value
      - .offset:         4
        .size:           4
        .value_kind:     by_value
      - .offset:         8
        .size:           16
        .value_kind:     by_value
      - .actual_access:  read_only
        .address_space:  global
        .offset:         24
        .size:           8
        .value_kind:     global_buffer
      - .actual_access:  read_only
        .address_space:  global
        .offset:         32
        .size:           8
        .value_kind:     global_buffer
      - .actual_access:  read_only
        .address_space:  global
        .offset:         40
        .size:           8
        .value_kind:     global_buffer
      - .actual_access:  read_only
        .address_space:  global
        .offset:         48
        .size:           8
        .value_kind:     global_buffer
      - .offset:         56
        .size:           16
        .value_kind:     by_value
      - .address_space:  global
        .offset:         72
        .size:           8
        .value_kind:     global_buffer
      - .offset:         80
        .size:           4
        .value_kind:     by_value
      - .offset:         84
        .size:           1
        .value_kind:     by_value
    .group_segment_fixed_size: 0
    .kernarg_segment_align: 8
    .kernarg_segment_size: 88
    .language:       OpenCL C
    .language_version:
      - 2
      - 0
    .max_flat_workgroup_size: 128
    .name:           _ZN9rocsparseL19gebsrmvn_1xn_kernelILj128ELj8ELj64E21rocsparse_complex_numIdEEEvi20rocsparse_direction_NS_24const_host_device_scalarIT2_EEPKiS8_PKS5_SA_S6_PS5_21rocsparse_index_base_b
    .private_segment_fixed_size: 0
    .sgpr_count:     15
    .sgpr_spill_count: 0
    .symbol:         _ZN9rocsparseL19gebsrmvn_1xn_kernelILj128ELj8ELj64E21rocsparse_complex_numIdEEEvi20rocsparse_direction_NS_24const_host_device_scalarIT2_EEPKiS8_PKS5_SA_S6_PS5_21rocsparse_index_base_b.kd
    .uniform_work_group_size: 1
    .uses_dynamic_stack: false
    .vgpr_count:     84
    .vgpr_spill_count: 0
    .wavefront_size: 32
    .workgroup_processor_mode: 1
  - .args:
      - .offset:         0
        .size:           4
        .value_kind:     by_value
      - .offset:         4
        .size:           4
        .value_kind:     by_value
      - .offset:         8
        .size:           16
        .value_kind:     by_value
      - .actual_access:  read_only
        .address_space:  global
        .offset:         24
        .size:           8
        .value_kind:     global_buffer
      - .actual_access:  read_only
        .address_space:  global
        .offset:         32
        .size:           8
        .value_kind:     global_buffer
      - .actual_access:  read_only
        .address_space:  global
        .offset:         40
        .size:           8
        .value_kind:     global_buffer
      - .actual_access:  read_only
        .address_space:  global
        .offset:         48
        .size:           8
        .value_kind:     global_buffer
      - .offset:         56
        .size:           16
        .value_kind:     by_value
      - .address_space:  global
        .offset:         72
        .size:           8
        .value_kind:     global_buffer
      - .offset:         80
        .size:           4
        .value_kind:     by_value
      - .offset:         84
        .size:           1
        .value_kind:     by_value
    .group_segment_fixed_size: 0
    .kernarg_segment_align: 8
    .kernarg_segment_size: 88
    .language:       OpenCL C
    .language_version:
      - 2
      - 0
    .max_flat_workgroup_size: 128
    .name:           _ZN9rocsparseL19gebsrmvn_1xn_kernelILj128ELj9ELj4E21rocsparse_complex_numIdEEEvi20rocsparse_direction_NS_24const_host_device_scalarIT2_EEPKiS8_PKS5_SA_S6_PS5_21rocsparse_index_base_b
    .private_segment_fixed_size: 0
    .sgpr_count:     15
    .sgpr_spill_count: 0
    .symbol:         _ZN9rocsparseL19gebsrmvn_1xn_kernelILj128ELj9ELj4E21rocsparse_complex_numIdEEEvi20rocsparse_direction_NS_24const_host_device_scalarIT2_EEPKiS8_PKS5_SA_S6_PS5_21rocsparse_index_base_b.kd
    .uniform_work_group_size: 1
    .uses_dynamic_stack: false
    .vgpr_count:     72
    .vgpr_spill_count: 0
    .wavefront_size: 32
    .workgroup_processor_mode: 1
  - .args:
      - .offset:         0
        .size:           4
        .value_kind:     by_value
      - .offset:         4
        .size:           4
        .value_kind:     by_value
      - .offset:         8
        .size:           16
        .value_kind:     by_value
      - .actual_access:  read_only
        .address_space:  global
        .offset:         24
        .size:           8
        .value_kind:     global_buffer
      - .actual_access:  read_only
        .address_space:  global
        .offset:         32
        .size:           8
        .value_kind:     global_buffer
      - .actual_access:  read_only
        .address_space:  global
        .offset:         40
        .size:           8
        .value_kind:     global_buffer
      - .actual_access:  read_only
        .address_space:  global
        .offset:         48
        .size:           8
        .value_kind:     global_buffer
      - .offset:         56
        .size:           16
        .value_kind:     by_value
      - .address_space:  global
        .offset:         72
        .size:           8
        .value_kind:     global_buffer
      - .offset:         80
        .size:           4
        .value_kind:     by_value
      - .offset:         84
        .size:           1
        .value_kind:     by_value
    .group_segment_fixed_size: 0
    .kernarg_segment_align: 8
    .kernarg_segment_size: 88
    .language:       OpenCL C
    .language_version:
      - 2
      - 0
    .max_flat_workgroup_size: 128
    .name:           _ZN9rocsparseL19gebsrmvn_1xn_kernelILj128ELj9ELj8E21rocsparse_complex_numIdEEEvi20rocsparse_direction_NS_24const_host_device_scalarIT2_EEPKiS8_PKS5_SA_S6_PS5_21rocsparse_index_base_b
    .private_segment_fixed_size: 0
    .sgpr_count:     15
    .sgpr_spill_count: 0
    .symbol:         _ZN9rocsparseL19gebsrmvn_1xn_kernelILj128ELj9ELj8E21rocsparse_complex_numIdEEEvi20rocsparse_direction_NS_24const_host_device_scalarIT2_EEPKiS8_PKS5_SA_S6_PS5_21rocsparse_index_base_b.kd
    .uniform_work_group_size: 1
    .uses_dynamic_stack: false
    .vgpr_count:     72
    .vgpr_spill_count: 0
    .wavefront_size: 32
    .workgroup_processor_mode: 1
  - .args:
      - .offset:         0
        .size:           4
        .value_kind:     by_value
      - .offset:         4
        .size:           4
        .value_kind:     by_value
      - .offset:         8
        .size:           16
        .value_kind:     by_value
      - .actual_access:  read_only
        .address_space:  global
        .offset:         24
        .size:           8
        .value_kind:     global_buffer
      - .actual_access:  read_only
        .address_space:  global
        .offset:         32
        .size:           8
        .value_kind:     global_buffer
      - .actual_access:  read_only
        .address_space:  global
        .offset:         40
        .size:           8
        .value_kind:     global_buffer
      - .actual_access:  read_only
        .address_space:  global
        .offset:         48
        .size:           8
        .value_kind:     global_buffer
      - .offset:         56
        .size:           16
        .value_kind:     by_value
      - .address_space:  global
        .offset:         72
        .size:           8
        .value_kind:     global_buffer
      - .offset:         80
        .size:           4
        .value_kind:     by_value
      - .offset:         84
        .size:           1
        .value_kind:     by_value
    .group_segment_fixed_size: 0
    .kernarg_segment_align: 8
    .kernarg_segment_size: 88
    .language:       OpenCL C
    .language_version:
      - 2
      - 0
    .max_flat_workgroup_size: 128
    .name:           _ZN9rocsparseL19gebsrmvn_1xn_kernelILj128ELj9ELj16E21rocsparse_complex_numIdEEEvi20rocsparse_direction_NS_24const_host_device_scalarIT2_EEPKiS8_PKS5_SA_S6_PS5_21rocsparse_index_base_b
    .private_segment_fixed_size: 0
    .sgpr_count:     15
    .sgpr_spill_count: 0
    .symbol:         _ZN9rocsparseL19gebsrmvn_1xn_kernelILj128ELj9ELj16E21rocsparse_complex_numIdEEEvi20rocsparse_direction_NS_24const_host_device_scalarIT2_EEPKiS8_PKS5_SA_S6_PS5_21rocsparse_index_base_b.kd
    .uniform_work_group_size: 1
    .uses_dynamic_stack: false
    .vgpr_count:     72
    .vgpr_spill_count: 0
    .wavefront_size: 32
    .workgroup_processor_mode: 1
  - .args:
      - .offset:         0
        .size:           4
        .value_kind:     by_value
      - .offset:         4
        .size:           4
        .value_kind:     by_value
      - .offset:         8
        .size:           16
        .value_kind:     by_value
      - .actual_access:  read_only
        .address_space:  global
        .offset:         24
        .size:           8
        .value_kind:     global_buffer
      - .actual_access:  read_only
        .address_space:  global
        .offset:         32
        .size:           8
        .value_kind:     global_buffer
      - .actual_access:  read_only
        .address_space:  global
        .offset:         40
        .size:           8
        .value_kind:     global_buffer
      - .actual_access:  read_only
        .address_space:  global
        .offset:         48
        .size:           8
        .value_kind:     global_buffer
      - .offset:         56
        .size:           16
        .value_kind:     by_value
      - .address_space:  global
        .offset:         72
        .size:           8
        .value_kind:     global_buffer
      - .offset:         80
        .size:           4
        .value_kind:     by_value
      - .offset:         84
        .size:           1
        .value_kind:     by_value
    .group_segment_fixed_size: 0
    .kernarg_segment_align: 8
    .kernarg_segment_size: 88
    .language:       OpenCL C
    .language_version:
      - 2
      - 0
    .max_flat_workgroup_size: 128
    .name:           _ZN9rocsparseL19gebsrmvn_1xn_kernelILj128ELj9ELj32E21rocsparse_complex_numIdEEEvi20rocsparse_direction_NS_24const_host_device_scalarIT2_EEPKiS8_PKS5_SA_S6_PS5_21rocsparse_index_base_b
    .private_segment_fixed_size: 0
    .sgpr_count:     15
    .sgpr_spill_count: 0
    .symbol:         _ZN9rocsparseL19gebsrmvn_1xn_kernelILj128ELj9ELj32E21rocsparse_complex_numIdEEEvi20rocsparse_direction_NS_24const_host_device_scalarIT2_EEPKiS8_PKS5_SA_S6_PS5_21rocsparse_index_base_b.kd
    .uniform_work_group_size: 1
    .uses_dynamic_stack: false
    .vgpr_count:     72
    .vgpr_spill_count: 0
    .wavefront_size: 32
    .workgroup_processor_mode: 1
  - .args:
      - .offset:         0
        .size:           4
        .value_kind:     by_value
      - .offset:         4
        .size:           4
        .value_kind:     by_value
      - .offset:         8
        .size:           16
        .value_kind:     by_value
      - .actual_access:  read_only
        .address_space:  global
        .offset:         24
        .size:           8
        .value_kind:     global_buffer
      - .actual_access:  read_only
        .address_space:  global
        .offset:         32
        .size:           8
        .value_kind:     global_buffer
      - .actual_access:  read_only
        .address_space:  global
        .offset:         40
        .size:           8
        .value_kind:     global_buffer
      - .actual_access:  read_only
        .address_space:  global
        .offset:         48
        .size:           8
        .value_kind:     global_buffer
      - .offset:         56
        .size:           16
        .value_kind:     by_value
      - .address_space:  global
        .offset:         72
        .size:           8
        .value_kind:     global_buffer
      - .offset:         80
        .size:           4
        .value_kind:     by_value
      - .offset:         84
        .size:           1
        .value_kind:     by_value
    .group_segment_fixed_size: 0
    .kernarg_segment_align: 8
    .kernarg_segment_size: 88
    .language:       OpenCL C
    .language_version:
      - 2
      - 0
    .max_flat_workgroup_size: 128
    .name:           _ZN9rocsparseL19gebsrmvn_1xn_kernelILj128ELj9ELj64E21rocsparse_complex_numIdEEEvi20rocsparse_direction_NS_24const_host_device_scalarIT2_EEPKiS8_PKS5_SA_S6_PS5_21rocsparse_index_base_b
    .private_segment_fixed_size: 0
    .sgpr_count:     15
    .sgpr_spill_count: 0
    .symbol:         _ZN9rocsparseL19gebsrmvn_1xn_kernelILj128ELj9ELj64E21rocsparse_complex_numIdEEEvi20rocsparse_direction_NS_24const_host_device_scalarIT2_EEPKiS8_PKS5_SA_S6_PS5_21rocsparse_index_base_b.kd
    .uniform_work_group_size: 1
    .uses_dynamic_stack: false
    .vgpr_count:     72
    .vgpr_spill_count: 0
    .wavefront_size: 32
    .workgroup_processor_mode: 1
  - .args:
      - .offset:         0
        .size:           4
        .value_kind:     by_value
      - .offset:         4
        .size:           4
        .value_kind:     by_value
      - .offset:         8
        .size:           16
        .value_kind:     by_value
      - .actual_access:  read_only
        .address_space:  global
        .offset:         24
        .size:           8
        .value_kind:     global_buffer
      - .actual_access:  read_only
        .address_space:  global
        .offset:         32
        .size:           8
        .value_kind:     global_buffer
      - .actual_access:  read_only
        .address_space:  global
        .offset:         40
        .size:           8
        .value_kind:     global_buffer
      - .actual_access:  read_only
        .address_space:  global
        .offset:         48
        .size:           8
        .value_kind:     global_buffer
      - .offset:         56
        .size:           16
        .value_kind:     by_value
      - .address_space:  global
        .offset:         72
        .size:           8
        .value_kind:     global_buffer
      - .offset:         80
        .size:           4
        .value_kind:     by_value
      - .offset:         84
        .size:           1
        .value_kind:     by_value
    .group_segment_fixed_size: 0
    .kernarg_segment_align: 8
    .kernarg_segment_size: 88
    .language:       OpenCL C
    .language_version:
      - 2
      - 0
    .max_flat_workgroup_size: 128
    .name:           _ZN9rocsparseL19gebsrmvn_1xn_kernelILj128ELj10ELj4E21rocsparse_complex_numIdEEEvi20rocsparse_direction_NS_24const_host_device_scalarIT2_EEPKiS8_PKS5_SA_S6_PS5_21rocsparse_index_base_b
    .private_segment_fixed_size: 0
    .sgpr_count:     15
    .sgpr_spill_count: 0
    .symbol:         _ZN9rocsparseL19gebsrmvn_1xn_kernelILj128ELj10ELj4E21rocsparse_complex_numIdEEEvi20rocsparse_direction_NS_24const_host_device_scalarIT2_EEPKiS8_PKS5_SA_S6_PS5_21rocsparse_index_base_b.kd
    .uniform_work_group_size: 1
    .uses_dynamic_stack: false
    .vgpr_count:     71
    .vgpr_spill_count: 0
    .wavefront_size: 32
    .workgroup_processor_mode: 1
  - .args:
      - .offset:         0
        .size:           4
        .value_kind:     by_value
      - .offset:         4
        .size:           4
        .value_kind:     by_value
      - .offset:         8
        .size:           16
        .value_kind:     by_value
      - .actual_access:  read_only
        .address_space:  global
        .offset:         24
        .size:           8
        .value_kind:     global_buffer
      - .actual_access:  read_only
        .address_space:  global
        .offset:         32
        .size:           8
        .value_kind:     global_buffer
      - .actual_access:  read_only
        .address_space:  global
        .offset:         40
        .size:           8
        .value_kind:     global_buffer
      - .actual_access:  read_only
        .address_space:  global
        .offset:         48
        .size:           8
        .value_kind:     global_buffer
      - .offset:         56
        .size:           16
        .value_kind:     by_value
      - .address_space:  global
        .offset:         72
        .size:           8
        .value_kind:     global_buffer
      - .offset:         80
        .size:           4
        .value_kind:     by_value
      - .offset:         84
        .size:           1
        .value_kind:     by_value
    .group_segment_fixed_size: 0
    .kernarg_segment_align: 8
    .kernarg_segment_size: 88
    .language:       OpenCL C
    .language_version:
      - 2
      - 0
    .max_flat_workgroup_size: 128
    .name:           _ZN9rocsparseL19gebsrmvn_1xn_kernelILj128ELj10ELj8E21rocsparse_complex_numIdEEEvi20rocsparse_direction_NS_24const_host_device_scalarIT2_EEPKiS8_PKS5_SA_S6_PS5_21rocsparse_index_base_b
    .private_segment_fixed_size: 0
    .sgpr_count:     15
    .sgpr_spill_count: 0
    .symbol:         _ZN9rocsparseL19gebsrmvn_1xn_kernelILj128ELj10ELj8E21rocsparse_complex_numIdEEEvi20rocsparse_direction_NS_24const_host_device_scalarIT2_EEPKiS8_PKS5_SA_S6_PS5_21rocsparse_index_base_b.kd
    .uniform_work_group_size: 1
    .uses_dynamic_stack: false
    .vgpr_count:     71
    .vgpr_spill_count: 0
    .wavefront_size: 32
    .workgroup_processor_mode: 1
  - .args:
      - .offset:         0
        .size:           4
        .value_kind:     by_value
      - .offset:         4
        .size:           4
        .value_kind:     by_value
      - .offset:         8
        .size:           16
        .value_kind:     by_value
      - .actual_access:  read_only
        .address_space:  global
        .offset:         24
        .size:           8
        .value_kind:     global_buffer
      - .actual_access:  read_only
        .address_space:  global
        .offset:         32
        .size:           8
        .value_kind:     global_buffer
      - .actual_access:  read_only
        .address_space:  global
        .offset:         40
        .size:           8
        .value_kind:     global_buffer
      - .actual_access:  read_only
        .address_space:  global
        .offset:         48
        .size:           8
        .value_kind:     global_buffer
      - .offset:         56
        .size:           16
        .value_kind:     by_value
      - .address_space:  global
        .offset:         72
        .size:           8
        .value_kind:     global_buffer
      - .offset:         80
        .size:           4
        .value_kind:     by_value
      - .offset:         84
        .size:           1
        .value_kind:     by_value
    .group_segment_fixed_size: 0
    .kernarg_segment_align: 8
    .kernarg_segment_size: 88
    .language:       OpenCL C
    .language_version:
      - 2
      - 0
    .max_flat_workgroup_size: 128
    .name:           _ZN9rocsparseL19gebsrmvn_1xn_kernelILj128ELj10ELj16E21rocsparse_complex_numIdEEEvi20rocsparse_direction_NS_24const_host_device_scalarIT2_EEPKiS8_PKS5_SA_S6_PS5_21rocsparse_index_base_b
    .private_segment_fixed_size: 0
    .sgpr_count:     15
    .sgpr_spill_count: 0
    .symbol:         _ZN9rocsparseL19gebsrmvn_1xn_kernelILj128ELj10ELj16E21rocsparse_complex_numIdEEEvi20rocsparse_direction_NS_24const_host_device_scalarIT2_EEPKiS8_PKS5_SA_S6_PS5_21rocsparse_index_base_b.kd
    .uniform_work_group_size: 1
    .uses_dynamic_stack: false
    .vgpr_count:     71
    .vgpr_spill_count: 0
    .wavefront_size: 32
    .workgroup_processor_mode: 1
  - .args:
      - .offset:         0
        .size:           4
        .value_kind:     by_value
      - .offset:         4
        .size:           4
        .value_kind:     by_value
      - .offset:         8
        .size:           16
        .value_kind:     by_value
      - .actual_access:  read_only
        .address_space:  global
        .offset:         24
        .size:           8
        .value_kind:     global_buffer
      - .actual_access:  read_only
        .address_space:  global
        .offset:         32
        .size:           8
        .value_kind:     global_buffer
      - .actual_access:  read_only
        .address_space:  global
        .offset:         40
        .size:           8
        .value_kind:     global_buffer
      - .actual_access:  read_only
        .address_space:  global
        .offset:         48
        .size:           8
        .value_kind:     global_buffer
      - .offset:         56
        .size:           16
        .value_kind:     by_value
      - .address_space:  global
        .offset:         72
        .size:           8
        .value_kind:     global_buffer
      - .offset:         80
        .size:           4
        .value_kind:     by_value
      - .offset:         84
        .size:           1
        .value_kind:     by_value
    .group_segment_fixed_size: 0
    .kernarg_segment_align: 8
    .kernarg_segment_size: 88
    .language:       OpenCL C
    .language_version:
      - 2
      - 0
    .max_flat_workgroup_size: 128
    .name:           _ZN9rocsparseL19gebsrmvn_1xn_kernelILj128ELj10ELj32E21rocsparse_complex_numIdEEEvi20rocsparse_direction_NS_24const_host_device_scalarIT2_EEPKiS8_PKS5_SA_S6_PS5_21rocsparse_index_base_b
    .private_segment_fixed_size: 0
    .sgpr_count:     15
    .sgpr_spill_count: 0
    .symbol:         _ZN9rocsparseL19gebsrmvn_1xn_kernelILj128ELj10ELj32E21rocsparse_complex_numIdEEEvi20rocsparse_direction_NS_24const_host_device_scalarIT2_EEPKiS8_PKS5_SA_S6_PS5_21rocsparse_index_base_b.kd
    .uniform_work_group_size: 1
    .uses_dynamic_stack: false
    .vgpr_count:     71
    .vgpr_spill_count: 0
    .wavefront_size: 32
    .workgroup_processor_mode: 1
  - .args:
      - .offset:         0
        .size:           4
        .value_kind:     by_value
      - .offset:         4
        .size:           4
        .value_kind:     by_value
      - .offset:         8
        .size:           16
        .value_kind:     by_value
      - .actual_access:  read_only
        .address_space:  global
        .offset:         24
        .size:           8
        .value_kind:     global_buffer
      - .actual_access:  read_only
        .address_space:  global
        .offset:         32
        .size:           8
        .value_kind:     global_buffer
      - .actual_access:  read_only
        .address_space:  global
        .offset:         40
        .size:           8
        .value_kind:     global_buffer
      - .actual_access:  read_only
        .address_space:  global
        .offset:         48
        .size:           8
        .value_kind:     global_buffer
      - .offset:         56
        .size:           16
        .value_kind:     by_value
      - .address_space:  global
        .offset:         72
        .size:           8
        .value_kind:     global_buffer
      - .offset:         80
        .size:           4
        .value_kind:     by_value
      - .offset:         84
        .size:           1
        .value_kind:     by_value
    .group_segment_fixed_size: 0
    .kernarg_segment_align: 8
    .kernarg_segment_size: 88
    .language:       OpenCL C
    .language_version:
      - 2
      - 0
    .max_flat_workgroup_size: 128
    .name:           _ZN9rocsparseL19gebsrmvn_1xn_kernelILj128ELj10ELj64E21rocsparse_complex_numIdEEEvi20rocsparse_direction_NS_24const_host_device_scalarIT2_EEPKiS8_PKS5_SA_S6_PS5_21rocsparse_index_base_b
    .private_segment_fixed_size: 0
    .sgpr_count:     15
    .sgpr_spill_count: 0
    .symbol:         _ZN9rocsparseL19gebsrmvn_1xn_kernelILj128ELj10ELj64E21rocsparse_complex_numIdEEEvi20rocsparse_direction_NS_24const_host_device_scalarIT2_EEPKiS8_PKS5_SA_S6_PS5_21rocsparse_index_base_b.kd
    .uniform_work_group_size: 1
    .uses_dynamic_stack: false
    .vgpr_count:     71
    .vgpr_spill_count: 0
    .wavefront_size: 32
    .workgroup_processor_mode: 1
  - .args:
      - .offset:         0
        .size:           4
        .value_kind:     by_value
      - .offset:         4
        .size:           4
        .value_kind:     by_value
      - .offset:         8
        .size:           16
        .value_kind:     by_value
      - .actual_access:  read_only
        .address_space:  global
        .offset:         24
        .size:           8
        .value_kind:     global_buffer
      - .actual_access:  read_only
        .address_space:  global
        .offset:         32
        .size:           8
        .value_kind:     global_buffer
      - .actual_access:  read_only
        .address_space:  global
        .offset:         40
        .size:           8
        .value_kind:     global_buffer
      - .actual_access:  read_only
        .address_space:  global
        .offset:         48
        .size:           8
        .value_kind:     global_buffer
      - .offset:         56
        .size:           16
        .value_kind:     by_value
      - .address_space:  global
        .offset:         72
        .size:           8
        .value_kind:     global_buffer
      - .offset:         80
        .size:           4
        .value_kind:     by_value
      - .offset:         84
        .size:           1
        .value_kind:     by_value
    .group_segment_fixed_size: 0
    .kernarg_segment_align: 8
    .kernarg_segment_size: 88
    .language:       OpenCL C
    .language_version:
      - 2
      - 0
    .max_flat_workgroup_size: 128
    .name:           _ZN9rocsparseL19gebsrmvn_1xn_kernelILj128ELj11ELj4E21rocsparse_complex_numIdEEEvi20rocsparse_direction_NS_24const_host_device_scalarIT2_EEPKiS8_PKS5_SA_S6_PS5_21rocsparse_index_base_b
    .private_segment_fixed_size: 0
    .sgpr_count:     15
    .sgpr_spill_count: 0
    .symbol:         _ZN9rocsparseL19gebsrmvn_1xn_kernelILj128ELj11ELj4E21rocsparse_complex_numIdEEEvi20rocsparse_direction_NS_24const_host_device_scalarIT2_EEPKiS8_PKS5_SA_S6_PS5_21rocsparse_index_base_b.kd
    .uniform_work_group_size: 1
    .uses_dynamic_stack: false
    .vgpr_count:     72
    .vgpr_spill_count: 0
    .wavefront_size: 32
    .workgroup_processor_mode: 1
  - .args:
      - .offset:         0
        .size:           4
        .value_kind:     by_value
      - .offset:         4
        .size:           4
        .value_kind:     by_value
      - .offset:         8
        .size:           16
        .value_kind:     by_value
      - .actual_access:  read_only
        .address_space:  global
        .offset:         24
        .size:           8
        .value_kind:     global_buffer
      - .actual_access:  read_only
        .address_space:  global
        .offset:         32
        .size:           8
        .value_kind:     global_buffer
      - .actual_access:  read_only
        .address_space:  global
        .offset:         40
        .size:           8
        .value_kind:     global_buffer
      - .actual_access:  read_only
        .address_space:  global
        .offset:         48
        .size:           8
        .value_kind:     global_buffer
      - .offset:         56
        .size:           16
        .value_kind:     by_value
      - .address_space:  global
        .offset:         72
        .size:           8
        .value_kind:     global_buffer
      - .offset:         80
        .size:           4
        .value_kind:     by_value
      - .offset:         84
        .size:           1
        .value_kind:     by_value
    .group_segment_fixed_size: 0
    .kernarg_segment_align: 8
    .kernarg_segment_size: 88
    .language:       OpenCL C
    .language_version:
      - 2
      - 0
    .max_flat_workgroup_size: 128
    .name:           _ZN9rocsparseL19gebsrmvn_1xn_kernelILj128ELj11ELj8E21rocsparse_complex_numIdEEEvi20rocsparse_direction_NS_24const_host_device_scalarIT2_EEPKiS8_PKS5_SA_S6_PS5_21rocsparse_index_base_b
    .private_segment_fixed_size: 0
    .sgpr_count:     15
    .sgpr_spill_count: 0
    .symbol:         _ZN9rocsparseL19gebsrmvn_1xn_kernelILj128ELj11ELj8E21rocsparse_complex_numIdEEEvi20rocsparse_direction_NS_24const_host_device_scalarIT2_EEPKiS8_PKS5_SA_S6_PS5_21rocsparse_index_base_b.kd
    .uniform_work_group_size: 1
    .uses_dynamic_stack: false
    .vgpr_count:     72
    .vgpr_spill_count: 0
    .wavefront_size: 32
    .workgroup_processor_mode: 1
  - .args:
      - .offset:         0
        .size:           4
        .value_kind:     by_value
      - .offset:         4
        .size:           4
        .value_kind:     by_value
      - .offset:         8
        .size:           16
        .value_kind:     by_value
      - .actual_access:  read_only
        .address_space:  global
        .offset:         24
        .size:           8
        .value_kind:     global_buffer
      - .actual_access:  read_only
        .address_space:  global
        .offset:         32
        .size:           8
        .value_kind:     global_buffer
      - .actual_access:  read_only
        .address_space:  global
        .offset:         40
        .size:           8
        .value_kind:     global_buffer
      - .actual_access:  read_only
        .address_space:  global
        .offset:         48
        .size:           8
        .value_kind:     global_buffer
      - .offset:         56
        .size:           16
        .value_kind:     by_value
      - .address_space:  global
        .offset:         72
        .size:           8
        .value_kind:     global_buffer
      - .offset:         80
        .size:           4
        .value_kind:     by_value
      - .offset:         84
        .size:           1
        .value_kind:     by_value
    .group_segment_fixed_size: 0
    .kernarg_segment_align: 8
    .kernarg_segment_size: 88
    .language:       OpenCL C
    .language_version:
      - 2
      - 0
    .max_flat_workgroup_size: 128
    .name:           _ZN9rocsparseL19gebsrmvn_1xn_kernelILj128ELj11ELj16E21rocsparse_complex_numIdEEEvi20rocsparse_direction_NS_24const_host_device_scalarIT2_EEPKiS8_PKS5_SA_S6_PS5_21rocsparse_index_base_b
    .private_segment_fixed_size: 0
    .sgpr_count:     15
    .sgpr_spill_count: 0
    .symbol:         _ZN9rocsparseL19gebsrmvn_1xn_kernelILj128ELj11ELj16E21rocsparse_complex_numIdEEEvi20rocsparse_direction_NS_24const_host_device_scalarIT2_EEPKiS8_PKS5_SA_S6_PS5_21rocsparse_index_base_b.kd
    .uniform_work_group_size: 1
    .uses_dynamic_stack: false
    .vgpr_count:     72
    .vgpr_spill_count: 0
    .wavefront_size: 32
    .workgroup_processor_mode: 1
  - .args:
      - .offset:         0
        .size:           4
        .value_kind:     by_value
      - .offset:         4
        .size:           4
        .value_kind:     by_value
      - .offset:         8
        .size:           16
        .value_kind:     by_value
      - .actual_access:  read_only
        .address_space:  global
        .offset:         24
        .size:           8
        .value_kind:     global_buffer
      - .actual_access:  read_only
        .address_space:  global
        .offset:         32
        .size:           8
        .value_kind:     global_buffer
      - .actual_access:  read_only
        .address_space:  global
        .offset:         40
        .size:           8
        .value_kind:     global_buffer
      - .actual_access:  read_only
        .address_space:  global
        .offset:         48
        .size:           8
        .value_kind:     global_buffer
      - .offset:         56
        .size:           16
        .value_kind:     by_value
      - .address_space:  global
        .offset:         72
        .size:           8
        .value_kind:     global_buffer
      - .offset:         80
        .size:           4
        .value_kind:     by_value
      - .offset:         84
        .size:           1
        .value_kind:     by_value
    .group_segment_fixed_size: 0
    .kernarg_segment_align: 8
    .kernarg_segment_size: 88
    .language:       OpenCL C
    .language_version:
      - 2
      - 0
    .max_flat_workgroup_size: 128
    .name:           _ZN9rocsparseL19gebsrmvn_1xn_kernelILj128ELj11ELj32E21rocsparse_complex_numIdEEEvi20rocsparse_direction_NS_24const_host_device_scalarIT2_EEPKiS8_PKS5_SA_S6_PS5_21rocsparse_index_base_b
    .private_segment_fixed_size: 0
    .sgpr_count:     15
    .sgpr_spill_count: 0
    .symbol:         _ZN9rocsparseL19gebsrmvn_1xn_kernelILj128ELj11ELj32E21rocsparse_complex_numIdEEEvi20rocsparse_direction_NS_24const_host_device_scalarIT2_EEPKiS8_PKS5_SA_S6_PS5_21rocsparse_index_base_b.kd
    .uniform_work_group_size: 1
    .uses_dynamic_stack: false
    .vgpr_count:     72
    .vgpr_spill_count: 0
    .wavefront_size: 32
    .workgroup_processor_mode: 1
  - .args:
      - .offset:         0
        .size:           4
        .value_kind:     by_value
      - .offset:         4
        .size:           4
        .value_kind:     by_value
      - .offset:         8
        .size:           16
        .value_kind:     by_value
      - .actual_access:  read_only
        .address_space:  global
        .offset:         24
        .size:           8
        .value_kind:     global_buffer
      - .actual_access:  read_only
        .address_space:  global
        .offset:         32
        .size:           8
        .value_kind:     global_buffer
      - .actual_access:  read_only
        .address_space:  global
        .offset:         40
        .size:           8
        .value_kind:     global_buffer
      - .actual_access:  read_only
        .address_space:  global
        .offset:         48
        .size:           8
        .value_kind:     global_buffer
      - .offset:         56
        .size:           16
        .value_kind:     by_value
      - .address_space:  global
        .offset:         72
        .size:           8
        .value_kind:     global_buffer
      - .offset:         80
        .size:           4
        .value_kind:     by_value
      - .offset:         84
        .size:           1
        .value_kind:     by_value
    .group_segment_fixed_size: 0
    .kernarg_segment_align: 8
    .kernarg_segment_size: 88
    .language:       OpenCL C
    .language_version:
      - 2
      - 0
    .max_flat_workgroup_size: 128
    .name:           _ZN9rocsparseL19gebsrmvn_1xn_kernelILj128ELj11ELj64E21rocsparse_complex_numIdEEEvi20rocsparse_direction_NS_24const_host_device_scalarIT2_EEPKiS8_PKS5_SA_S6_PS5_21rocsparse_index_base_b
    .private_segment_fixed_size: 0
    .sgpr_count:     15
    .sgpr_spill_count: 0
    .symbol:         _ZN9rocsparseL19gebsrmvn_1xn_kernelILj128ELj11ELj64E21rocsparse_complex_numIdEEEvi20rocsparse_direction_NS_24const_host_device_scalarIT2_EEPKiS8_PKS5_SA_S6_PS5_21rocsparse_index_base_b.kd
    .uniform_work_group_size: 1
    .uses_dynamic_stack: false
    .vgpr_count:     72
    .vgpr_spill_count: 0
    .wavefront_size: 32
    .workgroup_processor_mode: 1
  - .args:
      - .offset:         0
        .size:           4
        .value_kind:     by_value
      - .offset:         4
        .size:           4
        .value_kind:     by_value
      - .offset:         8
        .size:           16
        .value_kind:     by_value
      - .actual_access:  read_only
        .address_space:  global
        .offset:         24
        .size:           8
        .value_kind:     global_buffer
      - .actual_access:  read_only
        .address_space:  global
        .offset:         32
        .size:           8
        .value_kind:     global_buffer
      - .actual_access:  read_only
        .address_space:  global
        .offset:         40
        .size:           8
        .value_kind:     global_buffer
      - .actual_access:  read_only
        .address_space:  global
        .offset:         48
        .size:           8
        .value_kind:     global_buffer
      - .offset:         56
        .size:           16
        .value_kind:     by_value
      - .address_space:  global
        .offset:         72
        .size:           8
        .value_kind:     global_buffer
      - .offset:         80
        .size:           4
        .value_kind:     by_value
      - .offset:         84
        .size:           1
        .value_kind:     by_value
    .group_segment_fixed_size: 0
    .kernarg_segment_align: 8
    .kernarg_segment_size: 88
    .language:       OpenCL C
    .language_version:
      - 2
      - 0
    .max_flat_workgroup_size: 128
    .name:           _ZN9rocsparseL19gebsrmvn_1xn_kernelILj128ELj12ELj4E21rocsparse_complex_numIdEEEvi20rocsparse_direction_NS_24const_host_device_scalarIT2_EEPKiS8_PKS5_SA_S6_PS5_21rocsparse_index_base_b
    .private_segment_fixed_size: 0
    .sgpr_count:     15
    .sgpr_spill_count: 0
    .symbol:         _ZN9rocsparseL19gebsrmvn_1xn_kernelILj128ELj12ELj4E21rocsparse_complex_numIdEEEvi20rocsparse_direction_NS_24const_host_device_scalarIT2_EEPKiS8_PKS5_SA_S6_PS5_21rocsparse_index_base_b.kd
    .uniform_work_group_size: 1
    .uses_dynamic_stack: false
    .vgpr_count:     71
    .vgpr_spill_count: 0
    .wavefront_size: 32
    .workgroup_processor_mode: 1
  - .args:
      - .offset:         0
        .size:           4
        .value_kind:     by_value
      - .offset:         4
        .size:           4
        .value_kind:     by_value
      - .offset:         8
        .size:           16
        .value_kind:     by_value
      - .actual_access:  read_only
        .address_space:  global
        .offset:         24
        .size:           8
        .value_kind:     global_buffer
      - .actual_access:  read_only
        .address_space:  global
        .offset:         32
        .size:           8
        .value_kind:     global_buffer
      - .actual_access:  read_only
        .address_space:  global
        .offset:         40
        .size:           8
        .value_kind:     global_buffer
      - .actual_access:  read_only
        .address_space:  global
        .offset:         48
        .size:           8
        .value_kind:     global_buffer
      - .offset:         56
        .size:           16
        .value_kind:     by_value
      - .address_space:  global
        .offset:         72
        .size:           8
        .value_kind:     global_buffer
      - .offset:         80
        .size:           4
        .value_kind:     by_value
      - .offset:         84
        .size:           1
        .value_kind:     by_value
    .group_segment_fixed_size: 0
    .kernarg_segment_align: 8
    .kernarg_segment_size: 88
    .language:       OpenCL C
    .language_version:
      - 2
      - 0
    .max_flat_workgroup_size: 128
    .name:           _ZN9rocsparseL19gebsrmvn_1xn_kernelILj128ELj12ELj8E21rocsparse_complex_numIdEEEvi20rocsparse_direction_NS_24const_host_device_scalarIT2_EEPKiS8_PKS5_SA_S6_PS5_21rocsparse_index_base_b
    .private_segment_fixed_size: 0
    .sgpr_count:     15
    .sgpr_spill_count: 0
    .symbol:         _ZN9rocsparseL19gebsrmvn_1xn_kernelILj128ELj12ELj8E21rocsparse_complex_numIdEEEvi20rocsparse_direction_NS_24const_host_device_scalarIT2_EEPKiS8_PKS5_SA_S6_PS5_21rocsparse_index_base_b.kd
    .uniform_work_group_size: 1
    .uses_dynamic_stack: false
    .vgpr_count:     71
    .vgpr_spill_count: 0
    .wavefront_size: 32
    .workgroup_processor_mode: 1
  - .args:
      - .offset:         0
        .size:           4
        .value_kind:     by_value
      - .offset:         4
        .size:           4
        .value_kind:     by_value
      - .offset:         8
        .size:           16
        .value_kind:     by_value
      - .actual_access:  read_only
        .address_space:  global
        .offset:         24
        .size:           8
        .value_kind:     global_buffer
      - .actual_access:  read_only
        .address_space:  global
        .offset:         32
        .size:           8
        .value_kind:     global_buffer
      - .actual_access:  read_only
        .address_space:  global
        .offset:         40
        .size:           8
        .value_kind:     global_buffer
      - .actual_access:  read_only
        .address_space:  global
        .offset:         48
        .size:           8
        .value_kind:     global_buffer
      - .offset:         56
        .size:           16
        .value_kind:     by_value
      - .address_space:  global
        .offset:         72
        .size:           8
        .value_kind:     global_buffer
      - .offset:         80
        .size:           4
        .value_kind:     by_value
      - .offset:         84
        .size:           1
        .value_kind:     by_value
    .group_segment_fixed_size: 0
    .kernarg_segment_align: 8
    .kernarg_segment_size: 88
    .language:       OpenCL C
    .language_version:
      - 2
      - 0
    .max_flat_workgroup_size: 128
    .name:           _ZN9rocsparseL19gebsrmvn_1xn_kernelILj128ELj12ELj16E21rocsparse_complex_numIdEEEvi20rocsparse_direction_NS_24const_host_device_scalarIT2_EEPKiS8_PKS5_SA_S6_PS5_21rocsparse_index_base_b
    .private_segment_fixed_size: 0
    .sgpr_count:     15
    .sgpr_spill_count: 0
    .symbol:         _ZN9rocsparseL19gebsrmvn_1xn_kernelILj128ELj12ELj16E21rocsparse_complex_numIdEEEvi20rocsparse_direction_NS_24const_host_device_scalarIT2_EEPKiS8_PKS5_SA_S6_PS5_21rocsparse_index_base_b.kd
    .uniform_work_group_size: 1
    .uses_dynamic_stack: false
    .vgpr_count:     71
    .vgpr_spill_count: 0
    .wavefront_size: 32
    .workgroup_processor_mode: 1
  - .args:
      - .offset:         0
        .size:           4
        .value_kind:     by_value
      - .offset:         4
        .size:           4
        .value_kind:     by_value
      - .offset:         8
        .size:           16
        .value_kind:     by_value
      - .actual_access:  read_only
        .address_space:  global
        .offset:         24
        .size:           8
        .value_kind:     global_buffer
      - .actual_access:  read_only
        .address_space:  global
        .offset:         32
        .size:           8
        .value_kind:     global_buffer
      - .actual_access:  read_only
        .address_space:  global
        .offset:         40
        .size:           8
        .value_kind:     global_buffer
      - .actual_access:  read_only
        .address_space:  global
        .offset:         48
        .size:           8
        .value_kind:     global_buffer
      - .offset:         56
        .size:           16
        .value_kind:     by_value
      - .address_space:  global
        .offset:         72
        .size:           8
        .value_kind:     global_buffer
      - .offset:         80
        .size:           4
        .value_kind:     by_value
      - .offset:         84
        .size:           1
        .value_kind:     by_value
    .group_segment_fixed_size: 0
    .kernarg_segment_align: 8
    .kernarg_segment_size: 88
    .language:       OpenCL C
    .language_version:
      - 2
      - 0
    .max_flat_workgroup_size: 128
    .name:           _ZN9rocsparseL19gebsrmvn_1xn_kernelILj128ELj12ELj32E21rocsparse_complex_numIdEEEvi20rocsparse_direction_NS_24const_host_device_scalarIT2_EEPKiS8_PKS5_SA_S6_PS5_21rocsparse_index_base_b
    .private_segment_fixed_size: 0
    .sgpr_count:     15
    .sgpr_spill_count: 0
    .symbol:         _ZN9rocsparseL19gebsrmvn_1xn_kernelILj128ELj12ELj32E21rocsparse_complex_numIdEEEvi20rocsparse_direction_NS_24const_host_device_scalarIT2_EEPKiS8_PKS5_SA_S6_PS5_21rocsparse_index_base_b.kd
    .uniform_work_group_size: 1
    .uses_dynamic_stack: false
    .vgpr_count:     71
    .vgpr_spill_count: 0
    .wavefront_size: 32
    .workgroup_processor_mode: 1
  - .args:
      - .offset:         0
        .size:           4
        .value_kind:     by_value
      - .offset:         4
        .size:           4
        .value_kind:     by_value
      - .offset:         8
        .size:           16
        .value_kind:     by_value
      - .actual_access:  read_only
        .address_space:  global
        .offset:         24
        .size:           8
        .value_kind:     global_buffer
      - .actual_access:  read_only
        .address_space:  global
        .offset:         32
        .size:           8
        .value_kind:     global_buffer
      - .actual_access:  read_only
        .address_space:  global
        .offset:         40
        .size:           8
        .value_kind:     global_buffer
      - .actual_access:  read_only
        .address_space:  global
        .offset:         48
        .size:           8
        .value_kind:     global_buffer
      - .offset:         56
        .size:           16
        .value_kind:     by_value
      - .address_space:  global
        .offset:         72
        .size:           8
        .value_kind:     global_buffer
      - .offset:         80
        .size:           4
        .value_kind:     by_value
      - .offset:         84
        .size:           1
        .value_kind:     by_value
    .group_segment_fixed_size: 0
    .kernarg_segment_align: 8
    .kernarg_segment_size: 88
    .language:       OpenCL C
    .language_version:
      - 2
      - 0
    .max_flat_workgroup_size: 128
    .name:           _ZN9rocsparseL19gebsrmvn_1xn_kernelILj128ELj12ELj64E21rocsparse_complex_numIdEEEvi20rocsparse_direction_NS_24const_host_device_scalarIT2_EEPKiS8_PKS5_SA_S6_PS5_21rocsparse_index_base_b
    .private_segment_fixed_size: 0
    .sgpr_count:     15
    .sgpr_spill_count: 0
    .symbol:         _ZN9rocsparseL19gebsrmvn_1xn_kernelILj128ELj12ELj64E21rocsparse_complex_numIdEEEvi20rocsparse_direction_NS_24const_host_device_scalarIT2_EEPKiS8_PKS5_SA_S6_PS5_21rocsparse_index_base_b.kd
    .uniform_work_group_size: 1
    .uses_dynamic_stack: false
    .vgpr_count:     71
    .vgpr_spill_count: 0
    .wavefront_size: 32
    .workgroup_processor_mode: 1
  - .args:
      - .offset:         0
        .size:           4
        .value_kind:     by_value
      - .offset:         4
        .size:           4
        .value_kind:     by_value
      - .offset:         8
        .size:           16
        .value_kind:     by_value
      - .actual_access:  read_only
        .address_space:  global
        .offset:         24
        .size:           8
        .value_kind:     global_buffer
      - .actual_access:  read_only
        .address_space:  global
        .offset:         32
        .size:           8
        .value_kind:     global_buffer
      - .actual_access:  read_only
        .address_space:  global
        .offset:         40
        .size:           8
        .value_kind:     global_buffer
      - .actual_access:  read_only
        .address_space:  global
        .offset:         48
        .size:           8
        .value_kind:     global_buffer
      - .offset:         56
        .size:           16
        .value_kind:     by_value
      - .address_space:  global
        .offset:         72
        .size:           8
        .value_kind:     global_buffer
      - .offset:         80
        .size:           4
        .value_kind:     by_value
      - .offset:         84
        .size:           1
        .value_kind:     by_value
    .group_segment_fixed_size: 0
    .kernarg_segment_align: 8
    .kernarg_segment_size: 88
    .language:       OpenCL C
    .language_version:
      - 2
      - 0
    .max_flat_workgroup_size: 128
    .name:           _ZN9rocsparseL19gebsrmvn_1xn_kernelILj128ELj13ELj4E21rocsparse_complex_numIdEEEvi20rocsparse_direction_NS_24const_host_device_scalarIT2_EEPKiS8_PKS5_SA_S6_PS5_21rocsparse_index_base_b
    .private_segment_fixed_size: 0
    .sgpr_count:     15
    .sgpr_spill_count: 0
    .symbol:         _ZN9rocsparseL19gebsrmvn_1xn_kernelILj128ELj13ELj4E21rocsparse_complex_numIdEEEvi20rocsparse_direction_NS_24const_host_device_scalarIT2_EEPKiS8_PKS5_SA_S6_PS5_21rocsparse_index_base_b.kd
    .uniform_work_group_size: 1
    .uses_dynamic_stack: false
    .vgpr_count:     73
    .vgpr_spill_count: 0
    .wavefront_size: 32
    .workgroup_processor_mode: 1
  - .args:
      - .offset:         0
        .size:           4
        .value_kind:     by_value
      - .offset:         4
        .size:           4
        .value_kind:     by_value
      - .offset:         8
        .size:           16
        .value_kind:     by_value
      - .actual_access:  read_only
        .address_space:  global
        .offset:         24
        .size:           8
        .value_kind:     global_buffer
      - .actual_access:  read_only
        .address_space:  global
        .offset:         32
        .size:           8
        .value_kind:     global_buffer
      - .actual_access:  read_only
        .address_space:  global
        .offset:         40
        .size:           8
        .value_kind:     global_buffer
      - .actual_access:  read_only
        .address_space:  global
        .offset:         48
        .size:           8
        .value_kind:     global_buffer
      - .offset:         56
        .size:           16
        .value_kind:     by_value
      - .address_space:  global
        .offset:         72
        .size:           8
        .value_kind:     global_buffer
      - .offset:         80
        .size:           4
        .value_kind:     by_value
      - .offset:         84
        .size:           1
        .value_kind:     by_value
    .group_segment_fixed_size: 0
    .kernarg_segment_align: 8
    .kernarg_segment_size: 88
    .language:       OpenCL C
    .language_version:
      - 2
      - 0
    .max_flat_workgroup_size: 128
    .name:           _ZN9rocsparseL19gebsrmvn_1xn_kernelILj128ELj13ELj8E21rocsparse_complex_numIdEEEvi20rocsparse_direction_NS_24const_host_device_scalarIT2_EEPKiS8_PKS5_SA_S6_PS5_21rocsparse_index_base_b
    .private_segment_fixed_size: 0
    .sgpr_count:     15
    .sgpr_spill_count: 0
    .symbol:         _ZN9rocsparseL19gebsrmvn_1xn_kernelILj128ELj13ELj8E21rocsparse_complex_numIdEEEvi20rocsparse_direction_NS_24const_host_device_scalarIT2_EEPKiS8_PKS5_SA_S6_PS5_21rocsparse_index_base_b.kd
    .uniform_work_group_size: 1
    .uses_dynamic_stack: false
    .vgpr_count:     73
    .vgpr_spill_count: 0
    .wavefront_size: 32
    .workgroup_processor_mode: 1
  - .args:
      - .offset:         0
        .size:           4
        .value_kind:     by_value
      - .offset:         4
        .size:           4
        .value_kind:     by_value
      - .offset:         8
        .size:           16
        .value_kind:     by_value
      - .actual_access:  read_only
        .address_space:  global
        .offset:         24
        .size:           8
        .value_kind:     global_buffer
      - .actual_access:  read_only
        .address_space:  global
        .offset:         32
        .size:           8
        .value_kind:     global_buffer
      - .actual_access:  read_only
        .address_space:  global
        .offset:         40
        .size:           8
        .value_kind:     global_buffer
      - .actual_access:  read_only
        .address_space:  global
        .offset:         48
        .size:           8
        .value_kind:     global_buffer
      - .offset:         56
        .size:           16
        .value_kind:     by_value
      - .address_space:  global
        .offset:         72
        .size:           8
        .value_kind:     global_buffer
      - .offset:         80
        .size:           4
        .value_kind:     by_value
      - .offset:         84
        .size:           1
        .value_kind:     by_value
    .group_segment_fixed_size: 0
    .kernarg_segment_align: 8
    .kernarg_segment_size: 88
    .language:       OpenCL C
    .language_version:
      - 2
      - 0
    .max_flat_workgroup_size: 128
    .name:           _ZN9rocsparseL19gebsrmvn_1xn_kernelILj128ELj13ELj16E21rocsparse_complex_numIdEEEvi20rocsparse_direction_NS_24const_host_device_scalarIT2_EEPKiS8_PKS5_SA_S6_PS5_21rocsparse_index_base_b
    .private_segment_fixed_size: 0
    .sgpr_count:     15
    .sgpr_spill_count: 0
    .symbol:         _ZN9rocsparseL19gebsrmvn_1xn_kernelILj128ELj13ELj16E21rocsparse_complex_numIdEEEvi20rocsparse_direction_NS_24const_host_device_scalarIT2_EEPKiS8_PKS5_SA_S6_PS5_21rocsparse_index_base_b.kd
    .uniform_work_group_size: 1
    .uses_dynamic_stack: false
    .vgpr_count:     73
    .vgpr_spill_count: 0
    .wavefront_size: 32
    .workgroup_processor_mode: 1
  - .args:
      - .offset:         0
        .size:           4
        .value_kind:     by_value
      - .offset:         4
        .size:           4
        .value_kind:     by_value
      - .offset:         8
        .size:           16
        .value_kind:     by_value
      - .actual_access:  read_only
        .address_space:  global
        .offset:         24
        .size:           8
        .value_kind:     global_buffer
      - .actual_access:  read_only
        .address_space:  global
        .offset:         32
        .size:           8
        .value_kind:     global_buffer
      - .actual_access:  read_only
        .address_space:  global
        .offset:         40
        .size:           8
        .value_kind:     global_buffer
      - .actual_access:  read_only
        .address_space:  global
        .offset:         48
        .size:           8
        .value_kind:     global_buffer
      - .offset:         56
        .size:           16
        .value_kind:     by_value
      - .address_space:  global
        .offset:         72
        .size:           8
        .value_kind:     global_buffer
      - .offset:         80
        .size:           4
        .value_kind:     by_value
      - .offset:         84
        .size:           1
        .value_kind:     by_value
    .group_segment_fixed_size: 0
    .kernarg_segment_align: 8
    .kernarg_segment_size: 88
    .language:       OpenCL C
    .language_version:
      - 2
      - 0
    .max_flat_workgroup_size: 128
    .name:           _ZN9rocsparseL19gebsrmvn_1xn_kernelILj128ELj13ELj32E21rocsparse_complex_numIdEEEvi20rocsparse_direction_NS_24const_host_device_scalarIT2_EEPKiS8_PKS5_SA_S6_PS5_21rocsparse_index_base_b
    .private_segment_fixed_size: 0
    .sgpr_count:     15
    .sgpr_spill_count: 0
    .symbol:         _ZN9rocsparseL19gebsrmvn_1xn_kernelILj128ELj13ELj32E21rocsparse_complex_numIdEEEvi20rocsparse_direction_NS_24const_host_device_scalarIT2_EEPKiS8_PKS5_SA_S6_PS5_21rocsparse_index_base_b.kd
    .uniform_work_group_size: 1
    .uses_dynamic_stack: false
    .vgpr_count:     73
    .vgpr_spill_count: 0
    .wavefront_size: 32
    .workgroup_processor_mode: 1
  - .args:
      - .offset:         0
        .size:           4
        .value_kind:     by_value
      - .offset:         4
        .size:           4
        .value_kind:     by_value
      - .offset:         8
        .size:           16
        .value_kind:     by_value
      - .actual_access:  read_only
        .address_space:  global
        .offset:         24
        .size:           8
        .value_kind:     global_buffer
      - .actual_access:  read_only
        .address_space:  global
        .offset:         32
        .size:           8
        .value_kind:     global_buffer
      - .actual_access:  read_only
        .address_space:  global
        .offset:         40
        .size:           8
        .value_kind:     global_buffer
      - .actual_access:  read_only
        .address_space:  global
        .offset:         48
        .size:           8
        .value_kind:     global_buffer
      - .offset:         56
        .size:           16
        .value_kind:     by_value
      - .address_space:  global
        .offset:         72
        .size:           8
        .value_kind:     global_buffer
      - .offset:         80
        .size:           4
        .value_kind:     by_value
      - .offset:         84
        .size:           1
        .value_kind:     by_value
    .group_segment_fixed_size: 0
    .kernarg_segment_align: 8
    .kernarg_segment_size: 88
    .language:       OpenCL C
    .language_version:
      - 2
      - 0
    .max_flat_workgroup_size: 128
    .name:           _ZN9rocsparseL19gebsrmvn_1xn_kernelILj128ELj13ELj64E21rocsparse_complex_numIdEEEvi20rocsparse_direction_NS_24const_host_device_scalarIT2_EEPKiS8_PKS5_SA_S6_PS5_21rocsparse_index_base_b
    .private_segment_fixed_size: 0
    .sgpr_count:     15
    .sgpr_spill_count: 0
    .symbol:         _ZN9rocsparseL19gebsrmvn_1xn_kernelILj128ELj13ELj64E21rocsparse_complex_numIdEEEvi20rocsparse_direction_NS_24const_host_device_scalarIT2_EEPKiS8_PKS5_SA_S6_PS5_21rocsparse_index_base_b.kd
    .uniform_work_group_size: 1
    .uses_dynamic_stack: false
    .vgpr_count:     73
    .vgpr_spill_count: 0
    .wavefront_size: 32
    .workgroup_processor_mode: 1
  - .args:
      - .offset:         0
        .size:           4
        .value_kind:     by_value
      - .offset:         4
        .size:           4
        .value_kind:     by_value
      - .offset:         8
        .size:           16
        .value_kind:     by_value
      - .actual_access:  read_only
        .address_space:  global
        .offset:         24
        .size:           8
        .value_kind:     global_buffer
      - .actual_access:  read_only
        .address_space:  global
        .offset:         32
        .size:           8
        .value_kind:     global_buffer
      - .actual_access:  read_only
        .address_space:  global
        .offset:         40
        .size:           8
        .value_kind:     global_buffer
      - .actual_access:  read_only
        .address_space:  global
        .offset:         48
        .size:           8
        .value_kind:     global_buffer
      - .offset:         56
        .size:           16
        .value_kind:     by_value
      - .address_space:  global
        .offset:         72
        .size:           8
        .value_kind:     global_buffer
      - .offset:         80
        .size:           4
        .value_kind:     by_value
      - .offset:         84
        .size:           1
        .value_kind:     by_value
    .group_segment_fixed_size: 0
    .kernarg_segment_align: 8
    .kernarg_segment_size: 88
    .language:       OpenCL C
    .language_version:
      - 2
      - 0
    .max_flat_workgroup_size: 128
    .name:           _ZN9rocsparseL19gebsrmvn_1xn_kernelILj128ELj14ELj4E21rocsparse_complex_numIdEEEvi20rocsparse_direction_NS_24const_host_device_scalarIT2_EEPKiS8_PKS5_SA_S6_PS5_21rocsparse_index_base_b
    .private_segment_fixed_size: 0
    .sgpr_count:     15
    .sgpr_spill_count: 0
    .symbol:         _ZN9rocsparseL19gebsrmvn_1xn_kernelILj128ELj14ELj4E21rocsparse_complex_numIdEEEvi20rocsparse_direction_NS_24const_host_device_scalarIT2_EEPKiS8_PKS5_SA_S6_PS5_21rocsparse_index_base_b.kd
    .uniform_work_group_size: 1
    .uses_dynamic_stack: false
    .vgpr_count:     72
    .vgpr_spill_count: 0
    .wavefront_size: 32
    .workgroup_processor_mode: 1
  - .args:
      - .offset:         0
        .size:           4
        .value_kind:     by_value
      - .offset:         4
        .size:           4
        .value_kind:     by_value
      - .offset:         8
        .size:           16
        .value_kind:     by_value
      - .actual_access:  read_only
        .address_space:  global
        .offset:         24
        .size:           8
        .value_kind:     global_buffer
      - .actual_access:  read_only
        .address_space:  global
        .offset:         32
        .size:           8
        .value_kind:     global_buffer
      - .actual_access:  read_only
        .address_space:  global
        .offset:         40
        .size:           8
        .value_kind:     global_buffer
      - .actual_access:  read_only
        .address_space:  global
        .offset:         48
        .size:           8
        .value_kind:     global_buffer
      - .offset:         56
        .size:           16
        .value_kind:     by_value
      - .address_space:  global
        .offset:         72
        .size:           8
        .value_kind:     global_buffer
      - .offset:         80
        .size:           4
        .value_kind:     by_value
      - .offset:         84
        .size:           1
        .value_kind:     by_value
    .group_segment_fixed_size: 0
    .kernarg_segment_align: 8
    .kernarg_segment_size: 88
    .language:       OpenCL C
    .language_version:
      - 2
      - 0
    .max_flat_workgroup_size: 128
    .name:           _ZN9rocsparseL19gebsrmvn_1xn_kernelILj128ELj14ELj8E21rocsparse_complex_numIdEEEvi20rocsparse_direction_NS_24const_host_device_scalarIT2_EEPKiS8_PKS5_SA_S6_PS5_21rocsparse_index_base_b
    .private_segment_fixed_size: 0
    .sgpr_count:     15
    .sgpr_spill_count: 0
    .symbol:         _ZN9rocsparseL19gebsrmvn_1xn_kernelILj128ELj14ELj8E21rocsparse_complex_numIdEEEvi20rocsparse_direction_NS_24const_host_device_scalarIT2_EEPKiS8_PKS5_SA_S6_PS5_21rocsparse_index_base_b.kd
    .uniform_work_group_size: 1
    .uses_dynamic_stack: false
    .vgpr_count:     72
    .vgpr_spill_count: 0
    .wavefront_size: 32
    .workgroup_processor_mode: 1
  - .args:
      - .offset:         0
        .size:           4
        .value_kind:     by_value
      - .offset:         4
        .size:           4
        .value_kind:     by_value
      - .offset:         8
        .size:           16
        .value_kind:     by_value
      - .actual_access:  read_only
        .address_space:  global
        .offset:         24
        .size:           8
        .value_kind:     global_buffer
      - .actual_access:  read_only
        .address_space:  global
        .offset:         32
        .size:           8
        .value_kind:     global_buffer
      - .actual_access:  read_only
        .address_space:  global
        .offset:         40
        .size:           8
        .value_kind:     global_buffer
      - .actual_access:  read_only
        .address_space:  global
        .offset:         48
        .size:           8
        .value_kind:     global_buffer
      - .offset:         56
        .size:           16
        .value_kind:     by_value
      - .address_space:  global
        .offset:         72
        .size:           8
        .value_kind:     global_buffer
      - .offset:         80
        .size:           4
        .value_kind:     by_value
      - .offset:         84
        .size:           1
        .value_kind:     by_value
    .group_segment_fixed_size: 0
    .kernarg_segment_align: 8
    .kernarg_segment_size: 88
    .language:       OpenCL C
    .language_version:
      - 2
      - 0
    .max_flat_workgroup_size: 128
    .name:           _ZN9rocsparseL19gebsrmvn_1xn_kernelILj128ELj14ELj16E21rocsparse_complex_numIdEEEvi20rocsparse_direction_NS_24const_host_device_scalarIT2_EEPKiS8_PKS5_SA_S6_PS5_21rocsparse_index_base_b
    .private_segment_fixed_size: 0
    .sgpr_count:     15
    .sgpr_spill_count: 0
    .symbol:         _ZN9rocsparseL19gebsrmvn_1xn_kernelILj128ELj14ELj16E21rocsparse_complex_numIdEEEvi20rocsparse_direction_NS_24const_host_device_scalarIT2_EEPKiS8_PKS5_SA_S6_PS5_21rocsparse_index_base_b.kd
    .uniform_work_group_size: 1
    .uses_dynamic_stack: false
    .vgpr_count:     72
    .vgpr_spill_count: 0
    .wavefront_size: 32
    .workgroup_processor_mode: 1
  - .args:
      - .offset:         0
        .size:           4
        .value_kind:     by_value
      - .offset:         4
        .size:           4
        .value_kind:     by_value
      - .offset:         8
        .size:           16
        .value_kind:     by_value
      - .actual_access:  read_only
        .address_space:  global
        .offset:         24
        .size:           8
        .value_kind:     global_buffer
      - .actual_access:  read_only
        .address_space:  global
        .offset:         32
        .size:           8
        .value_kind:     global_buffer
      - .actual_access:  read_only
        .address_space:  global
        .offset:         40
        .size:           8
        .value_kind:     global_buffer
      - .actual_access:  read_only
        .address_space:  global
        .offset:         48
        .size:           8
        .value_kind:     global_buffer
      - .offset:         56
        .size:           16
        .value_kind:     by_value
      - .address_space:  global
        .offset:         72
        .size:           8
        .value_kind:     global_buffer
      - .offset:         80
        .size:           4
        .value_kind:     by_value
      - .offset:         84
        .size:           1
        .value_kind:     by_value
    .group_segment_fixed_size: 0
    .kernarg_segment_align: 8
    .kernarg_segment_size: 88
    .language:       OpenCL C
    .language_version:
      - 2
      - 0
    .max_flat_workgroup_size: 128
    .name:           _ZN9rocsparseL19gebsrmvn_1xn_kernelILj128ELj14ELj32E21rocsparse_complex_numIdEEEvi20rocsparse_direction_NS_24const_host_device_scalarIT2_EEPKiS8_PKS5_SA_S6_PS5_21rocsparse_index_base_b
    .private_segment_fixed_size: 0
    .sgpr_count:     15
    .sgpr_spill_count: 0
    .symbol:         _ZN9rocsparseL19gebsrmvn_1xn_kernelILj128ELj14ELj32E21rocsparse_complex_numIdEEEvi20rocsparse_direction_NS_24const_host_device_scalarIT2_EEPKiS8_PKS5_SA_S6_PS5_21rocsparse_index_base_b.kd
    .uniform_work_group_size: 1
    .uses_dynamic_stack: false
    .vgpr_count:     72
    .vgpr_spill_count: 0
    .wavefront_size: 32
    .workgroup_processor_mode: 1
  - .args:
      - .offset:         0
        .size:           4
        .value_kind:     by_value
      - .offset:         4
        .size:           4
        .value_kind:     by_value
      - .offset:         8
        .size:           16
        .value_kind:     by_value
      - .actual_access:  read_only
        .address_space:  global
        .offset:         24
        .size:           8
        .value_kind:     global_buffer
      - .actual_access:  read_only
        .address_space:  global
        .offset:         32
        .size:           8
        .value_kind:     global_buffer
      - .actual_access:  read_only
        .address_space:  global
        .offset:         40
        .size:           8
        .value_kind:     global_buffer
      - .actual_access:  read_only
        .address_space:  global
        .offset:         48
        .size:           8
        .value_kind:     global_buffer
      - .offset:         56
        .size:           16
        .value_kind:     by_value
      - .address_space:  global
        .offset:         72
        .size:           8
        .value_kind:     global_buffer
      - .offset:         80
        .size:           4
        .value_kind:     by_value
      - .offset:         84
        .size:           1
        .value_kind:     by_value
    .group_segment_fixed_size: 0
    .kernarg_segment_align: 8
    .kernarg_segment_size: 88
    .language:       OpenCL C
    .language_version:
      - 2
      - 0
    .max_flat_workgroup_size: 128
    .name:           _ZN9rocsparseL19gebsrmvn_1xn_kernelILj128ELj14ELj64E21rocsparse_complex_numIdEEEvi20rocsparse_direction_NS_24const_host_device_scalarIT2_EEPKiS8_PKS5_SA_S6_PS5_21rocsparse_index_base_b
    .private_segment_fixed_size: 0
    .sgpr_count:     15
    .sgpr_spill_count: 0
    .symbol:         _ZN9rocsparseL19gebsrmvn_1xn_kernelILj128ELj14ELj64E21rocsparse_complex_numIdEEEvi20rocsparse_direction_NS_24const_host_device_scalarIT2_EEPKiS8_PKS5_SA_S6_PS5_21rocsparse_index_base_b.kd
    .uniform_work_group_size: 1
    .uses_dynamic_stack: false
    .vgpr_count:     72
    .vgpr_spill_count: 0
    .wavefront_size: 32
    .workgroup_processor_mode: 1
  - .args:
      - .offset:         0
        .size:           4
        .value_kind:     by_value
      - .offset:         4
        .size:           4
        .value_kind:     by_value
      - .offset:         8
        .size:           16
        .value_kind:     by_value
      - .actual_access:  read_only
        .address_space:  global
        .offset:         24
        .size:           8
        .value_kind:     global_buffer
      - .actual_access:  read_only
        .address_space:  global
        .offset:         32
        .size:           8
        .value_kind:     global_buffer
      - .actual_access:  read_only
        .address_space:  global
        .offset:         40
        .size:           8
        .value_kind:     global_buffer
      - .actual_access:  read_only
        .address_space:  global
        .offset:         48
        .size:           8
        .value_kind:     global_buffer
      - .offset:         56
        .size:           16
        .value_kind:     by_value
      - .address_space:  global
        .offset:         72
        .size:           8
        .value_kind:     global_buffer
      - .offset:         80
        .size:           4
        .value_kind:     by_value
      - .offset:         84
        .size:           1
        .value_kind:     by_value
    .group_segment_fixed_size: 0
    .kernarg_segment_align: 8
    .kernarg_segment_size: 88
    .language:       OpenCL C
    .language_version:
      - 2
      - 0
    .max_flat_workgroup_size: 128
    .name:           _ZN9rocsparseL19gebsrmvn_1xn_kernelILj128ELj15ELj4E21rocsparse_complex_numIdEEEvi20rocsparse_direction_NS_24const_host_device_scalarIT2_EEPKiS8_PKS5_SA_S6_PS5_21rocsparse_index_base_b
    .private_segment_fixed_size: 0
    .sgpr_count:     15
    .sgpr_spill_count: 0
    .symbol:         _ZN9rocsparseL19gebsrmvn_1xn_kernelILj128ELj15ELj4E21rocsparse_complex_numIdEEEvi20rocsparse_direction_NS_24const_host_device_scalarIT2_EEPKiS8_PKS5_SA_S6_PS5_21rocsparse_index_base_b.kd
    .uniform_work_group_size: 1
    .uses_dynamic_stack: false
    .vgpr_count:     73
    .vgpr_spill_count: 0
    .wavefront_size: 32
    .workgroup_processor_mode: 1
  - .args:
      - .offset:         0
        .size:           4
        .value_kind:     by_value
      - .offset:         4
        .size:           4
        .value_kind:     by_value
      - .offset:         8
        .size:           16
        .value_kind:     by_value
      - .actual_access:  read_only
        .address_space:  global
        .offset:         24
        .size:           8
        .value_kind:     global_buffer
      - .actual_access:  read_only
        .address_space:  global
        .offset:         32
        .size:           8
        .value_kind:     global_buffer
      - .actual_access:  read_only
        .address_space:  global
        .offset:         40
        .size:           8
        .value_kind:     global_buffer
      - .actual_access:  read_only
        .address_space:  global
        .offset:         48
        .size:           8
        .value_kind:     global_buffer
      - .offset:         56
        .size:           16
        .value_kind:     by_value
      - .address_space:  global
        .offset:         72
        .size:           8
        .value_kind:     global_buffer
      - .offset:         80
        .size:           4
        .value_kind:     by_value
      - .offset:         84
        .size:           1
        .value_kind:     by_value
    .group_segment_fixed_size: 0
    .kernarg_segment_align: 8
    .kernarg_segment_size: 88
    .language:       OpenCL C
    .language_version:
      - 2
      - 0
    .max_flat_workgroup_size: 128
    .name:           _ZN9rocsparseL19gebsrmvn_1xn_kernelILj128ELj15ELj8E21rocsparse_complex_numIdEEEvi20rocsparse_direction_NS_24const_host_device_scalarIT2_EEPKiS8_PKS5_SA_S6_PS5_21rocsparse_index_base_b
    .private_segment_fixed_size: 0
    .sgpr_count:     15
    .sgpr_spill_count: 0
    .symbol:         _ZN9rocsparseL19gebsrmvn_1xn_kernelILj128ELj15ELj8E21rocsparse_complex_numIdEEEvi20rocsparse_direction_NS_24const_host_device_scalarIT2_EEPKiS8_PKS5_SA_S6_PS5_21rocsparse_index_base_b.kd
    .uniform_work_group_size: 1
    .uses_dynamic_stack: false
    .vgpr_count:     73
    .vgpr_spill_count: 0
    .wavefront_size: 32
    .workgroup_processor_mode: 1
  - .args:
      - .offset:         0
        .size:           4
        .value_kind:     by_value
      - .offset:         4
        .size:           4
        .value_kind:     by_value
      - .offset:         8
        .size:           16
        .value_kind:     by_value
      - .actual_access:  read_only
        .address_space:  global
        .offset:         24
        .size:           8
        .value_kind:     global_buffer
      - .actual_access:  read_only
        .address_space:  global
        .offset:         32
        .size:           8
        .value_kind:     global_buffer
      - .actual_access:  read_only
        .address_space:  global
        .offset:         40
        .size:           8
        .value_kind:     global_buffer
      - .actual_access:  read_only
        .address_space:  global
        .offset:         48
        .size:           8
        .value_kind:     global_buffer
      - .offset:         56
        .size:           16
        .value_kind:     by_value
      - .address_space:  global
        .offset:         72
        .size:           8
        .value_kind:     global_buffer
      - .offset:         80
        .size:           4
        .value_kind:     by_value
      - .offset:         84
        .size:           1
        .value_kind:     by_value
    .group_segment_fixed_size: 0
    .kernarg_segment_align: 8
    .kernarg_segment_size: 88
    .language:       OpenCL C
    .language_version:
      - 2
      - 0
    .max_flat_workgroup_size: 128
    .name:           _ZN9rocsparseL19gebsrmvn_1xn_kernelILj128ELj15ELj16E21rocsparse_complex_numIdEEEvi20rocsparse_direction_NS_24const_host_device_scalarIT2_EEPKiS8_PKS5_SA_S6_PS5_21rocsparse_index_base_b
    .private_segment_fixed_size: 0
    .sgpr_count:     15
    .sgpr_spill_count: 0
    .symbol:         _ZN9rocsparseL19gebsrmvn_1xn_kernelILj128ELj15ELj16E21rocsparse_complex_numIdEEEvi20rocsparse_direction_NS_24const_host_device_scalarIT2_EEPKiS8_PKS5_SA_S6_PS5_21rocsparse_index_base_b.kd
    .uniform_work_group_size: 1
    .uses_dynamic_stack: false
    .vgpr_count:     73
    .vgpr_spill_count: 0
    .wavefront_size: 32
    .workgroup_processor_mode: 1
  - .args:
      - .offset:         0
        .size:           4
        .value_kind:     by_value
      - .offset:         4
        .size:           4
        .value_kind:     by_value
      - .offset:         8
        .size:           16
        .value_kind:     by_value
      - .actual_access:  read_only
        .address_space:  global
        .offset:         24
        .size:           8
        .value_kind:     global_buffer
      - .actual_access:  read_only
        .address_space:  global
        .offset:         32
        .size:           8
        .value_kind:     global_buffer
      - .actual_access:  read_only
        .address_space:  global
        .offset:         40
        .size:           8
        .value_kind:     global_buffer
      - .actual_access:  read_only
        .address_space:  global
        .offset:         48
        .size:           8
        .value_kind:     global_buffer
      - .offset:         56
        .size:           16
        .value_kind:     by_value
      - .address_space:  global
        .offset:         72
        .size:           8
        .value_kind:     global_buffer
      - .offset:         80
        .size:           4
        .value_kind:     by_value
      - .offset:         84
        .size:           1
        .value_kind:     by_value
    .group_segment_fixed_size: 0
    .kernarg_segment_align: 8
    .kernarg_segment_size: 88
    .language:       OpenCL C
    .language_version:
      - 2
      - 0
    .max_flat_workgroup_size: 128
    .name:           _ZN9rocsparseL19gebsrmvn_1xn_kernelILj128ELj15ELj32E21rocsparse_complex_numIdEEEvi20rocsparse_direction_NS_24const_host_device_scalarIT2_EEPKiS8_PKS5_SA_S6_PS5_21rocsparse_index_base_b
    .private_segment_fixed_size: 0
    .sgpr_count:     15
    .sgpr_spill_count: 0
    .symbol:         _ZN9rocsparseL19gebsrmvn_1xn_kernelILj128ELj15ELj32E21rocsparse_complex_numIdEEEvi20rocsparse_direction_NS_24const_host_device_scalarIT2_EEPKiS8_PKS5_SA_S6_PS5_21rocsparse_index_base_b.kd
    .uniform_work_group_size: 1
    .uses_dynamic_stack: false
    .vgpr_count:     73
    .vgpr_spill_count: 0
    .wavefront_size: 32
    .workgroup_processor_mode: 1
  - .args:
      - .offset:         0
        .size:           4
        .value_kind:     by_value
      - .offset:         4
        .size:           4
        .value_kind:     by_value
      - .offset:         8
        .size:           16
        .value_kind:     by_value
      - .actual_access:  read_only
        .address_space:  global
        .offset:         24
        .size:           8
        .value_kind:     global_buffer
      - .actual_access:  read_only
        .address_space:  global
        .offset:         32
        .size:           8
        .value_kind:     global_buffer
      - .actual_access:  read_only
        .address_space:  global
        .offset:         40
        .size:           8
        .value_kind:     global_buffer
      - .actual_access:  read_only
        .address_space:  global
        .offset:         48
        .size:           8
        .value_kind:     global_buffer
      - .offset:         56
        .size:           16
        .value_kind:     by_value
      - .address_space:  global
        .offset:         72
        .size:           8
        .value_kind:     global_buffer
      - .offset:         80
        .size:           4
        .value_kind:     by_value
      - .offset:         84
        .size:           1
        .value_kind:     by_value
    .group_segment_fixed_size: 0
    .kernarg_segment_align: 8
    .kernarg_segment_size: 88
    .language:       OpenCL C
    .language_version:
      - 2
      - 0
    .max_flat_workgroup_size: 128
    .name:           _ZN9rocsparseL19gebsrmvn_1xn_kernelILj128ELj15ELj64E21rocsparse_complex_numIdEEEvi20rocsparse_direction_NS_24const_host_device_scalarIT2_EEPKiS8_PKS5_SA_S6_PS5_21rocsparse_index_base_b
    .private_segment_fixed_size: 0
    .sgpr_count:     15
    .sgpr_spill_count: 0
    .symbol:         _ZN9rocsparseL19gebsrmvn_1xn_kernelILj128ELj15ELj64E21rocsparse_complex_numIdEEEvi20rocsparse_direction_NS_24const_host_device_scalarIT2_EEPKiS8_PKS5_SA_S6_PS5_21rocsparse_index_base_b.kd
    .uniform_work_group_size: 1
    .uses_dynamic_stack: false
    .vgpr_count:     73
    .vgpr_spill_count: 0
    .wavefront_size: 32
    .workgroup_processor_mode: 1
  - .args:
      - .offset:         0
        .size:           4
        .value_kind:     by_value
      - .offset:         4
        .size:           4
        .value_kind:     by_value
      - .offset:         8
        .size:           16
        .value_kind:     by_value
      - .actual_access:  read_only
        .address_space:  global
        .offset:         24
        .size:           8
        .value_kind:     global_buffer
      - .actual_access:  read_only
        .address_space:  global
        .offset:         32
        .size:           8
        .value_kind:     global_buffer
      - .actual_access:  read_only
        .address_space:  global
        .offset:         40
        .size:           8
        .value_kind:     global_buffer
      - .actual_access:  read_only
        .address_space:  global
        .offset:         48
        .size:           8
        .value_kind:     global_buffer
      - .offset:         56
        .size:           16
        .value_kind:     by_value
      - .address_space:  global
        .offset:         72
        .size:           8
        .value_kind:     global_buffer
      - .offset:         80
        .size:           4
        .value_kind:     by_value
      - .offset:         84
        .size:           1
        .value_kind:     by_value
    .group_segment_fixed_size: 0
    .kernarg_segment_align: 8
    .kernarg_segment_size: 88
    .language:       OpenCL C
    .language_version:
      - 2
      - 0
    .max_flat_workgroup_size: 128
    .name:           _ZN9rocsparseL19gebsrmvn_1xn_kernelILj128ELj16ELj4E21rocsparse_complex_numIdEEEvi20rocsparse_direction_NS_24const_host_device_scalarIT2_EEPKiS8_PKS5_SA_S6_PS5_21rocsparse_index_base_b
    .private_segment_fixed_size: 0
    .sgpr_count:     15
    .sgpr_spill_count: 0
    .symbol:         _ZN9rocsparseL19gebsrmvn_1xn_kernelILj128ELj16ELj4E21rocsparse_complex_numIdEEEvi20rocsparse_direction_NS_24const_host_device_scalarIT2_EEPKiS8_PKS5_SA_S6_PS5_21rocsparse_index_base_b.kd
    .uniform_work_group_size: 1
    .uses_dynamic_stack: false
    .vgpr_count:     88
    .vgpr_spill_count: 0
    .wavefront_size: 32
    .workgroup_processor_mode: 1
  - .args:
      - .offset:         0
        .size:           4
        .value_kind:     by_value
      - .offset:         4
        .size:           4
        .value_kind:     by_value
      - .offset:         8
        .size:           16
        .value_kind:     by_value
      - .actual_access:  read_only
        .address_space:  global
        .offset:         24
        .size:           8
        .value_kind:     global_buffer
      - .actual_access:  read_only
        .address_space:  global
        .offset:         32
        .size:           8
        .value_kind:     global_buffer
      - .actual_access:  read_only
        .address_space:  global
        .offset:         40
        .size:           8
        .value_kind:     global_buffer
      - .actual_access:  read_only
        .address_space:  global
        .offset:         48
        .size:           8
        .value_kind:     global_buffer
      - .offset:         56
        .size:           16
        .value_kind:     by_value
      - .address_space:  global
        .offset:         72
        .size:           8
        .value_kind:     global_buffer
      - .offset:         80
        .size:           4
        .value_kind:     by_value
      - .offset:         84
        .size:           1
        .value_kind:     by_value
    .group_segment_fixed_size: 0
    .kernarg_segment_align: 8
    .kernarg_segment_size: 88
    .language:       OpenCL C
    .language_version:
      - 2
      - 0
    .max_flat_workgroup_size: 128
    .name:           _ZN9rocsparseL19gebsrmvn_1xn_kernelILj128ELj16ELj8E21rocsparse_complex_numIdEEEvi20rocsparse_direction_NS_24const_host_device_scalarIT2_EEPKiS8_PKS5_SA_S6_PS5_21rocsparse_index_base_b
    .private_segment_fixed_size: 0
    .sgpr_count:     15
    .sgpr_spill_count: 0
    .symbol:         _ZN9rocsparseL19gebsrmvn_1xn_kernelILj128ELj16ELj8E21rocsparse_complex_numIdEEEvi20rocsparse_direction_NS_24const_host_device_scalarIT2_EEPKiS8_PKS5_SA_S6_PS5_21rocsparse_index_base_b.kd
    .uniform_work_group_size: 1
    .uses_dynamic_stack: false
    .vgpr_count:     88
    .vgpr_spill_count: 0
    .wavefront_size: 32
    .workgroup_processor_mode: 1
  - .args:
      - .offset:         0
        .size:           4
        .value_kind:     by_value
      - .offset:         4
        .size:           4
        .value_kind:     by_value
      - .offset:         8
        .size:           16
        .value_kind:     by_value
      - .actual_access:  read_only
        .address_space:  global
        .offset:         24
        .size:           8
        .value_kind:     global_buffer
      - .actual_access:  read_only
        .address_space:  global
        .offset:         32
        .size:           8
        .value_kind:     global_buffer
      - .actual_access:  read_only
        .address_space:  global
        .offset:         40
        .size:           8
        .value_kind:     global_buffer
      - .actual_access:  read_only
        .address_space:  global
        .offset:         48
        .size:           8
        .value_kind:     global_buffer
      - .offset:         56
        .size:           16
        .value_kind:     by_value
      - .address_space:  global
        .offset:         72
        .size:           8
        .value_kind:     global_buffer
      - .offset:         80
        .size:           4
        .value_kind:     by_value
      - .offset:         84
        .size:           1
        .value_kind:     by_value
    .group_segment_fixed_size: 0
    .kernarg_segment_align: 8
    .kernarg_segment_size: 88
    .language:       OpenCL C
    .language_version:
      - 2
      - 0
    .max_flat_workgroup_size: 128
    .name:           _ZN9rocsparseL19gebsrmvn_1xn_kernelILj128ELj16ELj16E21rocsparse_complex_numIdEEEvi20rocsparse_direction_NS_24const_host_device_scalarIT2_EEPKiS8_PKS5_SA_S6_PS5_21rocsparse_index_base_b
    .private_segment_fixed_size: 0
    .sgpr_count:     15
    .sgpr_spill_count: 0
    .symbol:         _ZN9rocsparseL19gebsrmvn_1xn_kernelILj128ELj16ELj16E21rocsparse_complex_numIdEEEvi20rocsparse_direction_NS_24const_host_device_scalarIT2_EEPKiS8_PKS5_SA_S6_PS5_21rocsparse_index_base_b.kd
    .uniform_work_group_size: 1
    .uses_dynamic_stack: false
    .vgpr_count:     88
    .vgpr_spill_count: 0
    .wavefront_size: 32
    .workgroup_processor_mode: 1
  - .args:
      - .offset:         0
        .size:           4
        .value_kind:     by_value
      - .offset:         4
        .size:           4
        .value_kind:     by_value
      - .offset:         8
        .size:           16
        .value_kind:     by_value
      - .actual_access:  read_only
        .address_space:  global
        .offset:         24
        .size:           8
        .value_kind:     global_buffer
      - .actual_access:  read_only
        .address_space:  global
        .offset:         32
        .size:           8
        .value_kind:     global_buffer
      - .actual_access:  read_only
        .address_space:  global
        .offset:         40
        .size:           8
        .value_kind:     global_buffer
      - .actual_access:  read_only
        .address_space:  global
        .offset:         48
        .size:           8
        .value_kind:     global_buffer
      - .offset:         56
        .size:           16
        .value_kind:     by_value
      - .address_space:  global
        .offset:         72
        .size:           8
        .value_kind:     global_buffer
      - .offset:         80
        .size:           4
        .value_kind:     by_value
      - .offset:         84
        .size:           1
        .value_kind:     by_value
    .group_segment_fixed_size: 0
    .kernarg_segment_align: 8
    .kernarg_segment_size: 88
    .language:       OpenCL C
    .language_version:
      - 2
      - 0
    .max_flat_workgroup_size: 128
    .name:           _ZN9rocsparseL19gebsrmvn_1xn_kernelILj128ELj16ELj32E21rocsparse_complex_numIdEEEvi20rocsparse_direction_NS_24const_host_device_scalarIT2_EEPKiS8_PKS5_SA_S6_PS5_21rocsparse_index_base_b
    .private_segment_fixed_size: 0
    .sgpr_count:     15
    .sgpr_spill_count: 0
    .symbol:         _ZN9rocsparseL19gebsrmvn_1xn_kernelILj128ELj16ELj32E21rocsparse_complex_numIdEEEvi20rocsparse_direction_NS_24const_host_device_scalarIT2_EEPKiS8_PKS5_SA_S6_PS5_21rocsparse_index_base_b.kd
    .uniform_work_group_size: 1
    .uses_dynamic_stack: false
    .vgpr_count:     88
    .vgpr_spill_count: 0
    .wavefront_size: 32
    .workgroup_processor_mode: 1
  - .args:
      - .offset:         0
        .size:           4
        .value_kind:     by_value
      - .offset:         4
        .size:           4
        .value_kind:     by_value
      - .offset:         8
        .size:           16
        .value_kind:     by_value
      - .actual_access:  read_only
        .address_space:  global
        .offset:         24
        .size:           8
        .value_kind:     global_buffer
      - .actual_access:  read_only
        .address_space:  global
        .offset:         32
        .size:           8
        .value_kind:     global_buffer
      - .actual_access:  read_only
        .address_space:  global
        .offset:         40
        .size:           8
        .value_kind:     global_buffer
      - .actual_access:  read_only
        .address_space:  global
        .offset:         48
        .size:           8
        .value_kind:     global_buffer
      - .offset:         56
        .size:           16
        .value_kind:     by_value
      - .address_space:  global
        .offset:         72
        .size:           8
        .value_kind:     global_buffer
      - .offset:         80
        .size:           4
        .value_kind:     by_value
      - .offset:         84
        .size:           1
        .value_kind:     by_value
    .group_segment_fixed_size: 0
    .kernarg_segment_align: 8
    .kernarg_segment_size: 88
    .language:       OpenCL C
    .language_version:
      - 2
      - 0
    .max_flat_workgroup_size: 128
    .name:           _ZN9rocsparseL19gebsrmvn_1xn_kernelILj128ELj16ELj64E21rocsparse_complex_numIdEEEvi20rocsparse_direction_NS_24const_host_device_scalarIT2_EEPKiS8_PKS5_SA_S6_PS5_21rocsparse_index_base_b
    .private_segment_fixed_size: 0
    .sgpr_count:     15
    .sgpr_spill_count: 0
    .symbol:         _ZN9rocsparseL19gebsrmvn_1xn_kernelILj128ELj16ELj64E21rocsparse_complex_numIdEEEvi20rocsparse_direction_NS_24const_host_device_scalarIT2_EEPKiS8_PKS5_SA_S6_PS5_21rocsparse_index_base_b.kd
    .uniform_work_group_size: 1
    .uses_dynamic_stack: false
    .vgpr_count:     88
    .vgpr_spill_count: 0
    .wavefront_size: 32
    .workgroup_processor_mode: 1
  - .args:
      - .offset:         0
        .size:           4
        .value_kind:     by_value
      - .offset:         4
        .size:           4
        .value_kind:     by_value
      - .offset:         8
        .size:           16
        .value_kind:     by_value
      - .actual_access:  read_only
        .address_space:  global
        .offset:         24
        .size:           8
        .value_kind:     global_buffer
      - .actual_access:  read_only
        .address_space:  global
        .offset:         32
        .size:           8
        .value_kind:     global_buffer
      - .actual_access:  read_only
        .address_space:  global
        .offset:         40
        .size:           8
        .value_kind:     global_buffer
      - .offset:         48
        .size:           4
        .value_kind:     by_value
      - .offset:         52
        .size:           4
        .value_kind:     by_value
      - .actual_access:  read_only
        .address_space:  global
        .offset:         56
        .size:           8
        .value_kind:     global_buffer
      - .offset:         64
        .size:           16
        .value_kind:     by_value
      - .address_space:  global
        .offset:         80
        .size:           8
        .value_kind:     global_buffer
      - .offset:         88
        .size:           4
        .value_kind:     by_value
      - .offset:         92
        .size:           1
        .value_kind:     by_value
    .group_segment_fixed_size: 0
    .kernarg_segment_align: 8
    .kernarg_segment_size: 96
    .language:       OpenCL C
    .language_version:
      - 2
      - 0
    .max_flat_workgroup_size: 32
    .name:           _ZN9rocsparseL23gebsrmvn_general_kernelILj32ELj32E21rocsparse_complex_numIdEEEvi20rocsparse_direction_NS_24const_host_device_scalarIT1_EEPKiS8_PKS5_iiSA_S6_PS5_21rocsparse_index_base_b
    .private_segment_fixed_size: 0
    .sgpr_count:     28
    .sgpr_spill_count: 0
    .symbol:         _ZN9rocsparseL23gebsrmvn_general_kernelILj32ELj32E21rocsparse_complex_numIdEEEvi20rocsparse_direction_NS_24const_host_device_scalarIT1_EEPKiS8_PKS5_iiSA_S6_PS5_21rocsparse_index_base_b.kd
    .uniform_work_group_size: 1
    .uses_dynamic_stack: false
    .vgpr_count:     32
    .vgpr_spill_count: 0
    .wavefront_size: 32
    .workgroup_processor_mode: 1
amdhsa.target:   amdgcn-amd-amdhsa--gfx1030
amdhsa.version:
  - 1
  - 2
...

	.end_amdgpu_metadata
